;; amdgpu-corpus repo=ggml-org/llama.cpp kind=compiled arch=gfx1201 opt=O3
	.amdgcn_target "amdgcn-amd-amdhsa--gfx1201"
	.amdhsa_code_object_version 6
	.section	.text._ZL18flash_attn_ext_vecILi64ELi1EL9ggml_type3ELS0_2ELb0EEvPKcS2_S2_S2_S2_PKiPfP15HIP_vector_typeIfLj2EEffffjfiS6_IjLj3EEiiiiiiiiiiiliiliiiiil,"axG",@progbits,_ZL18flash_attn_ext_vecILi64ELi1EL9ggml_type3ELS0_2ELb0EEvPKcS2_S2_S2_S2_PKiPfP15HIP_vector_typeIfLj2EEffffjfiS6_IjLj3EEiiiiiiiiiiiliiliiiiil,comdat
	.globl	_ZL18flash_attn_ext_vecILi64ELi1EL9ggml_type3ELS0_2ELb0EEvPKcS2_S2_S2_S2_PKiPfP15HIP_vector_typeIfLj2EEffffjfiS6_IjLj3EEiiiiiiiiiiiliiliiiiil ; -- Begin function _ZL18flash_attn_ext_vecILi64ELi1EL9ggml_type3ELS0_2ELb0EEvPKcS2_S2_S2_S2_PKiPfP15HIP_vector_typeIfLj2EEffffjfiS6_IjLj3EEiiiiiiiiiiiliiliiiiil
	.p2align	8
	.type	_ZL18flash_attn_ext_vecILi64ELi1EL9ggml_type3ELS0_2ELb0EEvPKcS2_S2_S2_S2_PKiPfP15HIP_vector_typeIfLj2EEffffjfiS6_IjLj3EEiiiiiiiiiiiliiliiiiil,@function
_ZL18flash_attn_ext_vecILi64ELi1EL9ggml_type3ELS0_2ELb0EEvPKcS2_S2_S2_S2_PKiPfP15HIP_vector_typeIfLj2EEffffjfiS6_IjLj3EEiiiiiiiiiiiliiliiiiil: ; @_ZL18flash_attn_ext_vecILi64ELi1EL9ggml_type3ELS0_2ELb0EEvPKcS2_S2_S2_S2_PKiPfP15HIP_vector_typeIfLj2EEffffjfiS6_IjLj3EEiiiiiiiiiiiliiliiiiil
; %bb.0:
	s_clause 0x2
	s_load_b64 s[24:25], s[0:1], 0x64
	s_load_b64 s[30:31], s[0:1], 0x80
	;; [unrolled: 1-line block ×3, first 2 shown]
	s_lshr_b32 s4, ttmp7, 16
	s_load_b128 s[20:23], s[0:1], 0x40
	v_mov_b32_e32 v16, 1.0
	s_mov_b32 s39, 0
	s_wait_kmcnt 0x0
	s_cvt_f32_u32 s2, s25
	s_sub_co_i32 s3, 0, s25
	s_delay_alu instid0(SALU_CYCLE_2) | instskip(NEXT) | instid1(TRANS32_DEP_1)
	v_rcp_iflag_f32_e32 v1, s2
	v_readfirstlane_b32 s2, v1
	s_mul_f32 s2, s2, 0x4f7ffffe
	s_wait_alu 0xfffe
	s_delay_alu instid0(SALU_CYCLE_2) | instskip(SKIP_1) | instid1(SALU_CYCLE_2)
	s_cvt_u32_f32 s2, s2
	s_wait_alu 0xfffe
	s_mul_i32 s3, s3, s2
	s_wait_alu 0xfffe
	s_mul_hi_u32 s3, s2, s3
	s_wait_alu 0xfffe
	s_add_co_i32 s2, s2, s3
	s_wait_alu 0xfffe
	s_mul_hi_u32 s2, s4, s2
	s_wait_alu 0xfffe
	s_mul_i32 s3, s2, s25
	s_add_co_i32 s5, s2, 1
	s_wait_alu 0xfffe
	s_sub_co_i32 s3, s4, s3
	s_wait_alu 0xfffe
	s_sub_co_i32 s6, s3, s25
	s_cmp_ge_u32 s3, s25
	s_cselect_b32 s2, s5, s2
	s_cselect_b32 s3, s6, s3
	s_wait_alu 0xfffe
	s_add_co_i32 s5, s2, 1
	s_cmp_ge_u32 s3, s25
	s_cselect_b32 s26, s5, s2
	s_abs_i32 s2, s31
	s_abs_i32 s7, s25
	s_wait_alu 0xfffe
	s_cvt_f32_u32 s3, s2
	s_sub_co_i32 s5, 0, s2
	s_xor_b32 s6, s25, s31
	s_wait_alu 0xfffe
	v_rcp_iflag_f32_e32 v1, s3
	s_ashr_i32 s6, s6, 31
	s_delay_alu instid0(TRANS32_DEP_1) | instskip(SKIP_2) | instid1(SALU_CYCLE_2)
	v_readfirstlane_b32 s3, v1
	s_mul_f32 s3, s3, 0x4f7ffffe
	s_wait_alu 0xfffe
	s_cvt_u32_f32 s3, s3
	s_wait_alu 0xfffe
	s_delay_alu instid0(SALU_CYCLE_2) | instskip(NEXT) | instid1(SALU_CYCLE_1)
	s_mul_i32 s5, s5, s3
	s_mul_hi_u32 s5, s3, s5
	s_delay_alu instid0(SALU_CYCLE_1)
	s_add_co_i32 s3, s3, s5
	s_mul_i32 s5, s26, s25
	s_wait_alu 0xfffe
	s_mul_hi_u32 s3, s7, s3
	s_sub_co_i32 s28, s4, s5
	s_wait_alu 0xfffe
	s_mul_i32 s8, s3, s2
	s_add_co_i32 s5, s3, 1
	s_sub_co_i32 s4, s7, s8
	s_delay_alu instid0(SALU_CYCLE_1)
	s_sub_co_i32 s7, s4, s2
	s_cmp_ge_u32 s4, s2
	s_cselect_b32 s3, s5, s3
	s_cselect_b32 s4, s7, s4
	s_wait_alu 0xfffe
	s_add_co_i32 s5, s3, 1
	s_cmp_ge_u32 s4, s2
	s_cselect_b32 s2, s5, s3
	s_abs_i32 s34, s34
	s_wait_alu 0xfffe
	s_xor_b32 s2, s2, s6
	s_sub_co_i32 s5, 0, s34
	s_wait_alu 0xfffe
	s_sub_co_i32 s27, s2, s6
	s_cvt_f32_u32 s2, s34
	s_abs_i32 s44, s27
	s_abs_i32 s38, s28
	s_cvt_f32_u32 s3, s44
	s_wait_alu 0xfffe
	v_rcp_iflag_f32_e32 v1, s2
	s_load_b32 s2, s[0:1], 0x50
	s_sub_co_i32 s6, 0, s44
	v_rcp_iflag_f32_e32 v2, s3
	s_abs_i32 s36, s26
	s_delay_alu instid0(TRANS32_DEP_2) | instskip(NEXT) | instid1(TRANS32_DEP_1)
	v_readfirstlane_b32 s3, v1
	v_readfirstlane_b32 s4, v2
	s_mul_f32 s3, s3, 0x4f7ffffe
	s_mul_f32 s4, s4, 0x4f7ffffe
	s_wait_alu 0xfffe
	s_delay_alu instid0(SALU_CYCLE_1) | instskip(NEXT) | instid1(SALU_CYCLE_1)
	s_cvt_u32_f32 s3, s3
	s_cvt_u32_f32 s4, s4
	s_wait_alu 0xfffe
	s_delay_alu instid0(SALU_CYCLE_1) | instskip(NEXT) | instid1(SALU_CYCLE_1)
	s_mul_i32 s5, s5, s3
	s_mul_hi_u32 s5, s3, s5
	s_mul_i32 s6, s6, s4
	s_add_co_i32 s40, s3, s5
	s_mul_hi_u32 s6, s4, s6
	s_delay_alu instid0(SALU_CYCLE_1)
	s_add_co_i32 s42, s4, s6
	s_cmp_le_f32 s21, 0
	s_cbranch_scc1 .LBB0_2
; %bb.1:
	s_wait_kmcnt 0x0
	v_sub_co_u32 v1, s2, s28, s2
	s_and_b32 s4, s2, exec_lo
	s_cselect_b32 s4, s22, s23
	s_add_co_i32 s5, s28, 1
	v_readfirstlane_b32 s3, v1
	s_lshl_b32 s3, s3, 1
	s_wait_alu 0xfffe
	s_or_b32 s3, s3, 1
	s_and_b32 s2, s2, exec_lo
	s_wait_alu 0xfffe
	s_cselect_b32 s2, s5, s3
	s_cmp_neq_f32 s4, 1.0
	s_wait_alu 0xfffe
	s_cvt_f32_i32 s2, s2
	s_wait_alu 0xfffe
	s_delay_alu instid0(SALU_CYCLE_2)
	s_cselect_b32 s3, s2, 1.0
	s_wait_alu 0xfffe
	s_cmp_neq_f32 s3, 0
	s_cselect_b32 s2, s4, 1.0
	s_wait_alu 0xfffe
	v_frexp_mant_f32_e64 v1, |s2|
	s_delay_alu instid0(VALU_DEP_1) | instskip(SKIP_3) | instid1(SALU_CYCLE_1)
	v_readfirstlane_b32 s4, v1
	v_cvt_f64_f32_e64 v[1:2], |s2|
	s_cmp_lt_f32 s4, 0x3f2aaaab
	s_cselect_b32 s5, -1, 0
	s_and_b32 s6, s5, exec_lo
	s_cselect_b32 s6, 2.0, 1.0
	s_delay_alu instid0(SALU_CYCLE_1) | instskip(NEXT) | instid1(SALU_CYCLE_3)
	s_mul_f32 s4, s4, s6
	s_add_f32 s6, s4, 1.0
	s_add_f32 s8, s4, -1.0
	s_delay_alu instid0(SALU_CYCLE_2) | instskip(SKIP_1) | instid1(SALU_CYCLE_3)
	v_s_rcp_f32 s7, s6
	s_add_f32 s11, s6, -1.0
	s_sub_f32 s4, s4, s11
	s_delay_alu instid0(TRANS32_DEP_1) | instskip(NEXT) | instid1(SALU_CYCLE_3)
	s_mul_f32 s9, s8, s7
	s_mul_f32 s10, s6, s9
	s_delay_alu instid0(SALU_CYCLE_3) | instskip(NEXT) | instid1(VALU_DEP_1)
	s_xor_b32 s12, s10, 0x80000000
	v_frexp_exp_i32_f64_e32 v1, v[1:2]
	s_fmac_f32 s12, s9, s6
	s_delay_alu instid0(SALU_CYCLE_3) | instskip(NEXT) | instid1(SALU_CYCLE_3)
	s_fmac_f32 s12, s9, s4
	s_add_f32 s4, s10, s12
	s_delay_alu instid0(SALU_CYCLE_3) | instskip(SKIP_2) | instid1(SALU_CYCLE_1)
	s_sub_f32 s6, s8, s4
	s_sub_f32 s10, s4, s10
	s_wait_alu 0xfffe
	s_sub_f32 s8, s8, s6
	s_delay_alu instid0(SALU_CYCLE_1) | instskip(NEXT) | instid1(SALU_CYCLE_2)
	s_sub_f32 s10, s10, s12
	s_sub_f32 s4, s8, s4
	s_delay_alu instid0(SALU_CYCLE_3) | instskip(SKIP_1) | instid1(SALU_CYCLE_2)
	s_add_f32 s4, s10, s4
	s_mov_b32 s10, 0x3e76c4e1
	s_add_f32 s4, s6, s4
	s_delay_alu instid0(SALU_CYCLE_3) | instskip(NEXT) | instid1(SALU_CYCLE_3)
	s_mul_f32 s4, s7, s4
	s_add_f32 s6, s9, s4
	s_wait_alu 0xfffe
	s_delay_alu instid0(SALU_CYCLE_2) | instskip(SKIP_2) | instid1(SALU_CYCLE_1)
	s_sub_f32 s7, s6, s9
	s_mul_f32 s8, s6, s6
	s_wait_alu 0xfffe
	s_sub_f32 s4, s4, s7
	s_delay_alu instid0(SALU_CYCLE_1) | instskip(SKIP_4) | instid1(SALU_CYCLE_2)
	s_xor_b32 s7, s8, 0x80000000
	s_wait_alu 0xfffe
	s_fmac_f32 s7, s6, s6
	s_add_f32 s9, s4, s4
	s_wait_alu 0xfffe
	s_fmac_f32 s7, s6, s9
	s_wait_alu 0xfffe
	s_delay_alu instid0(SALU_CYCLE_2) | instskip(NEXT) | instid1(SALU_CYCLE_3)
	s_add_f32 s9, s8, s7
	s_fmaak_f32 s10, s9, s10, 0x3e91f4c4
	s_sub_f32 s8, s9, s8
	s_delay_alu instid0(SALU_CYCLE_2) | instskip(NEXT) | instid1(SALU_CYCLE_2)
	s_fmaak_f32 s10, s9, s10, 0x3ecccdef
	s_sub_f32 s7, s7, s8
	s_mul_f32 s8, s6, s9
	s_delay_alu instid0(SALU_CYCLE_1) | instskip(NEXT) | instid1(SALU_CYCLE_2)
	s_mul_f32 s11, s9, s10
	s_xor_b32 s13, s8, 0x80000000
	s_delay_alu instid0(SALU_CYCLE_2) | instskip(SKIP_2) | instid1(SALU_CYCLE_2)
	s_xor_b32 s12, s11, 0x80000000
	s_fmac_f32 s13, s9, s6
	s_fmac_f32 s12, s9, s10
	;; [unrolled: 1-line block ×3, first 2 shown]
	s_wait_alu 0xfffe
	s_delay_alu instid0(SALU_CYCLE_1) | instskip(NEXT) | instid1(SALU_CYCLE_1)
	s_fmac_f32 s12, s7, s10
	s_fmac_f32 s13, s7, s6
	s_delay_alu instid0(SALU_CYCLE_2) | instskip(NEXT) | instid1(SALU_CYCLE_3)
	s_add_f32 s10, s11, s12
	s_sub_f32 s11, s10, s11
	s_add_f32 s14, s10, 0x3f2aaaaa
	s_delay_alu instid0(SALU_CYCLE_2) | instskip(NEXT) | instid1(SALU_CYCLE_2)
	s_sub_f32 s11, s12, s11
	s_add_f32 s12, s14, 0xbf2aaaaa
	s_delay_alu instid0(SALU_CYCLE_2) | instskip(NEXT) | instid1(SALU_CYCLE_2)
	s_add_f32 s9, s11, 0x31739010
	s_sub_f32 s10, s10, s12
	s_delay_alu instid0(SALU_CYCLE_3) | instskip(SKIP_2) | instid1(SALU_CYCLE_1)
	s_add_f32 s7, s9, s10
	s_add_f32 s9, s8, s13
	s_wait_alu 0xfffe
	s_add_f32 s10, s14, s7
	s_delay_alu instid0(SALU_CYCLE_1) | instskip(NEXT) | instid1(SALU_CYCLE_2)
	s_sub_f32 s8, s9, s8
	s_mul_f32 s11, s9, s10
	s_sub_f32 s12, s14, s10
	s_delay_alu instid0(SALU_CYCLE_1) | instskip(NEXT) | instid1(SALU_CYCLE_1)
	s_sub_f32 s8, s13, s8
	s_xor_b32 s14, s11, 0x80000000
	s_delay_alu instid0(SALU_CYCLE_1)
	s_add_f32 s7, s7, s12
	s_fmac_f32 s14, s9, s10
	v_readfirstlane_b32 s12, v1
	v_ldexp_f32 v1, s6, 1
	s_cmp_lg_u32 s5, 0
	s_wait_alu 0xfffe
	s_fmac_f32 s14, s9, s7
	s_sub_co_ci_u32 s5, s12, 0
	v_readfirstlane_b32 s6, v1
	s_delay_alu instid0(SALU_CYCLE_1) | instskip(SKIP_2) | instid1(SALU_CYCLE_1)
	s_fmac_f32 s14, s8, s10
	s_cvt_f32_i32 s5, s5
	v_ldexp_f32 v1, s4, 1
	s_add_f32 s7, s11, s14
	s_delay_alu instid0(SALU_CYCLE_1) | instskip(NEXT) | instid1(VALU_DEP_1)
	s_mul_f32 s4, s5, 0x3f317218
	v_readfirstlane_b32 s10, v1
	s_wait_alu 0xfffe
	s_add_f32 s8, s6, s7
	s_sub_f32 s9, s7, s11
	s_xor_b32 s11, s4, 0x80000000
	s_delay_alu instid0(SALU_CYCLE_1) | instskip(NEXT) | instid1(SALU_CYCLE_1)
	s_sub_f32 s6, s8, s6
	s_sub_f32 s9, s14, s9
	s_fmamk_f32 s11, s5, 0x3f317218, s11
	s_wait_alu 0xfffe
	s_sub_f32 s6, s7, s6
	s_add_f32 s7, s10, s9
	s_fmamk_f32 s5, s5, 0xb102e308, s11
	s_wait_alu 0xfffe
	s_delay_alu instid0(SALU_CYCLE_1) | instskip(NEXT) | instid1(SALU_CYCLE_1)
	s_add_f32 s6, s7, s6
	s_add_f32 s7, s4, s5
	s_wait_alu 0xfffe
	s_delay_alu instid0(SALU_CYCLE_1) | instskip(NEXT) | instid1(SALU_CYCLE_1)
	s_add_f32 s9, s8, s6
	s_sub_f32 s4, s7, s4
	s_delay_alu instid0(SALU_CYCLE_2)
	s_add_f32 s10, s7, s9
	s_sub_f32 s8, s9, s8
	s_wait_alu 0xfffe
	s_sub_f32 s4, s5, s4
	s_sub_f32 s11, s10, s7
	;; [unrolled: 1-line block ×3, first 2 shown]
	s_delay_alu instid0(SALU_CYCLE_2)
	s_sub_f32 s12, s10, s11
	s_sub_f32 s6, s9, s11
	s_wait_alu 0xfffe
	s_add_f32 s8, s4, s5
	s_sub_f32 s7, s7, s12
	s_wait_alu 0xfffe
	s_delay_alu instid0(SALU_CYCLE_2) | instskip(SKIP_2) | instid1(SALU_CYCLE_1)
	s_add_f32 s6, s6, s7
	s_sub_f32 s7, s8, s4
	s_wait_alu 0xfffe
	s_add_f32 s6, s8, s6
	s_delay_alu instid0(SALU_CYCLE_1) | instskip(SKIP_4) | instid1(SALU_CYCLE_2)
	s_sub_f32 s8, s8, s7
	s_sub_f32 s5, s5, s7
	s_wait_alu 0xfffe
	s_add_f32 s9, s10, s6
	s_sub_f32 s4, s4, s8
	s_sub_f32 s7, s9, s10
	s_wait_alu 0xfffe
	s_delay_alu instid0(SALU_CYCLE_1) | instskip(NEXT) | instid1(SALU_CYCLE_1)
	s_add_f32 s4, s5, s4
	s_sub_f32 s5, s6, s7
	s_wait_alu 0xfffe
	s_delay_alu instid0(SALU_CYCLE_2) | instskip(SKIP_1) | instid1(SALU_CYCLE_2)
	s_add_f32 s4, s4, s5
	s_wait_alu 0xfffe
	s_add_f32 s5, s9, s4
	s_wait_alu 0xfffe
	s_delay_alu instid0(SALU_CYCLE_2) | instskip(SKIP_2) | instid1(SALU_CYCLE_1)
	s_mul_f32 s6, s3, s5
	s_sub_f32 s7, s5, s9
	s_wait_alu 0xfffe
	s_xor_b32 s8, s6, 0x80000000
	s_delay_alu instid0(SALU_CYCLE_1) | instskip(SKIP_2) | instid1(SALU_CYCLE_2)
	s_sub_f32 s4, s4, s7
	s_fmac_f32 s8, s3, s5
	s_wait_alu 0xfffe
	s_fmac_f32 s8, s3, s4
	v_cmp_class_f32_e64 s4, s6, 0x204
	s_delay_alu instid0(SALU_CYCLE_2) | instskip(SKIP_2) | instid1(SALU_CYCLE_1)
	s_add_f32 s5, s6, s8
	s_and_b32 s4, s4, exec_lo
	s_wait_alu 0xfffe
	s_sub_f32 s4, s5, s6
	s_cselect_b32 s5, s6, s5
	s_wait_alu 0xfffe
	s_and_b32 s6, s5, 0x7fffffff
	s_sub_f32 s4, s8, s4
	s_wait_alu 0xfffe
	s_cmp_neq_f32 s6, 0x7f800000
	s_delay_alu instid0(SALU_CYCLE_1)
	s_cselect_b32 s4, s4, 0
	s_cmp_eq_f32 s5, 0x42b17218
	s_cselect_b32 s6, 0x37000000, 0
	s_wait_alu 0xfffe
	s_sub_f32 s5, s5, s6
	s_add_f32 s4, s6, s4
	s_wait_alu 0xfffe
	s_delay_alu instid0(SALU_CYCLE_1) | instskip(SKIP_1) | instid1(SALU_CYCLE_2)
	s_mul_f32 s7, s5, 0x3fb8aa3b
	s_wait_alu 0xfffe
	s_xor_b32 s8, s7, 0x80000000
	s_rndne_f32 s9, s7
	s_fmamk_f32 s8, s5, 0x3fb8aa3b, s8
	s_cmp_nlt_f32 s5, 0xc2ce8ed0
	s_delay_alu instid0(SALU_CYCLE_1) | instskip(NEXT) | instid1(SALU_CYCLE_1)
	s_sub_f32 s7, s7, s9
	s_fmamk_f32 s8, s5, 0x32a5705f, s8
	s_cselect_b32 vcc_lo, -1, 0
	s_cmp_ngt_f32 s5, 0x42b17218
	s_trunc_f32 s5, s3
	s_wait_alu 0xfffe
	s_add_f32 s7, s7, s8
	s_cvt_i32_f32 s8, s9
	s_wait_alu 0xfffe
	s_delay_alu instid0(SALU_CYCLE_1) | instskip(SKIP_1) | instid1(TRANS32_DEP_1)
	v_s_exp_f32 s7, s7
	s_wait_alu 0xf1ff
	v_ldexp_f32 v1, s7, s8
	s_mul_f32 s7, s3, 0.5
	s_delay_alu instid0(VALU_DEP_1)
	v_cndmask_b32_e32 v1, 0, v1, vcc_lo
	s_cselect_b32 vcc_lo, -1, 0
	s_cmp_eq_f32 s5, s3
	s_wait_alu 0xfffe
	s_trunc_f32 s8, s7
	v_cndmask_b32_e32 v1, 0x7f800000, v1, vcc_lo
	s_cselect_b32 s9, -1, 0
	s_wait_alu 0xfffe
	s_cmp_neq_f32 s8, s7
	s_delay_alu instid0(VALU_DEP_1)
	v_fma_f32 v2, s4, v1, v1
	v_cmp_class_f32_e64 vcc_lo, v1, 0x204
	s_cselect_b32 s6, -1, 0
	s_wait_alu 0xfffe
	s_and_b32 s4, s9, s6
	s_wait_alu 0xfffd
	v_cndmask_b32_e32 v1, v2, v1, vcc_lo
	s_wait_alu 0xfffe
	s_and_b32 s6, s4, exec_lo
	s_cselect_b32 s6, s2, 1.0
	s_cmp_eq_f32 s5, s3
	v_cmp_class_f32_e64 s5, s2, 0x204
	s_wait_alu 0xfffe
	v_bfi_b32 v1, 0x7fffffff, v1, s6
	s_cselect_b32 vcc_lo, -1, 0
	s_cmp_lt_f32 s2, 0
	s_wait_alu 0xfffe
	s_delay_alu instid0(VALU_DEP_1) | instskip(SKIP_3) | instid1(VALU_DEP_1)
	v_cndmask_b32_e32 v2, 0x7fc00000, v1, vcc_lo
	s_cselect_b32 vcc_lo, -1, 0
	s_cmp_eq_f32 s2, 0
	s_wait_alu 0xfffe
	v_cndmask_b32_e32 v1, v1, v2, vcc_lo
	s_cselect_b32 s6, -1, 0
	s_wait_alu 0xfffe
	s_or_b32 vcc_lo, s6, s5
	s_cmp_lt_f32 s3, 0
	s_cselect_b32 s3, -1, 0
	s_wait_alu 0xfffe
	s_xor_b32 s3, s3, s6
	s_wait_alu 0xfffe
	s_and_b32 s3, s3, exec_lo
	s_cselect_b32 s3, 0, 0x7f800000
	s_and_b32 s4, s4, exec_lo
	s_cselect_b32 s4, s2, 0
	s_cmp_o_f32 s2, s2
	s_wait_alu 0xfffe
	v_mov_b32_e32 v2, s4
	s_delay_alu instid0(VALU_DEP_1) | instskip(NEXT) | instid1(VALU_DEP_1)
	v_bfi_b32 v2, 0x7fffffff, s3, v2
	v_cndmask_b32_e32 v1, v1, v2, vcc_lo
	s_cselect_b32 vcc_lo, -1, 0
	s_wait_alu 0xfffe
	s_delay_alu instid0(VALU_DEP_1)
	v_cndmask_b32_e32 v16, 0x7fc00000, v1, vcc_lo
.LBB0_2:
	s_load_b512 s[4:19], s[0:1], 0x0
	v_bfe_u32 v14, v0, 10, 10
	v_and_b32_e32 v15, 0x3ff, v0
	s_mov_b32 s43, s39
	s_mov_b32 s37, s39
	;; [unrolled: 1-line block ×3, first 2 shown]
	s_wait_kmcnt 0x0
	v_cmp_eq_u32_e64 s2, 0, v14
	s_and_saveexec_b32 s21, s2
	s_cbranch_execz .LBB0_15
; %bb.3:
	s_load_b96 s[48:50], s[0:1], 0x70
	v_dual_mov_b32 v3, 0 :: v_dual_lshlrev_b32 v0, 4, v15
	v_cmp_gt_u32_e32 vcc_lo, 16, v15
	v_mov_b32_e32 v2, 0
	s_wait_kmcnt 0x0
	s_mul_i32 s3, s26, s50
	s_mul_i32 s22, s48, ttmp9
	s_mul_i32 s23, s28, s49
	s_wait_alu 0xfffe
	s_add_co_i32 s3, s3, s22
	s_wait_alu 0xfffe
	s_add_co_i32 s22, s3, s23
	s_delay_alu instid0(SALU_CYCLE_1) | instskip(NEXT) | instid1(SALU_CYCLE_1)
	s_ashr_i32 s23, s22, 31
	s_add_nc_u64 s[4:5], s[4:5], s[22:23]
	s_wait_alu 0xfffe
	v_add_co_u32 v0, s3, s4, v0
	s_wait_alu 0xf1ff
	v_add_co_ci_u32_e64 v1, null, s5, 0, s3
	s_and_saveexec_b32 s3, vcc_lo
	s_cbranch_execz .LBB0_5
; %bb.4:
	global_load_b32 v3, v[0:1], off
	s_wait_loadcnt 0x0
	v_mul_f32_e32 v3, s20, v3
.LBB0_5:
	s_wait_alu 0xfffe
	s_or_b32 exec_lo, exec_lo, s3
	s_and_saveexec_b32 s3, vcc_lo
	s_cbranch_execz .LBB0_7
; %bb.6:
	global_load_b32 v2, v[0:1], off offset:4
	s_wait_loadcnt 0x0
	v_mul_f32_e32 v2, s20, v2
.LBB0_7:
	s_wait_alu 0xfffe
	s_or_b32 exec_lo, exec_lo, s3
	v_dual_mov_b32 v4, 0 :: v_dual_mov_b32 v5, 0
	s_and_saveexec_b32 s3, vcc_lo
	s_cbranch_execz .LBB0_9
; %bb.8:
	global_load_b32 v5, v[0:1], off offset:8
	s_wait_loadcnt 0x0
	v_mul_f32_e32 v5, s20, v5
.LBB0_9:
	s_wait_alu 0xfffe
	s_or_b32 exec_lo, exec_lo, s3
	s_and_saveexec_b32 s3, vcc_lo
	s_cbranch_execz .LBB0_11
; %bb.10:
	global_load_b32 v0, v[0:1], off offset:12
	s_wait_loadcnt 0x0
	v_mul_f32_e32 v4, s20, v0
.LBB0_11:
	s_wait_alu 0xfffe
	s_or_b32 exec_lo, exec_lo, s3
	v_mbcnt_lo_u32_b32 v0, -1, 0
	v_max_num_f32_e64 v1, |v2|, |v2|
	v_max_num_f32_e64 v6, |v3|, |v3|
	s_mov_b32 s20, exec_lo
	s_delay_alu instid0(VALU_DEP_3) | instskip(SKIP_2) | instid1(VALU_DEP_3)
	v_xor_b32_e32 v7, 4, v0
	v_xor_b32_e32 v8, 2, v0
	;; [unrolled: 1-line block ×3, first 2 shown]
	v_cmp_gt_i32_e32 vcc_lo, 32, v7
	s_wait_alu 0xfffd
	v_dual_max_num_f32 v1, v6, v1 :: v_dual_cndmask_b32 v6, v0, v7
	s_delay_alu instid0(VALU_DEP_1) | instskip(SKIP_1) | instid1(VALU_DEP_3)
	v_max3_num_f32 v1, v1, |v5|, |v4|
	v_cmp_gt_i32_e32 vcc_lo, 32, v8
	v_lshlrev_b32_e32 v6, 2, v6
	ds_bpermute_b32 v7, v6, v1
	s_wait_dscnt 0x0
	s_wait_alu 0xfffd
	v_dual_max_num_f32 v7, v7, v7 :: v_dual_cndmask_b32 v8, v0, v8
	v_cmp_gt_i32_e32 vcc_lo, 32, v9
	s_delay_alu instid0(VALU_DEP_2)
	v_dual_max_num_f32 v1, v1, v7 :: v_dual_lshlrev_b32 v8, 2, v8
	ds_bpermute_b32 v7, v8, v1
	s_wait_dscnt 0x0
	s_wait_alu 0xfffd
	v_dual_max_num_f32 v7, v7, v7 :: v_dual_cndmask_b32 v0, v0, v9
	v_add_f32_e32 v9, v3, v2
	s_delay_alu instid0(VALU_DEP_2) | instskip(NEXT) | instid1(VALU_DEP_2)
	v_dual_max_num_f32 v1, v1, v7 :: v_dual_lshlrev_b32 v0, 2, v0
	v_add_f32_e32 v9, v9, v5
	ds_bpermute_b32 v7, v0, v1
	v_add_f32_e32 v9, v9, v4
	ds_bpermute_b32 v6, v6, v9
	s_wait_dscnt 0x1
	v_max_num_f32_e32 v7, v7, v7
	s_delay_alu instid0(VALU_DEP_1) | instskip(SKIP_2) | instid1(VALU_DEP_2)
	v_max_num_f32_e32 v7, v1, v7
	s_wait_dscnt 0x0
	v_add_f32_e32 v1, v9, v6
	v_div_scale_f32 v10, null, 0x42fe0000, 0x42fe0000, v7
	v_div_scale_f32 v9, vcc_lo, v7, 0x42fe0000, v7
	ds_bpermute_b32 v8, v8, v1
	v_rcp_f32_e32 v11, v10
	s_delay_alu instid0(TRANS32_DEP_1) | instskip(NEXT) | instid1(VALU_DEP_1)
	v_fma_f32 v6, -v10, v11, 1.0
	v_fmac_f32_e32 v11, v6, v11
	s_wait_dscnt 0x0
	v_add_f32_e32 v1, v1, v8
	s_delay_alu instid0(VALU_DEP_2) | instskip(NEXT) | instid1(VALU_DEP_1)
	v_mul_f32_e32 v12, v9, v11
	v_fma_f32 v6, -v10, v12, v9
	s_delay_alu instid0(VALU_DEP_1) | instskip(SKIP_3) | instid1(VALU_DEP_1)
	v_fmac_f32_e32 v12, v6, v11
	ds_bpermute_b32 v6, v0, v1
	v_fma_f32 v0, -v10, v12, v9
	s_wait_alu 0xfffd
	v_div_fmas_f32 v0, v0, v11, v12
	s_delay_alu instid0(VALU_DEP_1) | instskip(SKIP_1) | instid1(VALU_DEP_2)
	v_div_fixup_f32 v0, v0, 0x42fe0000, v7
	v_mov_b32_e32 v7, 0
	v_cmpx_neq_f32_e32 0, v0
	s_cbranch_execz .LBB0_13
; %bb.12:
	v_div_scale_f32 v7, null, v0, v0, v3
	v_div_scale_f32 v8, null, v0, v0, v2
	;; [unrolled: 1-line block ×3, first 2 shown]
	s_delay_alu instid0(VALU_DEP_3) | instskip(NEXT) | instid1(VALU_DEP_2)
	v_rcp_f32_e32 v9, v7
	v_rcp_f32_e32 v12, v8
	v_div_scale_f32 v20, vcc_lo, v3, v0, v3
	s_delay_alu instid0(VALU_DEP_2) | instskip(SKIP_1) | instid1(VALU_DEP_1)
	v_rcp_f32_e32 v17, v11
	v_div_scale_f32 v10, null, v0, v0, v5
	v_rcp_f32_e32 v13, v10
	v_fma_f32 v18, -v7, v9, 1.0
	s_delay_alu instid0(TRANS32_DEP_3) | instskip(NEXT) | instid1(TRANS32_DEP_2)
	v_fma_f32 v19, -v8, v12, 1.0
	v_fma_f32 v22, -v11, v17, 1.0
	s_delay_alu instid0(VALU_DEP_2) | instskip(SKIP_1) | instid1(VALU_DEP_3)
	v_dual_fmac_f32 v9, v18, v9 :: v_dual_fmac_f32 v12, v19, v12
	v_div_scale_f32 v18, s3, v2, v0, v2
	v_fmac_f32_e32 v17, v22, v17
	s_delay_alu instid0(VALU_DEP_3) | instskip(NEXT) | instid1(TRANS32_DEP_1)
	v_mul_f32_e32 v22, v20, v9
	v_fma_f32 v21, -v10, v13, 1.0
	s_delay_alu instid0(VALU_DEP_4) | instskip(SKIP_1) | instid1(VALU_DEP_4)
	v_mul_f32_e32 v23, v18, v12
	v_div_scale_f32 v19, s4, v5, v0, v5
	v_fma_f32 v26, -v7, v22, v20
	s_delay_alu instid0(VALU_DEP_3) | instskip(NEXT) | instid1(VALU_DEP_1)
	v_fma_f32 v27, -v8, v23, v18
	v_dual_fmac_f32 v22, v26, v9 :: v_dual_fmac_f32 v23, v27, v12
	s_delay_alu instid0(VALU_DEP_1) | instskip(NEXT) | instid1(VALU_DEP_2)
	v_fma_f32 v7, -v7, v22, v20
	v_fma_f32 v8, -v8, v23, v18
	s_wait_alu 0xfffd
	s_delay_alu instid0(VALU_DEP_2)
	v_div_fmas_f32 v7, v7, v9, v22
	s_mov_b32 vcc_lo, s3
	s_wait_alu 0xfffe
	v_div_fmas_f32 v8, v8, v12, v23
	s_mov_b32 vcc_lo, s4
	v_div_fixup_f32 v3, v7, v0, v3
	s_delay_alu instid0(VALU_DEP_2) | instskip(NEXT) | instid1(VALU_DEP_2)
	v_div_fixup_f32 v2, v8, v0, v2
	v_trunc_f32_e32 v12, v3
	v_fmac_f32_e32 v13, v21, v13
	v_div_scale_f32 v21, s5, v4, v0, v4
	s_delay_alu instid0(VALU_DEP_2) | instskip(NEXT) | instid1(VALU_DEP_2)
	v_mul_f32_e32 v24, v19, v13
	v_mul_f32_e32 v25, v21, v17
	s_delay_alu instid0(VALU_DEP_2) | instskip(NEXT) | instid1(VALU_DEP_2)
	v_fma_f32 v28, -v10, v24, v19
	v_fma_f32 v29, -v11, v25, v21
	s_delay_alu instid0(VALU_DEP_2) | instskip(NEXT) | instid1(VALU_DEP_2)
	v_fmac_f32_e32 v24, v28, v13
	v_fmac_f32_e32 v25, v29, v17
	s_delay_alu instid0(VALU_DEP_2) | instskip(SKIP_1) | instid1(VALU_DEP_1)
	v_fma_f32 v10, -v10, v24, v19
	s_wait_alu 0xfffe
	v_div_fmas_f32 v9, v10, v13, v24
	s_delay_alu instid0(VALU_DEP_3) | instskip(SKIP_1) | instid1(VALU_DEP_2)
	v_fma_f32 v10, -v11, v25, v21
	s_mov_b32 vcc_lo, s5
	v_div_fixup_f32 v5, v9, v0, v5
	s_wait_alu 0xfffe
	s_delay_alu instid0(VALU_DEP_2) | instskip(NEXT) | instid1(VALU_DEP_2)
	v_div_fmas_f32 v9, v10, v17, v25
	v_trunc_f32_e32 v8, v5
	s_delay_alu instid0(VALU_DEP_2) | instskip(SKIP_1) | instid1(VALU_DEP_3)
	v_div_fixup_f32 v4, v9, v0, v4
	v_trunc_f32_e32 v9, v2
	v_sub_f32_e32 v10, v5, v8
	s_delay_alu instid0(VALU_DEP_3) | instskip(NEXT) | instid1(VALU_DEP_3)
	v_trunc_f32_e32 v7, v4
	v_sub_f32_e32 v11, v2, v9
	s_delay_alu instid0(VALU_DEP_3) | instskip(NEXT) | instid1(VALU_DEP_3)
	v_cmp_ge_f32_e64 s3, |v10|, 0.5
	v_sub_f32_e32 v13, v4, v7
	s_wait_alu 0xf1ff
	s_delay_alu instid0(VALU_DEP_2) | instskip(SKIP_1) | instid1(VALU_DEP_2)
	v_cndmask_b32_e64 v10, 0, 1.0, s3
	v_cmp_ge_f32_e64 s3, |v11|, 0.5
	v_bfi_b32 v5, 0x7fffffff, v10, v5
	s_wait_alu 0xf1ff
	s_delay_alu instid0(VALU_DEP_2) | instskip(SKIP_2) | instid1(VALU_DEP_3)
	v_cndmask_b32_e64 v11, 0, 1.0, s3
	v_sub_f32_e32 v10, v3, v12
	v_cmp_ge_f32_e64 s3, |v13|, 0.5
	v_bfi_b32 v2, 0x7fffffff, v11, v2
	s_wait_alu 0xf1ff
	s_delay_alu instid0(VALU_DEP_2) | instskip(SKIP_1) | instid1(VALU_DEP_3)
	v_cndmask_b32_e64 v13, 0, 1.0, s3
	v_cmp_ge_f32_e64 s3, |v10|, 0.5
	v_add_f32_e32 v2, v9, v2
	s_delay_alu instid0(VALU_DEP_3) | instskip(NEXT) | instid1(VALU_DEP_2)
	v_bfi_b32 v4, 0x7fffffff, v13, v4
	v_cvt_i32_f32_e32 v2, v2
	s_delay_alu instid0(VALU_DEP_2) | instskip(NEXT) | instid1(VALU_DEP_2)
	v_add_f32_e32 v4, v7, v4
	v_dual_add_f32 v5, v8, v5 :: v_dual_and_b32 v2, 0xff, v2
	s_wait_alu 0xf1ff
	v_cndmask_b32_e64 v8, 0, 1.0, s3
	s_delay_alu instid0(VALU_DEP_3) | instskip(NEXT) | instid1(VALU_DEP_3)
	v_cvt_i32_f32_e32 v4, v4
	v_lshlrev_b32_e32 v2, 8, v2
	v_cvt_i32_f32_e32 v5, v5
	s_delay_alu instid0(VALU_DEP_4) | instskip(NEXT) | instid1(VALU_DEP_2)
	v_bfi_b32 v3, 0x7fffffff, v8, v3
	v_and_b32_e32 v5, 0xff, v5
	s_delay_alu instid0(VALU_DEP_2) | instskip(NEXT) | instid1(VALU_DEP_2)
	v_add_f32_e32 v3, v12, v3
	v_lshlrev_b32_e32 v5, 16, v5
	s_delay_alu instid0(VALU_DEP_2) | instskip(NEXT) | instid1(VALU_DEP_2)
	v_cvt_i32_f32_e32 v3, v3
	v_lshl_or_b32 v4, v4, 24, v5
	s_delay_alu instid0(VALU_DEP_2) | instskip(NEXT) | instid1(VALU_DEP_1)
	v_and_b32_e32 v3, 0xff, v3
	v_or3_b32 v7, v4, v2, v3
.LBB0_13:
	s_wait_alu 0xfffe
	s_or_b32 exec_lo, exec_lo, s20
	v_and_b32_e32 v2, 0x77, v15
	v_lshlrev_b32_e32 v3, 2, v15
	s_delay_alu instid0(VALU_DEP_2)
	v_cmp_eq_u32_e32 vcc_lo, 0, v2
	ds_store_b32 v3, v7
	s_and_b32 exec_lo, exec_lo, vcc_lo
	s_cbranch_execz .LBB0_15
; %bb.14:
	s_wait_dscnt 0x1
	v_add_f32_e32 v1, v1, v6
	ds_store_b64 v15, v[0:1] offset:64
.LBB0_15:
	s_or_b32 exec_lo, exec_lo, s21
	v_and_b32_e32 v13, 1, v15
	s_wait_dscnt 0x0
	s_barrier_signal -1
	s_barrier_wait -1
	global_inv scope:SCOPE_SE
	v_dual_mov_b32 v21, 0 :: v_dual_lshlrev_b32 v12, 2, v13
	s_ashr_i32 s29, s28, 31
	s_ashr_i32 s3, s27, 31
	;; [unrolled: 1-line block ×3, first 2 shown]
	ds_load_2addr_b32 v[4:5], v12 offset1:2
	ds_load_2addr_b32 v[6:7], v12 offset0:4 offset1:6
	ds_load_2addr_b32 v[8:9], v12 offset0:8 offset1:10
	;; [unrolled: 1-line block ×3, first 2 shown]
	ds_load_b128 v[0:3], v21 offset:64
	s_mul_u64 s[42:43], s[38:39], s[42:43]
	s_mul_u64 s[40:41], s[36:37], s[40:41]
	s_cmp_eq_u64 s[14:15], 0
	s_wait_loadcnt_dscnt 0x0
	s_barrier_signal -1
	s_barrier_wait -1
	global_inv scope:SCOPE_SE
	s_cbranch_scc1 .LBB0_17
; %bb.16:
	s_load_b32 s4, s[0:1], 0xd0
	s_mov_b32 s5, 0
	s_wait_kmcnt 0x0
	s_mul_i32 s4, s4, s26
	s_wait_alu 0xfffe
	s_add_co_i32 s4, s4, ttmp9
	s_wait_alu 0xfffe
	s_lshl_b64 s[4:5], s[4:5], 2
	s_wait_alu 0xfffe
	s_add_nc_u64 s[4:5], s[14:15], s[4:5]
	s_load_b32 s30, s[4:5], 0x0
.LBB0_17:
	v_lshlrev_b32_e32 v29, 5, v14
	s_and_b32 s31, ttmp7, 0xffff
	v_mbcnt_lo_u32_b32 v20, -1, 0
	v_lshlrev_b32_e32 v19, 2, v15
	s_lshl_b32 s33, s31, 7
	v_add_nc_u32_e32 v17, v29, v15
	s_wait_kmcnt 0x0
	s_cmp_ge_i32 s33, s30
	s_mov_b32 s15, 0
	s_delay_alu instid0(VALU_DEP_1)
	v_lshlrev_b32_e32 v18, 1, v17
	s_cbranch_scc1 .LBB0_25
; %bb.18:
	s_clause 0x1
	s_load_b64 s[4:5], s[0:1], 0x8c
	s_load_b128 s[20:23], s[0:1], 0x98
	s_mul_i32 s14, s43, s44
	s_xor_b32 s3, s29, s3
	s_sub_co_i32 s14, s38, s14
	s_add_co_i32 s37, s43, 1
	s_sub_co_i32 s38, s14, s44
	s_cmp_ge_u32 s14, s44
	v_and_b32_e32 v22, 30, v20
	s_cselect_b32 s37, s37, s43
	s_cselect_b32 s14, s38, s14
	s_add_co_i32 s38, s37, 1
	s_cmp_ge_u32 s14, s44
	v_xor_b32_e32 v23, 1, v20
	s_cselect_b32 s14, s38, s37
	s_mul_i32 s37, s41, s34
	s_wait_alu 0xfffe
	s_xor_b32 s14, s14, s3
	s_sub_co_i32 s40, s36, s37
	s_sub_co_i32 s3, s14, s3
	;; [unrolled: 1-line block ×3, first 2 shown]
	s_wait_kmcnt 0x0
	s_wait_alu 0xfffe
	s_mul_i32 s38, s3, s5
	s_mul_i32 s36, s3, s23
	s_ashr_i32 s39, s38, 31
	s_ashr_i32 s37, s36, 31
	s_cmp_ge_u32 s40, s34
	v_lshrrev_b32_e32 v30, 4, v15
	s_cselect_b32 s3, s14, s40
	v_xor_b32_e32 v24, 4, v20
	s_wait_alu 0xfffe
	s_sub_co_i32 s5, s3, s34
	s_cmp_ge_u32 s3, s34
	v_add_nc_u32_e32 v96, v29, v30
	s_wait_alu 0xfffe
	s_cselect_b32 s3, s5, s3
	v_xor_b32_e32 v25, 8, v20
	s_wait_alu 0xfffe
	s_xor_b32 s3, s3, s27
	v_xor_b32_e32 v26, 16, v20
	s_wait_alu 0xfffe
	s_sub_co_i32 s44, s3, s27
	v_cmp_eq_u32_e64 s3, 0, v13
	v_xor_b32_e32 v13, 2, v20
	v_add_nc_u32_e32 v22, 2, v22
	s_load_b64 s[42:43], s[0:1], 0xc8
	s_mul_i32 s40, s35, ttmp9
	s_clause 0x1
	s_load_b64 s[34:35], s[0:1], 0xa8
	s_load_b32 s5, s[0:1], 0xd4
	s_ashr_i32 s45, s44, 31
	v_cmp_lt_i32_e32 vcc_lo, v23, v22
	s_ashr_i32 s41, s40, 31
	s_mul_u64 s[20:21], s[20:21], s[26:27]
	s_cmp_lg_u64 s[10:11], 0
	v_or_b32_e32 v34, v29, v30
	s_wait_alu 0xfffd
	v_cndmask_b32_e32 v22, v20, v23, vcc_lo
	v_cmp_gt_i32_e32 vcc_lo, 32, v13
	s_add_nc_u64 s[46:47], s[6:7], s[38:39]
	v_bfe_u32 v38, v15, 3, 1
	s_add_nc_u64 s[10:11], s[10:11], s[40:41]
	v_dual_mov_b32 v106, 0 :: v_dual_and_b32 v39, 12, v19
	s_wait_alu 0xfffd
	v_cndmask_b32_e32 v13, v20, v13, vcc_lo
	v_cmp_gt_i32_e32 vcc_lo, 32, v24
	v_add_nc_u32_e32 v42, 28, v96
	v_add_nc_u32_e32 v46, 26, v96
	s_wait_kmcnt 0x0
	s_mul_u64 s[44:45], s[42:43], s[44:45]
	s_cselect_b32 s43, -1, 0
	s_wait_alu 0xfffd
	v_dual_cndmask_b32 v27, v20, v24 :: v_dual_lshlrev_b32 v24, 2, v13
	v_cmp_gt_i32_e32 vcc_lo, 32, v25
	v_and_b32_e32 v21, 0x7e, v15
	s_lshl_b32 s14, s5, 7
	s_wait_alu 0xfffe
	v_add_co_u32 v12, s5, s20, v12
	s_wait_alu 0xfffd
	v_cndmask_b32_e32 v28, v20, v25, vcc_lo
	v_cmp_gt_i32_e32 vcc_lo, 32, v26
	v_add_nc_u32_e32 v36, v29, v21
	s_wait_alu 0xf1ff
	v_add_co_ci_u32_e64 v13, null, s21, 0, s5
	v_mov_b32_e32 v105, 0
	s_wait_alu 0xfffd
	v_cndmask_b32_e32 v31, v20, v26, vcc_lo
	v_mul_lo_u32 v37, v36, s4
	v_lshlrev_b32_e32 v25, 2, v27
	v_lshlrev_b32_e32 v36, 1, v36
	;; [unrolled: 1-line block ×5, first 2 shown]
	v_mul_lo_u32 v44, s22, v42
	v_mul_lo_u32 v48, s22, v46
	v_add_nc_u32_e32 v32, s4, v37
	v_ashrrev_i32_e32 v40, 31, v37
	v_add_nc_u32_e32 v50, 24, v96
	v_add_nc_u32_e32 v54, 22, v96
	;; [unrolled: 1-line block ×3, first 2 shown]
	v_ashrrev_i32_e32 v33, 31, v32
	v_add_co_u32 v30, vcc_lo, v12, v32
	v_ashrrev_i32_e32 v45, 31, v44
	v_ashrrev_i32_e32 v49, 31, v48
	s_wait_alu 0xfffd
	v_add_co_ci_u32_e64 v31, null, v13, v33, vcc_lo
	v_add_co_u32 v30, vcc_lo, s46, v30
	v_mul_lo_u32 v52, s22, v50
	s_wait_alu 0xfffd
	s_delay_alu instid0(VALU_DEP_3)
	v_add_co_ci_u32_e64 v31, null, s47, v31, vcc_lo
	v_add_co_u32 v12, vcc_lo, v12, s38
	s_add_nc_u64 s[46:47], s[46:47], s[20:21]
	s_wait_alu 0xfffd
	v_add_co_ci_u32_e64 v13, null, s39, v13, vcc_lo
	s_wait_alu 0xfffe
	v_add_co_u32 v32, vcc_lo, s46, v32
	s_wait_alu 0xfffd
	v_add_co_ci_u32_e64 v33, null, s47, v33, vcc_lo
	v_add_co_u32 v12, vcc_lo, v12, v37
	s_lshl_b32 s46, s33, 1
	s_mov_b32 s47, s15
	s_wait_alu 0xfffd
	v_add_co_ci_u32_e64 v13, null, v13, v40, vcc_lo
	s_wait_alu 0xfffe
	s_add_nc_u64 s[44:45], s[44:45], s[46:47]
	v_add_co_u32 v34, vcc_lo, s6, v12
	s_add_nc_u64 s[10:11], s[10:11], s[44:45]
	s_wait_alu 0xfffd
	v_add_co_ci_u32_e64 v35, null, s7, v13, vcc_lo
	v_mul_hi_u32_u24_e32 v13, 18, v38
	v_mul_u32_u24_e32 v12, 18, v38
	v_add_co_u32 v36, s5, s10, v36
	s_wait_alu 0xf1ff
	v_add_co_ci_u32_e64 v38, null, s11, 0, s5
	s_delay_alu instid0(VALU_DEP_3) | instskip(NEXT) | instid1(VALU_DEP_3)
	v_mad_co_u64_u32 v[98:99], null, s34, s26, v[12:13]
	v_add_co_u32 v12, vcc_lo, v36, 2
	v_add_nc_u32_e32 v36, 30, v96
	s_add_nc_u64 s[10:11], s[20:21], s[38:39]
	s_mul_i32 s5, s35, s26
	s_mul_i32 s20, s34, s27
	s_wait_alu 0xfffe
	s_add_nc_u64 s[6:7], s[6:7], s[10:11]
	v_mul_lo_u32 v41, s22, v36
	v_add3_u32 v99, s20, s5, v99
	s_wait_alu 0xfffd
	v_add_co_ci_u32_e64 v13, null, 0, v38, vcc_lo
	s_wait_alu 0xfffe
	v_add_co_u32 v36, vcc_lo, s6, v37
	s_wait_alu 0xfffd
	v_add_co_ci_u32_e64 v37, null, s7, v40, vcc_lo
	v_add_co_u32 v97, vcc_lo, v98, v39
	s_wait_alu 0xfffd
	v_add_co_ci_u32_e64 v100, null, 0, v99, vcc_lo
	v_ashrrev_i32_e32 v40, 31, v41
	v_add_co_u32 v36, vcc_lo, v36, 20
	s_wait_alu 0xfffd
	v_add_co_ci_u32_e64 v37, null, 0, v37, vcc_lo
	v_add_co_u32 v38, vcc_lo, v97, v41
	s_wait_alu 0xfffd
	v_add_co_ci_u32_e64 v39, null, v100, v40, vcc_lo
	s_add_nc_u64 s[6:7], s[8:9], s[36:37]
	v_ashrrev_i32_e32 v53, 31, v52
	s_wait_alu 0xfffe
	v_add_co_u32 v38, vcc_lo, s6, v38
	s_wait_alu 0xfffd
	v_add_co_ci_u32_e64 v39, null, s7, v39, vcc_lo
	v_mul_lo_u32 v56, s22, v54
	s_delay_alu instid0(VALU_DEP_3) | instskip(SKIP_1) | instid1(VALU_DEP_3)
	v_add_co_u32 v38, vcc_lo, v38, 2
	s_wait_alu 0xfffd
	v_add_co_ci_u32_e64 v39, null, 0, v39, vcc_lo
	v_add_co_u32 v41, vcc_lo, v98, v41
	s_wait_alu 0xfffd
	v_add_co_ci_u32_e64 v42, null, v99, v40, vcc_lo
	v_ashrrev_i32_e32 v57, 31, v56
	s_delay_alu instid0(VALU_DEP_3) | instskip(SKIP_1) | instid1(VALU_DEP_3)
	v_add_co_u32 v40, vcc_lo, s6, v41
	s_wait_alu 0xfffd
	v_add_co_ci_u32_e64 v41, null, s7, v42, vcc_lo
	v_add_co_u32 v42, vcc_lo, v97, v44
	s_wait_alu 0xfffd
	v_add_co_ci_u32_e64 v43, null, v100, v45, vcc_lo
	v_mul_lo_u32 v60, s22, v58
	s_delay_alu instid0(VALU_DEP_3) | instskip(SKIP_1) | instid1(VALU_DEP_3)
	v_add_co_u32 v42, vcc_lo, s6, v42
	s_wait_alu 0xfffd
	v_add_co_ci_u32_e64 v43, null, s7, v43, vcc_lo
	v_add_nc_u32_e32 v62, 18, v96
	s_delay_alu instid0(VALU_DEP_3) | instskip(SKIP_1) | instid1(VALU_DEP_3)
	v_add_co_u32 v42, vcc_lo, v42, 2
	s_wait_alu 0xfffd
	v_add_co_ci_u32_e64 v43, null, 0, v43, vcc_lo
	v_add_co_u32 v44, vcc_lo, v98, v44
	s_wait_alu 0xfffd
	v_add_co_ci_u32_e64 v45, null, v99, v45, vcc_lo
	v_ashrrev_i32_e32 v61, 31, v60
	s_delay_alu instid0(VALU_DEP_3) | instskip(SKIP_1) | instid1(VALU_DEP_3)
	v_add_co_u32 v44, vcc_lo, s6, v44
	s_wait_alu 0xfffd
	v_add_co_ci_u32_e64 v45, null, s7, v45, vcc_lo
	v_add_co_u32 v46, vcc_lo, v97, v48
	s_wait_alu 0xfffd
	v_add_co_ci_u32_e64 v47, null, v100, v49, vcc_lo
	v_mul_lo_u32 v64, s22, v62
	s_delay_alu instid0(VALU_DEP_3) | instskip(SKIP_1) | instid1(VALU_DEP_3)
	v_add_co_u32 v46, vcc_lo, s6, v46
	s_wait_alu 0xfffd
	v_add_co_ci_u32_e64 v47, null, s7, v47, vcc_lo
	v_add_nc_u32_e32 v66, 16, v96
	s_delay_alu instid0(VALU_DEP_3) | instskip(SKIP_1) | instid1(VALU_DEP_3)
	v_add_co_u32 v46, vcc_lo, v46, 2
	s_wait_alu 0xfffd
	v_add_co_ci_u32_e64 v47, null, 0, v47, vcc_lo
	v_add_co_u32 v48, vcc_lo, v98, v48
	s_wait_alu 0xfffd
	v_add_co_ci_u32_e64 v49, null, v99, v49, vcc_lo
	v_ashrrev_i32_e32 v65, 31, v64
	s_delay_alu instid0(VALU_DEP_3) | instskip(SKIP_1) | instid1(VALU_DEP_3)
	v_add_co_u32 v48, vcc_lo, s6, v48
	s_wait_alu 0xfffd
	v_add_co_ci_u32_e64 v49, null, s7, v49, vcc_lo
	v_add_co_u32 v50, vcc_lo, v97, v52
	s_wait_alu 0xfffd
	v_add_co_ci_u32_e64 v51, null, v100, v53, vcc_lo
	v_mul_lo_u32 v68, s22, v66
	s_delay_alu instid0(VALU_DEP_3) | instskip(SKIP_1) | instid1(VALU_DEP_3)
	v_add_co_u32 v50, vcc_lo, s6, v50
	s_wait_alu 0xfffd
	v_add_co_ci_u32_e64 v51, null, s7, v51, vcc_lo
	v_add_nc_u32_e32 v70, 14, v96
	s_delay_alu instid0(VALU_DEP_3) | instskip(SKIP_1) | instid1(VALU_DEP_3)
	v_add_co_u32 v50, vcc_lo, v50, 2
	s_wait_alu 0xfffd
	v_add_co_ci_u32_e64 v51, null, 0, v51, vcc_lo
	v_add_co_u32 v52, vcc_lo, v98, v52
	s_wait_alu 0xfffd
	v_add_co_ci_u32_e64 v53, null, v99, v53, vcc_lo
	v_ashrrev_i32_e32 v69, 31, v68
	s_delay_alu instid0(VALU_DEP_3) | instskip(SKIP_1) | instid1(VALU_DEP_3)
	v_add_co_u32 v52, vcc_lo, s6, v52
	s_wait_alu 0xfffd
	v_add_co_ci_u32_e64 v53, null, s7, v53, vcc_lo
	v_add_co_u32 v54, vcc_lo, v97, v56
	s_wait_alu 0xfffd
	v_add_co_ci_u32_e64 v55, null, v100, v57, vcc_lo
	v_mul_lo_u32 v72, s22, v70
	s_delay_alu instid0(VALU_DEP_3) | instskip(SKIP_1) | instid1(VALU_DEP_3)
	v_add_co_u32 v54, vcc_lo, s6, v54
	s_wait_alu 0xfffd
	v_add_co_ci_u32_e64 v55, null, s7, v55, vcc_lo
	v_add_nc_u32_e32 v74, 12, v96
	s_delay_alu instid0(VALU_DEP_3) | instskip(SKIP_1) | instid1(VALU_DEP_3)
	v_add_co_u32 v54, vcc_lo, v54, 2
	s_wait_alu 0xfffd
	v_add_co_ci_u32_e64 v55, null, 0, v55, vcc_lo
	v_add_co_u32 v56, vcc_lo, v98, v56
	s_wait_alu 0xfffd
	v_add_co_ci_u32_e64 v57, null, v99, v57, vcc_lo
	v_ashrrev_i32_e32 v73, 31, v72
	s_delay_alu instid0(VALU_DEP_3) | instskip(SKIP_1) | instid1(VALU_DEP_3)
	v_add_co_u32 v56, vcc_lo, s6, v56
	s_wait_alu 0xfffd
	v_add_co_ci_u32_e64 v57, null, s7, v57, vcc_lo
	v_add_co_u32 v58, vcc_lo, v97, v60
	s_wait_alu 0xfffd
	v_add_co_ci_u32_e64 v59, null, v100, v61, vcc_lo
	v_mul_lo_u32 v76, s22, v74
	s_delay_alu instid0(VALU_DEP_3) | instskip(SKIP_1) | instid1(VALU_DEP_3)
	v_add_co_u32 v58, vcc_lo, s6, v58
	s_wait_alu 0xfffd
	v_add_co_ci_u32_e64 v59, null, s7, v59, vcc_lo
	v_add_nc_u32_e32 v78, 10, v96
	s_delay_alu instid0(VALU_DEP_3) | instskip(SKIP_1) | instid1(VALU_DEP_3)
	v_add_co_u32 v58, vcc_lo, v58, 2
	s_wait_alu 0xfffd
	v_add_co_ci_u32_e64 v59, null, 0, v59, vcc_lo
	v_add_co_u32 v60, vcc_lo, v98, v60
	s_wait_alu 0xfffd
	v_add_co_ci_u32_e64 v61, null, v99, v61, vcc_lo
	v_ashrrev_i32_e32 v77, 31, v76
	s_delay_alu instid0(VALU_DEP_3) | instskip(SKIP_1) | instid1(VALU_DEP_3)
	v_add_co_u32 v60, vcc_lo, s6, v60
	s_wait_alu 0xfffd
	v_add_co_ci_u32_e64 v61, null, s7, v61, vcc_lo
	v_add_co_u32 v62, vcc_lo, v97, v64
	s_wait_alu 0xfffd
	v_add_co_ci_u32_e64 v63, null, v100, v65, vcc_lo
	v_mul_lo_u32 v80, s22, v78
	s_delay_alu instid0(VALU_DEP_3) | instskip(SKIP_1) | instid1(VALU_DEP_3)
	v_add_co_u32 v62, vcc_lo, s6, v62
	s_wait_alu 0xfffd
	v_add_co_ci_u32_e64 v63, null, s7, v63, vcc_lo
	v_add_nc_u32_e32 v82, 8, v96
	s_delay_alu instid0(VALU_DEP_3) | instskip(SKIP_1) | instid1(VALU_DEP_3)
	v_add_co_u32 v62, vcc_lo, v62, 2
	s_wait_alu 0xfffd
	v_add_co_ci_u32_e64 v63, null, 0, v63, vcc_lo
	v_add_co_u32 v64, vcc_lo, v98, v64
	s_wait_alu 0xfffd
	v_add_co_ci_u32_e64 v65, null, v99, v65, vcc_lo
	v_ashrrev_i32_e32 v81, 31, v80
	s_delay_alu instid0(VALU_DEP_3) | instskip(SKIP_1) | instid1(VALU_DEP_3)
	v_add_co_u32 v64, vcc_lo, s6, v64
	s_wait_alu 0xfffd
	v_add_co_ci_u32_e64 v65, null, s7, v65, vcc_lo
	v_add_co_u32 v66, vcc_lo, v97, v68
	s_wait_alu 0xfffd
	v_add_co_ci_u32_e64 v67, null, v100, v69, vcc_lo
	v_mul_lo_u32 v84, s22, v82
	s_delay_alu instid0(VALU_DEP_3) | instskip(SKIP_1) | instid1(VALU_DEP_3)
	v_add_co_u32 v66, vcc_lo, s6, v66
	s_wait_alu 0xfffd
	v_add_co_ci_u32_e64 v67, null, s7, v67, vcc_lo
	v_add_nc_u32_e32 v86, 6, v96
	s_delay_alu instid0(VALU_DEP_3) | instskip(SKIP_1) | instid1(VALU_DEP_3)
	v_add_co_u32 v66, vcc_lo, v66, 2
	s_wait_alu 0xfffd
	v_add_co_ci_u32_e64 v67, null, 0, v67, vcc_lo
	v_add_co_u32 v68, vcc_lo, v98, v68
	s_wait_alu 0xfffd
	v_add_co_ci_u32_e64 v69, null, v99, v69, vcc_lo
	v_ashrrev_i32_e32 v85, 31, v84
	s_delay_alu instid0(VALU_DEP_3) | instskip(SKIP_1) | instid1(VALU_DEP_3)
	v_add_co_u32 v68, vcc_lo, s6, v68
	s_wait_alu 0xfffd
	v_add_co_ci_u32_e64 v69, null, s7, v69, vcc_lo
	v_add_co_u32 v70, vcc_lo, v97, v72
	s_wait_alu 0xfffd
	v_add_co_ci_u32_e64 v71, null, v100, v73, vcc_lo
	v_mul_lo_u32 v88, s22, v86
	s_delay_alu instid0(VALU_DEP_3) | instskip(SKIP_1) | instid1(VALU_DEP_3)
	v_add_co_u32 v70, vcc_lo, s6, v70
	s_wait_alu 0xfffd
	v_add_co_ci_u32_e64 v71, null, s7, v71, vcc_lo
	v_add_nc_u32_e32 v90, 4, v96
	s_delay_alu instid0(VALU_DEP_3) | instskip(SKIP_1) | instid1(VALU_DEP_3)
	v_add_co_u32 v70, vcc_lo, v70, 2
	s_wait_alu 0xfffd
	v_add_co_ci_u32_e64 v71, null, 0, v71, vcc_lo
	v_add_co_u32 v72, vcc_lo, v98, v72
	s_wait_alu 0xfffd
	v_add_co_ci_u32_e64 v73, null, v99, v73, vcc_lo
	v_ashrrev_i32_e32 v89, 31, v88
	s_delay_alu instid0(VALU_DEP_3) | instskip(SKIP_1) | instid1(VALU_DEP_3)
	v_add_co_u32 v72, vcc_lo, s6, v72
	s_wait_alu 0xfffd
	v_add_co_ci_u32_e64 v73, null, s7, v73, vcc_lo
	v_add_co_u32 v74, vcc_lo, v97, v76
	s_wait_alu 0xfffd
	v_add_co_ci_u32_e64 v75, null, v100, v77, vcc_lo
	v_mul_lo_u32 v92, s22, v90
	s_delay_alu instid0(VALU_DEP_3) | instskip(SKIP_1) | instid1(VALU_DEP_3)
	v_add_co_u32 v74, vcc_lo, s6, v74
	s_wait_alu 0xfffd
	v_add_co_ci_u32_e64 v75, null, s7, v75, vcc_lo
	v_add_nc_u32_e32 v90, 2, v96
	s_delay_alu instid0(VALU_DEP_3) | instskip(SKIP_1) | instid1(VALU_DEP_3)
	v_add_co_u32 v74, vcc_lo, v74, 2
	s_wait_alu 0xfffd
	v_add_co_ci_u32_e64 v75, null, 0, v75, vcc_lo
	v_add_co_u32 v76, vcc_lo, v98, v76
	s_wait_alu 0xfffd
	v_add_co_ci_u32_e64 v77, null, v99, v77, vcc_lo
	v_ashrrev_i32_e32 v93, 31, v92
	s_delay_alu instid0(VALU_DEP_3) | instskip(SKIP_1) | instid1(VALU_DEP_3)
	v_add_co_u32 v76, vcc_lo, s6, v76
	s_wait_alu 0xfffd
	v_add_co_ci_u32_e64 v77, null, s7, v77, vcc_lo
	v_add_co_u32 v78, vcc_lo, v97, v80
	s_wait_alu 0xfffd
	v_add_co_ci_u32_e64 v79, null, v100, v81, vcc_lo
	v_mul_lo_u32 v101, s22, v90
	s_delay_alu instid0(VALU_DEP_3) | instskip(SKIP_1) | instid1(VALU_DEP_3)
	v_add_co_u32 v78, vcc_lo, s6, v78
	s_wait_alu 0xfffd
	v_add_co_ci_u32_e64 v79, null, s7, v79, vcc_lo
	v_mul_lo_u32 v103, s22, v96
	s_delay_alu instid0(VALU_DEP_3) | instskip(SKIP_1) | instid1(VALU_DEP_3)
	v_add_co_u32 v78, vcc_lo, v78, 2
	s_wait_alu 0xfffd
	v_add_co_ci_u32_e64 v79, null, 0, v79, vcc_lo
	v_add_co_u32 v80, vcc_lo, v98, v80
	s_wait_alu 0xfffd
	v_add_co_ci_u32_e64 v81, null, v99, v81, vcc_lo
	v_ashrrev_i32_e32 v102, 31, v101
	s_delay_alu instid0(VALU_DEP_3) | instskip(SKIP_1) | instid1(VALU_DEP_3)
	v_add_co_u32 v80, vcc_lo, s6, v80
	s_wait_alu 0xfffd
	v_add_co_ci_u32_e64 v81, null, s7, v81, vcc_lo
	v_add_co_u32 v82, vcc_lo, v97, v84
	s_wait_alu 0xfffd
	v_add_co_ci_u32_e64 v83, null, v100, v85, vcc_lo
	v_lshlrev_b32_e32 v29, 1, v96
	s_delay_alu instid0(VALU_DEP_3) | instskip(SKIP_1) | instid1(VALU_DEP_3)
	v_add_co_u32 v82, vcc_lo, s6, v82
	s_wait_alu 0xfffd
	v_add_co_ci_u32_e64 v83, null, s7, v83, vcc_lo
	v_ashrrev_i32_e32 v104, 31, v103
	s_delay_alu instid0(VALU_DEP_3) | instskip(SKIP_1) | instid1(VALU_DEP_3)
	v_add_co_u32 v82, vcc_lo, v82, 2
	s_wait_alu 0xfffd
	v_add_co_ci_u32_e64 v83, null, 0, v83, vcc_lo
	v_add_co_u32 v84, vcc_lo, v98, v84
	s_wait_alu 0xfffd
	v_add_co_ci_u32_e64 v85, null, v99, v85, vcc_lo
	v_mov_b32_e32 v21, 0
	s_delay_alu instid0(VALU_DEP_3) | instskip(SKIP_1) | instid1(VALU_DEP_3)
	v_add_co_u32 v84, vcc_lo, s6, v84
	s_wait_alu 0xfffd
	v_add_co_ci_u32_e64 v85, null, s7, v85, vcc_lo
	v_add_co_u32 v86, vcc_lo, v97, v88
	s_wait_alu 0xfffd
	v_add_co_ci_u32_e64 v87, null, v100, v89, vcc_lo
	v_lshlrev_b32_e32 v22, 2, v22
	s_delay_alu instid0(VALU_DEP_3) | instskip(SKIP_1) | instid1(VALU_DEP_3)
	v_add_co_u32 v86, vcc_lo, s6, v86
	s_wait_alu 0xfffd
	v_add_co_ci_u32_e64 v87, null, s7, v87, vcc_lo
	v_and_b32_e32 v23, 4, v15
	s_delay_alu instid0(VALU_DEP_3) | instskip(SKIP_1) | instid1(VALU_DEP_3)
	v_add_co_u32 v86, vcc_lo, v86, 2
	s_wait_alu 0xfffd
	v_add_co_ci_u32_e64 v87, null, 0, v87, vcc_lo
	v_add_co_u32 v88, vcc_lo, v98, v88
	s_wait_alu 0xfffd
	v_add_co_ci_u32_e64 v89, null, v99, v89, vcc_lo
	;; [unrolled: 3-line block ×5, first 2 shown]
	s_mul_i32 s23, s22, s33
	v_add_co_u32 v90, vcc_lo, v90, 2
	s_wait_alu 0xfffd
	v_add_co_ci_u32_e64 v91, null, 0, v91, vcc_lo
	v_add_co_u32 v94, vcc_lo, v97, v101
	s_wait_alu 0xfffd
	v_add_co_ci_u32_e64 v95, null, v100, v102, vcc_lo
	;; [unrolled: 3-line block ×15, first 2 shown]
	v_mov_b32_e32 v103, 0xfeffffff
	s_mul_i32 s42, s4, s33
	s_mul_i32 s20, s14, s4
	;; [unrolled: 1-line block ×3, first 2 shown]
	s_lshl_b64 s[10:11], s[14:15], 1
.LBB0_19:                               ; =>This Inner Loop Header: Depth=1
	v_add_co_u32 v107, vcc_lo, v34, s42
	s_wait_alu 0xfffd
	v_add_co_ci_u32_e64 v108, null, 0, v35, vcc_lo
	v_add_co_u32 v109, vcc_lo, v36, s42
	s_wait_alu 0xfffd
	v_add_co_ci_u32_e64 v110, null, 0, v37, vcc_lo
	global_load_b32 v102, v[107:108], off offset:4
	global_load_b32 v104, v[109:110], off offset:-20
	s_clause 0x1
	global_load_b32 v111, v[107:108], off offset:12
	global_load_b32 v112, v[107:108], off offset:24
	global_load_b32 v109, v[109:110], off
	global_load_b32 v107, v[107:108], off offset:32
	s_and_b32 vcc_lo, exec_lo, s43
	s_wait_loadcnt 0x4
	v_cvt_f32_f16_e32 v110, v104
	v_lshrrev_b32_e32 v104, 16, v104
	s_wait_loadcnt 0x3
	v_and_b32_e32 v113, 0xf0f0f0f, v111
	s_wait_loadcnt 0x1
	v_cvt_f32_f16_e32 v115, v109
	v_and_b32_e32 v108, 0xf0f0f0f, v102
	v_lshrrev_b32_e32 v109, 16, v109
	v_cvt_f32_f16_e32 v104, v104
	v_lshrrev_b32_e32 v102, 4, v102
	v_lshrrev_b32_e32 v111, 4, v111
	v_mul_f32_e32 v115, v2, v115
	v_dot4_i32_iu8 v108, v108, v4, 0 neg_lo:[1,1,0]
	v_mul_f32_e32 v104, v1, v104
	v_cvt_f32_f16_e32 v109, v109
	v_and_b32_e32 v114, 0xf0f0f0f, v112
	v_mul_f32_e32 v110, v0, v110
	v_dot4_i32_iu8 v113, v113, v5, 0 neg_lo:[1,1,0]
	v_and_b32_e32 v102, 0xf0f0f0f, v102
	v_and_b32_e32 v111, 0xf0f0f0f, v111
	v_cvt_f32_i32_e32 v108, v108
	v_dual_mul_f32 v109, v3, v109 :: v_dual_mul_f32 v104, 0x3e000000, v104
	s_delay_alu instid0(VALU_DEP_4) | instskip(SKIP_2) | instid1(VALU_DEP_4)
	v_dot4_i32_iu8 v102, v102, v6, 0 neg_lo:[1,1,0]
	v_cvt_f32_i32_e32 v113, v113
	v_dot4_i32_iu8 v111, v111, v7, 0 neg_lo:[1,1,0]
	v_mul_f32_e32 v109, 0x3e000000, v109
	v_fma_f32 v108, v110, v108, v104
	s_wait_loadcnt 0x0
	v_and_b32_e32 v116, 0xf0f0f0f, v107
	v_lshrrev_b32_e32 v107, 4, v107
	v_cvt_f32_i32_e32 v102, v102
	v_fma_f32 v113, v110, v113, v104
	v_add_f32_e32 v108, 0, v108
	v_lshrrev_b32_e32 v112, 4, v112
	v_dot4_i32_iu8 v114, v114, v8, 0 neg_lo:[1,1,0]
	v_cvt_f32_i32_e32 v111, v111
	v_fma_f32 v102, v110, v102, v104
	v_dual_add_f32 v108, v108, v113 :: v_dual_and_b32 v107, 0xf0f0f0f, v107
	v_dot4_i32_iu8 v116, v116, v9, 0 neg_lo:[1,1,0]
	v_and_b32_e32 v112, 0xf0f0f0f, v112
	v_cvt_f32_i32_e32 v113, v114
	v_fmac_f32_e32 v104, v110, v111
	v_add_f32_e32 v102, v108, v102
	v_cvt_f32_i32_e32 v108, v116
	v_dot4_i32_iu8 v110, v112, v10, 0 neg_lo:[1,1,0]
	v_fma_f32 v111, v115, v113, v109
	s_delay_alu instid0(VALU_DEP_4) | instskip(SKIP_1) | instid1(VALU_DEP_4)
	v_add_f32_e32 v102, v102, v104
	v_dot4_i32_iu8 v104, v107, v11, 0 neg_lo:[1,1,0]
	v_cvt_f32_i32_e32 v107, v110
	v_fma_f32 v108, v115, v108, v109
	s_delay_alu instid0(VALU_DEP_4) | instskip(NEXT) | instid1(VALU_DEP_4)
	v_add_f32_e32 v102, v102, v111
	v_cvt_f32_i32_e32 v104, v104
	s_delay_alu instid0(VALU_DEP_4) | instskip(NEXT) | instid1(VALU_DEP_3)
	v_fma_f32 v107, v115, v107, v109
	v_add_f32_e32 v102, v102, v108
	s_delay_alu instid0(VALU_DEP_1) | instskip(NEXT) | instid1(VALU_DEP_1)
	v_dual_fmac_f32 v109, v115, v104 :: v_dual_add_f32 v102, v102, v107
	v_add_f32_e32 v102, v102, v109
	ds_bpermute_b32 v104, v22, v102
	s_wait_dscnt 0x0
	v_add_f32_e32 v102, v102, v104
	s_wait_alu 0xfffe
	s_cbranch_vccz .LBB0_21
; %bb.20:                               ;   in Loop: Header=BB0_19 Depth=1
	global_load_u16 v104, v[12:13], off offset:-2
	s_wait_loadcnt 0x0
	v_fma_mix_f32 v102, v16, v104, v102 op_sel_hi:[0,1,0]
.LBB0_21:                               ;   in Loop: Header=BB0_19 Depth=1
	v_add_co_u32 v107, vcc_lo, v30, s42
	s_wait_alu 0xfffd
	v_add_co_ci_u32_e64 v108, null, 0, v31, vcc_lo
	v_add_co_u32 v109, vcc_lo, v32, s42
	s_wait_alu 0xfffd
	v_add_co_ci_u32_e64 v110, null, 0, v33, vcc_lo
	global_load_b32 v104, v[107:108], off offset:4
	global_load_b32 v111, v[109:110], off
	s_clause 0x1
	global_load_b32 v112, v[107:108], off offset:12
	global_load_b32 v113, v[107:108], off offset:24
	;; [unrolled: 1-line block ×4, first 2 shown]
	s_and_not1_b32 vcc_lo, exec_lo, s43
	s_wait_loadcnt 0x4
	v_cvt_f32_f16_e32 v110, v111
	v_lshrrev_b32_e32 v111, 16, v111
	s_wait_loadcnt 0x2
	v_and_b32_e32 v115, 0xf0f0f0f, v113
	s_wait_loadcnt 0x1
	v_cvt_f32_f16_e32 v116, v109
	v_lshrrev_b32_e32 v109, 16, v109
	s_wait_loadcnt 0x0
	v_and_b32_e32 v117, 0xf0f0f0f, v107
	v_cvt_f32_f16_e32 v111, v111
	v_and_b32_e32 v108, 0xf0f0f0f, v104
	v_mul_f32_e32 v110, v0, v110
	v_cvt_f32_f16_e32 v109, v109
	s_delay_alu instid0(VALU_DEP_4) | instskip(NEXT) | instid1(VALU_DEP_4)
	v_dual_mul_f32 v111, v1, v111 :: v_dual_and_b32 v114, 0xf0f0f0f, v112
	v_dot4_i32_iu8 v108, v108, v4, 0 neg_lo:[1,1,0]
	v_lshrrev_b32_e32 v107, 4, v107
	s_delay_alu instid0(VALU_DEP_4) | instskip(NEXT) | instid1(VALU_DEP_4)
	v_mul_f32_e32 v109, v3, v109
	v_dot4_i32_iu8 v114, v114, v5, 0 neg_lo:[1,1,0]
	v_mul_f32_e32 v111, 0x3e000000, v111
	v_cvt_f32_i32_e32 v108, v108
	v_and_b32_e32 v107, 0xf0f0f0f, v107
	v_lshrrev_b32_e32 v104, 4, v104
	v_cvt_f32_i32_e32 v114, v114
	v_lshrrev_b32_e32 v113, 4, v113
	v_fma_f32 v108, v110, v108, v111
	v_dot4_i32_iu8 v107, v107, v11, 0 neg_lo:[1,1,0]
	v_lshrrev_b32_e32 v112, 4, v112
	v_mul_f32_e32 v116, v2, v116
	v_dot4_i32_iu8 v115, v115, v8, 0 neg_lo:[1,1,0]
	v_add_f32_e32 v108, 0, v108
	v_fma_f32 v114, v110, v114, v111
	v_and_b32_e32 v113, 0xf0f0f0f, v113
	v_cvt_f32_i32_e32 v107, v107
	v_and_b32_e32 v112, 0xf0f0f0f, v112
	v_dot4_i32_iu8 v117, v117, v9, 0 neg_lo:[1,1,0]
	v_dual_add_f32 v108, v108, v114 :: v_dual_mul_f32 v109, 0x3e000000, v109
	v_and_b32_e32 v104, 0xf0f0f0f, v104
	s_delay_alu instid0(VALU_DEP_4) | instskip(SKIP_1) | instid1(VALU_DEP_3)
	v_dot4_i32_iu8 v112, v112, v7, 0 neg_lo:[1,1,0]
	v_cvt_f32_i32_e32 v114, v115
	v_dot4_i32_iu8 v104, v104, v6, 0 neg_lo:[1,1,0]
	s_delay_alu instid0(VALU_DEP_3) | instskip(NEXT) | instid1(VALU_DEP_2)
	v_cvt_f32_i32_e32 v112, v112
	v_cvt_f32_i32_e32 v104, v104
	s_delay_alu instid0(VALU_DEP_1) | instskip(NEXT) | instid1(VALU_DEP_3)
	v_fma_f32 v104, v110, v104, v111
	v_fmac_f32_e32 v111, v110, v112
	v_dot4_i32_iu8 v110, v113, v10, 0 neg_lo:[1,1,0]
	s_delay_alu instid0(VALU_DEP_3) | instskip(SKIP_2) | instid1(VALU_DEP_4)
	v_add_f32_e32 v104, v108, v104
	v_cvt_f32_i32_e32 v108, v117
	v_fma_f32 v112, v116, v114, v109
	v_cvt_f32_i32_e32 v110, v110
	s_delay_alu instid0(VALU_DEP_4) | instskip(NEXT) | instid1(VALU_DEP_4)
	v_add_f32_e32 v104, v104, v111
	v_fma_f32 v108, v116, v108, v109
	s_delay_alu instid0(VALU_DEP_3) | instskip(SKIP_1) | instid1(VALU_DEP_4)
	v_fma_f32 v110, v116, v110, v109
	v_fmac_f32_e32 v109, v116, v107
	v_add_f32_e32 v104, v104, v112
	s_delay_alu instid0(VALU_DEP_1) | instskip(NEXT) | instid1(VALU_DEP_1)
	v_add_f32_e32 v104, v104, v108
	v_add_f32_e32 v104, v104, v110
	s_delay_alu instid0(VALU_DEP_1)
	v_add_f32_e32 v104, v104, v109
	ds_bpermute_b32 v107, v22, v104
	s_wait_dscnt 0x0
	v_add_f32_e32 v104, v104, v107
	s_wait_alu 0xfffe
	s_cbranch_vccnz .LBB0_23
; %bb.22:                               ;   in Loop: Header=BB0_19 Depth=1
	global_load_u16 v107, v[12:13], off
	s_wait_loadcnt 0x0
	v_fma_mix_f32 v104, v16, v107, v104 op_sel_hi:[0,1,0]
.LBB0_23:                               ;   in Loop: Header=BB0_19 Depth=1
	s_delay_alu instid0(VALU_DEP_1) | instskip(SKIP_3) | instid1(VALU_DEP_3)
	v_dual_add_f32 v109, 0x40051340, v102 :: v_dual_add_f32 v110, 0x40051340, v104
	v_add_co_u32 v107, vcc_lo, v98, s23
	s_wait_alu 0xfffd
	v_add_co_ci_u32_e64 v108, null, 0, v99, vcc_lo
	v_max3_num_f32 v109, v103, v109, v110
	v_cndmask_b32_e64 v135, v104, v102, s3
	v_add_co_u32 v111, s6, v88, s23
	global_load_b32 v123, v[107:108], off
	ds_bpermute_b32 v110, v24, v109
	v_add_co_u32 v107, vcc_lo, v100, s23
	s_wait_alu 0xfffd
	v_add_co_ci_u32_e64 v108, null, 0, v101, vcc_lo
	v_add_co_u32 v115, s5, v86, s23
	v_add_co_u32 v127, s4, v84, s23
	global_load_u16 v118, v[107:108], off
	v_add_co_u32 v107, vcc_lo, v94, s23
	s_wait_alu 0xfffd
	v_add_co_ci_u32_e64 v108, null, 0, v95, vcc_lo
	s_wait_alu 0xf1ff
	v_add_co_ci_u32_e64 v112, null, 0, v89, s6
	v_add_co_ci_u32_e64 v116, null, 0, v87, s5
	global_load_b32 v124, v[107:108], off
	v_add_co_ci_u32_e64 v128, null, 0, v85, s4
	s_wait_dscnt 0x0
	v_max_num_f32_e32 v107, v110, v110
	s_add_co_i32 s33, s33, s14
	s_delay_alu instid0(SALU_CYCLE_1) | instskip(NEXT) | instid1(VALU_DEP_1)
	s_cmp_ge_i32 s33, s30
	v_max_num_f32_e32 v110, v109, v107
	v_add_co_u32 v107, vcc_lo, v90, s23
	s_wait_alu 0xfffd
	v_add_co_ci_u32_e64 v108, null, 0, v91, vcc_lo
	ds_bpermute_b32 v109, v25, v110
	v_add_co_u32 v129, vcc_lo, v82, s23
	global_load_b32 v114, v[107:108], off
	v_add_co_u32 v107, s7, v96, s23
	s_wait_alu 0xfffd
	v_add_co_ci_u32_e64 v130, null, 0, v83, vcc_lo
	s_wait_dscnt 0x0
	v_max_num_f32_e32 v108, v109, v109
	v_add_co_u32 v109, s8, v92, s23
	s_delay_alu instid0(VALU_DEP_2)
	v_max_num_f32_e32 v102, v110, v108
	s_wait_alu 0xf1ff
	v_add_co_ci_u32_e64 v108, null, 0, v97, s7
	v_add_co_ci_u32_e64 v110, null, 0, v93, s8
	ds_bpermute_b32 v104, v26, v102
	global_load_u16 v125, v[107:108], off
	global_load_u16 v126, v[109:110], off
	v_add_co_u32 v133, s8, v78, s23
	v_add_co_u32 v109, vcc_lo, v74, s23
	v_add_co_u32 v131, s7, v80, s23
	v_add_co_u32 v107, s9, v76, s23
	s_wait_alu 0xf1ff
	v_add_co_ci_u32_e64 v134, null, 0, v79, s8
	s_wait_alu 0xfffd
	v_add_co_ci_u32_e64 v110, null, 0, v75, vcc_lo
	v_add_co_ci_u32_e64 v132, null, 0, v81, s7
	v_add_co_ci_u32_e64 v108, null, 0, v77, s9
	global_load_b32 v122, v[115:116], off
	s_wait_dscnt 0x0
	v_max_num_f32_e32 v104, v104, v104
	global_load_u16 v120, v[111:112], off
	global_load_b32 v121, v[129:130], off
	global_load_u16 v116, v[127:128], off
	v_add_co_u32 v127, vcc_lo, v70, s23
	v_add_co_u32 v111, s4, v72, s23
	v_max_num_f32_e32 v102, v102, v104
	s_wait_alu 0xfffd
	v_add_co_ci_u32_e64 v128, null, 0, v71, vcc_lo
	global_load_b32 v113, v[133:134], off
	global_load_u16 v117, v[131:132], off
	global_load_b32 v115, v[109:110], off
	global_load_u16 v109, v[107:108], off
	ds_bpermute_b32 v104, v27, v102
	v_add_co_u32 v107, s5, v66, s23
	s_wait_alu 0xf1ff
	v_add_co_ci_u32_e64 v112, null, 0, v73, s4
	v_add_co_ci_u32_e64 v108, null, 0, v67, s5
	global_load_b32 v119, v[127:128], off
	v_add_co_u32 v127, vcc_lo, v68, s23
	s_wait_alu 0xfffd
	v_add_co_ci_u32_e64 v128, null, 0, v69, vcc_lo
	global_load_u16 v110, v[111:112], off
	global_load_b32 v112, v[107:108], off
	global_load_u16 v108, v[127:128], off
	s_wait_dscnt 0x0
	v_max_num_f32_e32 v104, v104, v104
	s_delay_alu instid0(VALU_DEP_1) | instskip(NEXT) | instid1(VALU_DEP_1)
	v_max_num_f32_e32 v102, v102, v104
	v_sub_f32_e32 v107, v103, v102
	v_add_co_u32 v103, vcc_lo, v62, s23
	s_wait_alu 0xfffd
	v_add_co_ci_u32_e64 v104, null, 0, v63, vcc_lo
	s_delay_alu instid0(VALU_DEP_3) | instskip(SKIP_4) | instid1(VALU_DEP_1)
	v_mul_f32_e32 v127, 0x3fb8aa3b, v107
	v_cmp_ngt_f32_e32 vcc_lo, 0xc2ce8ed0, v107
	v_cmp_nlt_f32_e64 s4, 0x42b17218, v107
	global_load_b32 v111, v[103:104], off
	v_fma_f32 v103, 0x3fb8aa3b, v107, -v127
	v_fmac_f32_e32 v103, 0x32a5705f, v107
	s_wait_loadcnt 0x12
	v_ashrrev_i32_e32 v123, v23, v123
	s_delay_alu instid0(VALU_DEP_1) | instskip(NEXT) | instid1(VALU_DEP_1)
	v_dual_sub_f32 v104, v135, v102 :: v_dual_and_b32 v123, 0xf0f0f0f, v123
	v_mul_f32_e32 v107, 0x3fb8aa3b, v104
	v_cmp_ngt_f32_e64 s5, 0xc2ce8ed0, v104
	v_cmp_nlt_f32_e64 s6, 0x42b17218, v104
	s_wait_loadcnt 0x11
	v_mul_u32_u24_e32 v118, 0x10001, v118
	v_fma_f32 v128, 0x3fb8aa3b, v104, -v107
	v_rndne_f32_e32 v129, v107
	s_delay_alu instid0(VALU_DEP_1) | instskip(SKIP_2) | instid1(VALU_DEP_2)
	v_dual_fmac_f32 v128, 0x32a5705f, v104 :: v_dual_sub_f32 v107, v107, v129
	s_wait_loadcnt 0x10
	v_ashrrev_i32_e32 v124, v23, v124
	v_add_f32_e32 v107, v107, v128
	v_rndne_f32_e32 v128, v127
	s_delay_alu instid0(VALU_DEP_3) | instskip(NEXT) | instid1(VALU_DEP_3)
	v_and_b32_e32 v124, 0xf0f0f0f, v124
	v_exp_f32_e32 v107, v107
	s_wait_loadcnt 0xf
	v_ashrrev_i32_e32 v114, v23, v114
	s_delay_alu instid0(VALU_DEP_1) | instskip(NEXT) | instid1(VALU_DEP_1)
	v_dual_sub_f32 v127, v127, v128 :: v_dual_and_b32 v114, 0xf0f0f0f, v114
	v_add_f32_e32 v103, v127, v103
	v_cvt_i32_f32_e32 v127, v129
	s_delay_alu instid0(VALU_DEP_2)
	v_exp_f32_e32 v103, v103
	s_delay_alu instid0(TRANS32_DEP_2) | instid1(VALU_DEP_1)
	v_ldexp_f32 v107, v107, v127
	v_cvt_i32_f32_e32 v127, v128
	s_delay_alu instid0(TRANS32_DEP_1) | instid1(VALU_DEP_1)
	v_ldexp_f32 v104, v103, v127
	s_wait_alu 0xf1ff
	s_delay_alu instid0(VALU_DEP_3) | instskip(SKIP_3) | instid1(VALU_DEP_3)
	v_cndmask_b32_e64 v103, 0, v107, s5
	v_add_co_u32 v127, s5, v64, s23
	s_wait_alu 0xf1ff
	v_add_co_ci_u32_e64 v128, null, 0, v65, s5
	v_cndmask_b32_e64 v103, 0x7f800000, v103, s6
	s_wait_alu 0xfffd
	v_cndmask_b32_e32 v104, 0, v104, vcc_lo
	s_wait_loadcnt 0xe
	v_mul_u32_u24_e32 v125, 0x10001, v125
	global_load_u16 v107, v[127:128], off
	v_and_b32_e32 v128, 0xf00, v123
	v_cvt_f16_f32_e32 v127, v103
	v_cndmask_b32_e64 v104, 0x7f800000, v104, s4
	s_wait_loadcnt 0xe
	v_mul_u32_u24_e32 v126, 0x10001, v126
	ds_store_b16 v18, v127
	v_cvt_f16_f32_e32 v127, v104
	v_fma_f32 v21, v21, v104, v103
	s_delay_alu instid0(VALU_DEP_2)
	v_and_b32_e32 v127, 0xffff, v127
	s_wait_loadcnt 0xd
	v_ashrrev_i32_e32 v122, v23, v122
	s_wait_loadcnt 0xc
	v_mul_u32_u24_e32 v120, 0x10001, v120
	v_mul_u32_u24_e32 v127, 0x10001, v127
	s_wait_loadcnt 0xa
	v_mul_u32_u24_e32 v116, 0x10001, v116
	v_and_b32_e32 v122, 0xf0f0f0f, v122
	s_delay_alu instid0(VALU_DEP_3)
	v_pk_mul_f16 v106, v106, v127
	v_pk_mul_f16 v105, v105, v127
	v_lshlrev_b16 v127, 8, v123
	v_lshrrev_b32_e32 v123, 16, v123
	s_wait_loadcnt 0x9
	v_ashrrev_i32_e32 v113, v23, v113
	s_wait_loadcnt 0x7
	v_ashrrev_i32_e32 v115, v23, v115
	v_mul_u32_u24_e32 v117, 0x10001, v117
	v_add_nc_u16 v127, 0xf800, v127
	s_wait_loadcnt 0x6
	v_mul_u32_u24_e32 v109, 0x10001, v109
	s_delay_alu instid0(VALU_DEP_2) | instskip(SKIP_2) | instid1(VALU_DEP_2)
	v_lshrrev_b16 v127, 8, v127
	s_wait_loadcnt 0x4
	v_mul_u32_u24_e32 v110, 0x10001, v110
	v_or_b32_e32 v127, v128, v127
	v_lshlrev_b16 v128, 8, v123
	v_and_b32_e32 v123, 0xf00, v123
	s_wait_loadcnt 0x3
	v_ashrrev_i32_e32 v112, v23, v112
	s_wait_loadcnt 0x2
	v_mul_u32_u24_e32 v108, 0x10001, v108
	v_add_nc_u16 v127, 0xf800, v127
	v_add_nc_u16 v128, 0xf800, v128
	v_and_b32_e32 v112, 0xf0f0f0f, v112
	s_delay_alu instid0(VALU_DEP_2) | instskip(NEXT) | instid1(VALU_DEP_1)
	v_lshrrev_b16 v128, 8, v128
	v_or_b32_e32 v123, v123, v128
	v_lshrrev_b32_e32 v128, 8, v127
	v_bfe_i32 v127, v127, 0, 8
	s_delay_alu instid0(VALU_DEP_3) | instskip(NEXT) | instid1(VALU_DEP_3)
	v_add_nc_u16 v123, 0xf800, v123
	v_bfe_i32 v128, v128, 0, 8
	s_delay_alu instid0(VALU_DEP_3) | instskip(SKIP_2) | instid1(VALU_DEP_3)
	v_cvt_f16_i16_e32 v127, v127
	s_wait_loadcnt 0x1
	v_ashrrev_i32_e32 v111, v23, v111
	v_cvt_f16_i16_e64 v128, v128
	s_delay_alu instid0(VALU_DEP_2) | instskip(NEXT) | instid1(VALU_DEP_2)
	v_and_b32_e32 v111, 0xf0f0f0f, v111
	v_pack_b32_f16 v127, v127, v128
	v_lshrrev_b32_e32 v128, 8, v123
	v_bfe_i32 v123, v123, 0, 8
	s_delay_alu instid0(VALU_DEP_3) | instskip(NEXT) | instid1(VALU_DEP_3)
	v_pk_mul_f16 v127, v127, v118
	v_bfe_i32 v128, v128, 0, 8
	s_delay_alu instid0(VALU_DEP_3) | instskip(NEXT) | instid1(VALU_DEP_2)
	v_cvt_f16_i16_e32 v123, v123
	v_cvt_f16_i16_e64 v128, v128
	s_delay_alu instid0(VALU_DEP_1) | instskip(SKIP_1) | instid1(VALU_DEP_2)
	v_pack_b32_f16 v123, v123, v128
	v_lshlrev_b16 v128, 8, v124
	v_pk_mul_f16 v118, v123, v118
	ds_load_u16 v123, v28
	v_add_nc_u16 v128, 0xf800, v128
	s_wait_dscnt 0x0
	v_mul_u32_u24_e32 v123, 0x10001, v123
	s_delay_alu instid0(VALU_DEP_1)
	v_pk_fma_f16 v127, v127, v123, v106
	v_pk_fma_f16 v123, v118, v123, v105
	v_add_co_u32 v105, vcc_lo, v58, s23
	s_wait_alu 0xfffd
	v_add_co_ci_u32_e64 v106, null, 0, v59, vcc_lo
	global_load_b32 v118, v[105:106], off
	v_and_b32_e32 v105, 0xf00, v124
	v_lshrrev_b16 v106, 8, v128
	v_and_b32_e32 v128, 0xf00, v114
	v_lshrrev_b32_e32 v124, 16, v124
	s_delay_alu instid0(VALU_DEP_3) | instskip(SKIP_2) | instid1(VALU_DEP_3)
	v_or_b32_e32 v105, v105, v106
	v_lshlrev_b16 v106, 8, v114
	v_lshrrev_b32_e32 v114, 16, v114
	v_add_nc_u16 v105, 0xf800, v105
	s_delay_alu instid0(VALU_DEP_3) | instskip(NEXT) | instid1(VALU_DEP_1)
	v_add_nc_u16 v106, 0xf800, v106
	v_lshrrev_b16 v106, 8, v106
	s_delay_alu instid0(VALU_DEP_1) | instskip(SKIP_2) | instid1(VALU_DEP_3)
	v_or_b32_e32 v106, v128, v106
	v_lshlrev_b16 v128, 8, v124
	v_and_b32_e32 v124, 0xf00, v124
	v_add_nc_u16 v106, 0xf800, v106
	s_delay_alu instid0(VALU_DEP_3) | instskip(NEXT) | instid1(VALU_DEP_1)
	v_add_nc_u16 v128, 0xf800, v128
	v_lshrrev_b16 v128, 8, v128
	s_delay_alu instid0(VALU_DEP_1) | instskip(SKIP_2) | instid1(VALU_DEP_3)
	v_or_b32_e32 v124, v124, v128
	v_lshlrev_b16 v128, 8, v114
	v_and_b32_e32 v114, 0xf00, v114
	v_add_nc_u16 v124, 0xf800, v124
	s_delay_alu instid0(VALU_DEP_3) | instskip(NEXT) | instid1(VALU_DEP_1)
	v_add_nc_u16 v128, 0xf800, v128
	v_lshrrev_b16 v128, 8, v128
	s_delay_alu instid0(VALU_DEP_1) | instskip(SKIP_2) | instid1(VALU_DEP_3)
	v_or_b32_e32 v114, v114, v128
	v_lshrrev_b32_e32 v128, 8, v105
	v_bfe_i32 v105, v105, 0, 8
	v_add_nc_u16 v114, 0xf800, v114
	s_delay_alu instid0(VALU_DEP_3) | instskip(NEXT) | instid1(VALU_DEP_3)
	v_bfe_i32 v128, v128, 0, 8
	v_cvt_f16_i16_e32 v105, v105
	s_delay_alu instid0(VALU_DEP_2) | instskip(NEXT) | instid1(VALU_DEP_1)
	v_cvt_f16_i16_e64 v128, v128
	v_pack_b32_f16 v105, v105, v128
	v_lshrrev_b32_e32 v128, 8, v106
	v_bfe_i32 v106, v106, 0, 8
	s_delay_alu instid0(VALU_DEP_3) | instskip(NEXT) | instid1(VALU_DEP_3)
	v_pk_mul_f16 v105, v105, v125
	v_bfe_i32 v128, v128, 0, 8
	s_delay_alu instid0(VALU_DEP_3) | instskip(NEXT) | instid1(VALU_DEP_2)
	v_cvt_f16_i16_e32 v106, v106
	v_cvt_f16_i16_e64 v128, v128
	s_delay_alu instid0(VALU_DEP_1) | instskip(SKIP_2) | instid1(VALU_DEP_3)
	v_pack_b32_f16 v106, v106, v128
	v_lshrrev_b32_e32 v128, 8, v124
	v_bfe_i32 v124, v124, 0, 8
	v_pk_mul_f16 v106, v106, v126
	s_delay_alu instid0(VALU_DEP_3) | instskip(NEXT) | instid1(VALU_DEP_3)
	v_bfe_i32 v128, v128, 0, 8
	v_cvt_f16_i16_e32 v124, v124
	s_delay_alu instid0(VALU_DEP_2) | instskip(NEXT) | instid1(VALU_DEP_1)
	v_cvt_f16_i16_e64 v128, v128
	v_pack_b32_f16 v124, v124, v128
	v_lshrrev_b32_e32 v128, 8, v114
	v_bfe_i32 v114, v114, 0, 8
	s_delay_alu instid0(VALU_DEP_3) | instskip(SKIP_3) | instid1(VALU_DEP_2)
	v_pk_mul_f16 v124, v124, v125
	ds_load_u16 v125, v29 offset:4
	v_bfe_i32 v128, v128, 0, 8
	v_cvt_f16_i16_e32 v114, v114
	v_cvt_f16_i16_e64 v128, v128
	s_delay_alu instid0(VALU_DEP_1) | instskip(NEXT) | instid1(VALU_DEP_1)
	v_pack_b32_f16 v114, v114, v128
	v_pk_mul_f16 v114, v114, v126
	s_wait_dscnt 0x0
	v_mul_u32_u24_e32 v125, 0x10001, v125
	s_delay_alu instid0(VALU_DEP_1)
	v_pk_fma_f16 v127, v105, v125, v127
	ds_load_u16 v105, v29 offset:8
	v_pk_fma_f16 v124, v124, v125, v123
	v_add_co_u32 v123, s4, v54, s23
	v_add_co_u32 v125, s5, v56, s23
	s_wait_alu 0xf1ff
	v_add_co_ci_u32_e64 v126, null, 0, v57, s5
	s_wait_dscnt 0x0
	v_mul_u32_u24_e32 v128, 0x10001, v105
	v_add_co_u32 v105, vcc_lo, v60, s23
	s_delay_alu instid0(VALU_DEP_2)
	v_pk_fma_f16 v127, v106, v128, v127
	v_pk_fma_f16 v128, v114, v128, v124
	s_wait_alu 0xfffd
	v_add_co_ci_u32_e64 v106, null, 0, v61, vcc_lo
	v_ashrrev_i32_e32 v114, v23, v121
	v_add_co_ci_u32_e64 v124, null, 0, v55, s4
	global_load_u16 v106, v[105:106], off
	v_lshlrev_b16 v105, 8, v122
	v_and_b32_e32 v121, 0xf0f0f0f, v114
	global_load_b32 v114, v[123:124], off
	v_and_b32_e32 v124, 0xf00, v122
	v_lshrrev_b32_e32 v122, 16, v122
	v_add_nc_u16 v129, 0xf800, v105
	v_lshlrev_b16 v123, 8, v121
	global_load_u16 v105, v[125:126], off
	ds_load_u16 v126, v28 offset:16
	v_lshrrev_b16 v125, 8, v129
	v_add_nc_u16 v123, 0xf800, v123
	s_delay_alu instid0(VALU_DEP_2) | instskip(SKIP_1) | instid1(VALU_DEP_3)
	v_or_b32_e32 v124, v124, v125
	v_and_b32_e32 v125, 0xf00, v121
	v_lshrrev_b16 v123, 8, v123
	v_lshrrev_b32_e32 v121, 16, v121
	s_delay_alu instid0(VALU_DEP_4) | instskip(NEXT) | instid1(VALU_DEP_3)
	v_add_nc_u16 v124, 0xf800, v124
	v_or_b32_e32 v123, v125, v123
	v_lshlrev_b16 v125, 8, v122
	v_and_b32_e32 v122, 0xf00, v122
	s_wait_loadcnt 0x4
	v_mul_u32_u24_e32 v107, 0x10001, v107
	v_add_nc_u16 v123, 0xf800, v123
	v_add_nc_u16 v125, 0xf800, v125
	s_delay_alu instid0(VALU_DEP_1) | instskip(NEXT) | instid1(VALU_DEP_1)
	v_lshrrev_b16 v125, 8, v125
	v_or_b32_e32 v122, v122, v125
	v_lshlrev_b16 v125, 8, v121
	v_and_b32_e32 v121, 0xf00, v121
	s_delay_alu instid0(VALU_DEP_3) | instskip(NEXT) | instid1(VALU_DEP_3)
	v_add_nc_u16 v122, 0xf800, v122
	v_add_nc_u16 v125, 0xf800, v125
	s_delay_alu instid0(VALU_DEP_1) | instskip(NEXT) | instid1(VALU_DEP_1)
	v_lshrrev_b16 v125, 8, v125
	v_or_b32_e32 v121, v121, v125
	v_lshrrev_b32_e32 v125, 8, v124
	v_bfe_i32 v124, v124, 0, 8
	s_delay_alu instid0(VALU_DEP_3) | instskip(NEXT) | instid1(VALU_DEP_3)
	v_add_nc_u16 v121, 0xf800, v121
	v_bfe_i32 v125, v125, 0, 8
	s_delay_alu instid0(VALU_DEP_3) | instskip(NEXT) | instid1(VALU_DEP_2)
	v_cvt_f16_i16_e32 v124, v124
	v_cvt_f16_i16_e32 v125, v125
	s_delay_alu instid0(VALU_DEP_1) | instskip(SKIP_2) | instid1(VALU_DEP_3)
	v_pack_b32_f16 v124, v124, v125
	v_lshrrev_b32_e32 v125, 8, v123
	v_bfe_i32 v123, v123, 0, 8
	v_pk_mul_f16 v124, v124, v120
	s_delay_alu instid0(VALU_DEP_3) | instskip(NEXT) | instid1(VALU_DEP_3)
	v_bfe_i32 v125, v125, 0, 8
	v_cvt_f16_i16_e32 v123, v123
	s_delay_alu instid0(VALU_DEP_2) | instskip(NEXT) | instid1(VALU_DEP_1)
	v_cvt_f16_i16_e32 v125, v125
	v_pack_b32_f16 v123, v123, v125
	v_lshrrev_b32_e32 v125, 8, v122
	v_bfe_i32 v122, v122, 0, 8
	s_delay_alu instid0(VALU_DEP_3) | instskip(NEXT) | instid1(VALU_DEP_3)
	v_pk_mul_f16 v129, v123, v116
	v_bfe_i32 v125, v125, 0, 8
	s_delay_alu instid0(VALU_DEP_3) | instskip(NEXT) | instid1(VALU_DEP_2)
	v_cvt_f16_i16_e32 v122, v122
	v_cvt_f16_i16_e32 v125, v125
	s_delay_alu instid0(VALU_DEP_1) | instskip(SKIP_2) | instid1(VALU_DEP_3)
	v_pack_b32_f16 v122, v122, v125
	v_lshrrev_b32_e32 v125, 8, v121
	v_bfe_i32 v121, v121, 0, 8
	v_pk_mul_f16 v122, v122, v120
	s_delay_alu instid0(VALU_DEP_3) | instskip(NEXT) | instid1(VALU_DEP_3)
	v_bfe_i32 v125, v125, 0, 8
	v_cvt_f16_i16_e32 v121, v121
	v_add_co_u32 v120, vcc_lo, v50, s23
	s_delay_alu instid0(VALU_DEP_3) | instskip(NEXT) | instid1(VALU_DEP_1)
	v_cvt_f16_i16_e32 v125, v125
	v_pack_b32_f16 v121, v121, v125
	ds_load_u16 v125, v29 offset:12
	v_pk_mul_f16 v130, v121, v116
	s_wait_alu 0xfffd
	v_add_co_ci_u32_e64 v121, null, 0, v51, vcc_lo
	global_load_b32 v116, v[120:121], off
	v_add_co_u32 v120, vcc_lo, v46, s23
	s_wait_dscnt 0x0
	v_mul_u32_u24_e32 v125, 0x10001, v125
	s_delay_alu instid0(VALU_DEP_1)
	v_pk_fma_f16 v124, v124, v125, v127
	v_and_b32_e32 v127, 0xf0f0f0f, v113
	v_pk_fma_f16 v125, v122, v125, v128
	v_add_co_u32 v122, s4, v52, s23
	v_mul_u32_u24_e32 v113, 0x10001, v126
	s_wait_alu 0xf1ff
	v_add_co_ci_u32_e64 v123, null, 0, v53, s4
	v_lshrrev_b32_e32 v126, 16, v127
	v_lshlrev_b16 v121, 8, v127
	v_pk_fma_f16 v124, v129, v113, v124
	v_pk_fma_f16 v125, v130, v113, v125
	global_load_u16 v113, v[122:123], off
	v_lshlrev_b16 v123, 8, v126
	v_add_nc_u16 v122, 0xf800, v121
	s_wait_alu 0xfffd
	v_add_co_ci_u32_e64 v121, null, 0, v47, vcc_lo
	v_and_b32_e32 v128, 0xf0f0f0f, v115
	v_add_nc_u16 v123, 0xf800, v123
	v_and_b32_e32 v127, 0xf00, v127
	v_lshrrev_b16 v122, 8, v122
	global_load_b32 v115, v[120:121], off
	v_lshlrev_b16 v120, 8, v128
	v_and_b32_e32 v121, 0xf00, v126
	v_lshrrev_b16 v123, 8, v123
	v_lshrrev_b32_e32 v126, 16, v128
	v_or_b32_e32 v122, v127, v122
	v_add_nc_u16 v120, 0xf800, v120
	v_and_b32_e32 v127, 0xf00, v128
	v_or_b32_e32 v121, v121, v123
	v_lshlrev_b16 v123, 8, v126
	v_add_nc_u16 v122, 0xf800, v122
	v_lshrrev_b16 v120, 8, v120
	v_and_b32_e32 v126, 0xf00, v126
	v_add_nc_u16 v121, 0xf800, v121
	v_add_nc_u16 v123, 0xf800, v123
	v_ashrrev_i32_e32 v128, v23, v119
	v_or_b32_e32 v120, v127, v120
	v_lshrrev_b32_e32 v127, 8, v122
	v_bfe_i32 v122, v122, 0, 8
	v_lshrrev_b16 v123, 8, v123
	v_add_co_u32 v119, vcc_lo, v42, s23
	s_delay_alu instid0(VALU_DEP_4) | instskip(NEXT) | instid1(VALU_DEP_4)
	v_bfe_i32 v127, v127, 0, 8
	v_cvt_f16_i16_e32 v122, v122
	s_delay_alu instid0(VALU_DEP_4)
	v_or_b32_e32 v123, v126, v123
	v_lshrrev_b32_e32 v126, 8, v121
	v_bfe_i32 v121, v121, 0, 8
	v_cvt_f16_i16_e32 v127, v127
	v_add_nc_u16 v120, 0xf800, v120
	v_add_nc_u16 v123, 0xf800, v123
	v_bfe_i32 v126, v126, 0, 8
	v_cvt_f16_i16_e32 v121, v121
	v_pack_b32_f16 v122, v122, v127
	ds_load_u16 v127, v29 offset:20
	s_wait_loadcnt 0x6
	v_ashrrev_i32_e32 v118, v23, v118
	v_cvt_f16_i16_e32 v126, v126
	v_pk_mul_f16 v122, v122, v117
	s_delay_alu instid0(VALU_DEP_3) | instskip(NEXT) | instid1(VALU_DEP_3)
	v_and_b32_e32 v118, 0xf0f0f0f, v118
	v_pack_b32_f16 v121, v121, v126
	v_lshrrev_b32_e32 v126, 8, v120
	v_bfe_i32 v120, v120, 0, 8
	s_delay_alu instid0(VALU_DEP_3) | instskip(SKIP_1) | instid1(VALU_DEP_4)
	v_pk_mul_f16 v117, v121, v117
	v_lshrrev_b32_e32 v121, 8, v123
	v_bfe_i32 v126, v126, 0, 8
	s_delay_alu instid0(VALU_DEP_4) | instskip(SKIP_1) | instid1(VALU_DEP_4)
	v_cvt_f16_i16_e32 v120, v120
	v_bfe_i32 v123, v123, 0, 8
	v_bfe_i32 v121, v121, 0, 8
	s_delay_alu instid0(VALU_DEP_4)
	v_cvt_f16_i16_e32 v126, v126
	s_wait_dscnt 0x0
	v_mul_u32_u24_e32 v127, 0x10001, v127
	v_cvt_f16_i16_e32 v123, v123
	v_cvt_f16_i16_e64 v129, v121
	v_pack_b32_f16 v126, v120, v126
	s_wait_alu 0xfffd
	v_add_co_ci_u32_e64 v120, null, 0, v43, vcc_lo
	v_add_co_u32 v121, vcc_lo, v48, s23
	v_pk_fma_f16 v124, v122, v127, v124
	s_wait_alu 0xfffd
	v_add_co_ci_u32_e64 v122, null, 0, v49, vcc_lo
	v_pk_fma_f16 v125, v117, v127, v125
	global_load_b32 v119, v[119:120], off
	global_load_u16 v117, v[121:122], off
	v_add_co_u32 v120, vcc_lo, v38, s23
	s_wait_alu 0xfffd
	v_add_co_ci_u32_e64 v121, null, 0, v39, vcc_lo
	v_and_b32_e32 v127, 0xf0f0f0f, v128
	v_pack_b32_f16 v123, v123, v129
	v_pk_mul_f16 v126, v126, v109
	global_load_b32 v120, v[120:121], off
	v_lshrrev_b32_e32 v122, 16, v127
	v_pk_mul_f16 v128, v123, v109
	v_lshlrev_b16 v109, 8, v127
	s_delay_alu instid0(VALU_DEP_3) | instskip(SKIP_1) | instid1(VALU_DEP_3)
	v_lshlrev_b16 v121, 8, v122
	v_and_b32_e32 v122, 0xf00, v122
	v_add_nc_u16 v109, 0xf800, v109
	s_delay_alu instid0(VALU_DEP_3) | instskip(NEXT) | instid1(VALU_DEP_2)
	v_add_nc_u16 v121, 0xf800, v121
	v_lshrrev_b16 v109, 8, v109
	s_delay_alu instid0(VALU_DEP_2) | instskip(NEXT) | instid1(VALU_DEP_1)
	v_lshrrev_b16 v121, 8, v121
	v_or_b32_e32 v129, v122, v121
	v_add_co_u32 v121, vcc_lo, v44, s23
	s_wait_alu 0xfffd
	v_add_co_ci_u32_e64 v122, null, 0, v45, vcc_lo
	global_load_u16 v121, v[121:122], off
	v_and_b32_e32 v122, 0xf00, v127
	s_delay_alu instid0(VALU_DEP_1)
	v_or_b32_e32 v127, v122, v109
	v_add_co_u32 v122, vcc_lo, v40, s23
	s_wait_alu 0xfffd
	v_add_co_ci_u32_e64 v123, null, 0, v41, vcc_lo
	v_add_co_u32 v30, vcc_lo, v30, s20
	s_wait_alu 0xfffd
	v_add_co_ci_u32_e64 v31, null, 0, v31, vcc_lo
	global_load_u16 v109, v[122:123], off
	ds_load_u16 v122, v29 offset:24
	v_add_co_u32 v32, vcc_lo, v32, s20
	s_wait_alu 0xfffd
	v_add_co_ci_u32_e64 v33, null, 0, v33, vcc_lo
	v_add_co_u32 v34, vcc_lo, v34, s20
	s_wait_alu 0xfffd
	v_add_co_ci_u32_e64 v35, null, 0, v35, vcc_lo
	;; [unrolled: 3-line block ×5, first 2 shown]
	s_wait_dscnt 0x0
	v_mul_u32_u24_e32 v122, 0x10001, v122
	v_add_co_u32 v40, vcc_lo, v40, s21
	s_wait_alu 0xfffd
	v_add_co_ci_u32_e64 v41, null, 0, v41, vcc_lo
	s_delay_alu instid0(VALU_DEP_3) | instskip(SKIP_4) | instid1(VALU_DEP_4)
	v_pk_fma_f16 v123, v126, v122, v124
	v_add_nc_u16 v124, 0xf800, v127
	v_add_nc_u16 v126, 0xf800, v129
	v_pk_fma_f16 v122, v128, v122, v125
	v_add_co_u32 v42, vcc_lo, v42, s21
	v_lshrrev_b32_e32 v125, 8, v124
	v_bfe_i32 v124, v124, 0, 8
	v_lshrrev_b32_e32 v127, 8, v126
	v_bfe_i32 v126, v126, 0, 8
	s_wait_loadcnt 0x9
	v_ashrrev_i32_e32 v114, v23, v114
	v_bfe_i32 v125, v125, 0, 8
	v_cvt_f16_i16_e32 v124, v124
	v_bfe_i32 v127, v127, 0, 8
	v_cvt_f16_i16_e32 v126, v126
	v_and_b32_e32 v114, 0xf0f0f0f, v114
	v_cvt_f16_i16_e32 v125, v125
	v_mul_u32_u24_e32 v106, 0x10001, v106
	v_cvt_f16_i16_e32 v127, v127
	s_wait_loadcnt 0x8
	v_mul_u32_u24_e32 v105, 0x10001, v105
	s_wait_alu 0xfffd
	v_add_co_ci_u32_e64 v43, null, 0, v43, vcc_lo
	v_pack_b32_f16 v124, v124, v125
	ds_load_u16 v125, v29 offset:28
	v_pack_b32_f16 v126, v126, v127
	v_lshlrev_b16 v127, 8, v112
	v_add_co_u32 v44, vcc_lo, v44, s21
	v_pk_mul_f16 v124, v124, v110
	s_delay_alu instid0(VALU_DEP_4) | instskip(NEXT) | instid1(VALU_DEP_4)
	v_pk_mul_f16 v110, v126, v110
	v_add_nc_u16 v127, 0xf800, v127
	s_wait_alu 0xfffd
	v_add_co_ci_u32_e64 v45, null, 0, v45, vcc_lo
	v_add_co_u32 v46, vcc_lo, v46, s21
	s_delay_alu instid0(VALU_DEP_3)
	v_lshrrev_b16 v126, 8, v127
	v_and_b32_e32 v127, 0xf00, v112
	v_lshrrev_b32_e32 v112, 16, v112
	s_wait_alu 0xfffd
	v_add_co_ci_u32_e64 v47, null, 0, v47, vcc_lo
	v_add_co_u32 v48, vcc_lo, v48, s21
	v_or_b32_e32 v126, v127, v126
	s_wait_dscnt 0x0
	v_mul_u32_u24_e32 v125, 0x10001, v125
	v_lshlrev_b16 v127, 8, v112
	v_and_b32_e32 v112, 0xf00, v112
	s_wait_alu 0xfffd
	v_add_co_ci_u32_e64 v49, null, 0, v49, vcc_lo
	v_pk_fma_f16 v123, v124, v125, v123
	v_add_nc_u16 v124, 0xf800, v127
	v_add_nc_u16 v126, 0xf800, v126
	v_pk_fma_f16 v110, v110, v125, v122
	v_lshlrev_b16 v125, 8, v111
	ds_load_u16 v127, v28 offset:32
	v_lshrrev_b16 v124, 8, v124
	v_lshrrev_b32_e32 v122, 8, v126
	v_bfe_i32 v126, v126, 0, 8
	v_add_co_u32 v50, vcc_lo, v50, s21
	s_delay_alu instid0(VALU_DEP_4) | instskip(SKIP_1) | instid1(VALU_DEP_4)
	v_or_b32_e32 v112, v112, v124
	v_add_nc_u16 v124, 0xf800, v125
	v_cvt_f16_i16_e32 v125, v126
	v_lshrrev_b32_e32 v126, 16, v111
	v_and_b32_e32 v111, 0xf00, v111
	v_add_nc_u16 v112, 0xf800, v112
	v_lshrrev_b16 v124, 8, v124
	v_bfe_i32 v122, v122, 0, 8
	s_wait_alu 0xfffd
	v_add_co_ci_u32_e64 v51, null, 0, v51, vcc_lo
	v_add_co_u32 v52, vcc_lo, v52, s21
	v_or_b32_e32 v111, v111, v124
	v_lshrrev_b32_e32 v124, 8, v112
	v_cvt_f16_i16_e32 v122, v122
	v_bfe_i32 v112, v112, 0, 8
	s_wait_alu 0xfffd
	v_add_co_ci_u32_e64 v53, null, 0, v53, vcc_lo
	v_bfe_i32 v124, v124, 0, 8
	v_pack_b32_f16 v122, v125, v122
	v_lshlrev_b16 v125, 8, v126
	v_cvt_f16_i16_e32 v112, v112
	v_add_nc_u16 v111, 0xf800, v111
	v_cvt_f16_i16_e32 v124, v124
	v_and_b32_e32 v126, 0xf00, v126
	v_add_nc_u16 v125, 0xf800, v125
	v_pk_mul_f16 v122, v122, v108
	v_add_co_u32 v54, vcc_lo, v54, s21
	v_pack_b32_f16 v112, v112, v124
	v_lshrrev_b32_e32 v124, 8, v111
	v_lshrrev_b16 v125, 8, v125
	v_bfe_i32 v111, v111, 0, 8
	s_wait_alu 0xfffd
	v_add_co_ci_u32_e64 v55, null, 0, v55, vcc_lo
	v_bfe_i32 v124, v124, 0, 8
	v_or_b32_e32 v125, v126, v125
	v_cvt_f16_i16_e32 v111, v111
	ds_load_u16 v126, v29 offset:36
	s_wait_dscnt 0x1
	v_mul_u32_u24_e32 v127, 0x10001, v127
	v_cvt_f16_i16_e32 v124, v124
	v_add_nc_u16 v125, 0xf800, v125
	v_pk_mul_f16 v108, v112, v108
	v_add_co_u32 v56, vcc_lo, v56, s21
	s_delay_alu instid0(VALU_DEP_4)
	v_pack_b32_f16 v111, v111, v124
	v_lshlrev_b16 v124, 8, v118
	v_pk_fma_f16 v112, v122, v127, v123
	v_lshrrev_b32_e32 v122, 8, v125
	v_lshrrev_b32_e32 v123, 16, v118
	v_bfe_i32 v125, v125, 0, 8
	v_add_nc_u16 v124, 0xf800, v124
	v_pk_fma_f16 v110, v108, v127, v110
	v_bfe_i32 v122, v122, 0, 8
	v_lshlrev_b16 v127, 8, v123
	v_and_b32_e32 v118, 0xf00, v118
	v_lshrrev_b16 v124, 8, v124
	v_cvt_f16_i16_e32 v125, v125
	v_cvt_f16_i16_e32 v122, v122
	v_add_nc_u16 v127, 0xf800, v127
	v_and_b32_e32 v123, 0xf00, v123
	v_or_b32_e32 v118, v118, v124
	s_wait_dscnt 0x0
	v_mul_u32_u24_e32 v126, 0x10001, v126
	v_pack_b32_f16 v122, v125, v122
	v_lshrrev_b16 v127, 8, v127
	v_pk_mul_f16 v111, v111, v107
	v_add_nc_u16 v118, 0xf800, v118
	ds_load_u16 v108, v28 offset:48
	ds_load_u16 v125, v29 offset:40
	;; [unrolled: 1-line block ×3, first 2 shown]
	v_or_b32_e32 v123, v123, v127
	v_pk_mul_f16 v107, v122, v107
	v_lshrrev_b32_e32 v122, 8, v118
	v_pk_fma_f16 v111, v111, v126, v112
	v_bfe_i32 v118, v118, 0, 8
	v_add_nc_u16 v112, 0xf800, v123
	v_pk_fma_f16 v107, v107, v126, v110
	v_bfe_i32 v122, v122, 0, 8
	v_lshlrev_b16 v123, 8, v114
	v_cvt_f16_i16_e32 v118, v118
	v_lshrrev_b32_e32 v110, 8, v112
	v_lshrrev_b32_e32 v126, 16, v114
	v_cvt_f16_i16_e32 v122, v122
	v_bfe_i32 v112, v112, 0, 8
	v_add_nc_u16 v123, 0xf800, v123
	v_bfe_i32 v110, v110, 0, 8
	v_and_b32_e32 v114, 0xf00, v114
	v_pack_b32_f16 v118, v118, v122
	v_lshlrev_b16 v122, 8, v126
	v_cvt_f16_i16_e32 v112, v112
	v_cvt_f16_i16_e32 v110, v110
	v_lshrrev_b16 v123, 8, v123
	v_and_b32_e32 v126, 0xf00, v126
	v_add_nc_u16 v122, 0xf800, v122
	v_pk_mul_f16 v118, v118, v106
	v_pack_b32_f16 v110, v112, v110
	v_or_b32_e32 v114, v114, v123
	ds_load_u16 v127, v29 offset:52
	ds_load_u16 v112, v29 offset:56
	;; [unrolled: 1-line block ×3, first 2 shown]
	v_lshrrev_b16 v122, 8, v122
	v_pk_mul_f16 v106, v110, v106
	v_add_nc_u16 v110, 0xf800, v114
	s_wait_loadcnt 0x7
	v_ashrrev_i32_e32 v114, v23, v116
	s_wait_dscnt 0x4
	v_mul_u32_u24_e32 v125, 0x10001, v125
	v_or_b32_e32 v116, v126, v122
	s_wait_loadcnt 0x6
	v_mul_u32_u24_e32 v113, 0x10001, v113
	v_mul_u32_u24_e32 v108, 0x10001, v108
	v_and_b32_e32 v114, 0xf0f0f0f, v114
	v_pk_fma_f16 v111, v118, v125, v111
	v_add_nc_u16 v116, 0xf800, v116
	v_pk_fma_f16 v106, v106, v125, v107
	v_lshrrev_b32_e32 v107, 8, v110
	s_wait_dscnt 0x3
	v_mul_u32_u24_e32 v118, 0x10001, v124
	v_lshlrev_b16 v122, 8, v114
	v_lshrrev_b32_e32 v124, 8, v116
	v_lshrrev_b32_e32 v125, 16, v114
	v_bfe_i32 v110, v110, 0, 8
	v_bfe_i32 v107, v107, 0, 8
	;; [unrolled: 1-line block ×3, first 2 shown]
	v_add_nc_u16 v122, 0xf800, v122
	v_bfe_i32 v124, v124, 0, 8
	v_lshlrev_b16 v126, 8, v125
	v_cvt_f16_i16_e32 v110, v110
	v_cvt_f16_i16_e32 v107, v107
	;; [unrolled: 1-line block ×3, first 2 shown]
	v_and_b32_e32 v114, 0xf00, v114
	v_lshrrev_b16 v122, 8, v122
	v_cvt_f16_i16_e32 v124, v124
	v_add_nc_u16 v126, 0xf800, v126
	v_pack_b32_f16 v107, v110, v107
	s_wait_loadcnt 0x5
	v_ashrrev_i32_e32 v115, v23, v115
	v_or_b32_e32 v110, v114, v122
	v_pack_b32_f16 v114, v116, v124
	v_and_b32_e32 v116, 0xf00, v125
	v_lshrrev_b16 v122, 8, v126
	v_pk_mul_f16 v107, v107, v105
	v_and_b32_e32 v115, 0xf0f0f0f, v115
	v_pk_mul_f16 v105, v114, v105
	v_add_nc_u16 v110, 0xf800, v110
	v_or_b32_e32 v114, v116, v122
	v_pk_fma_f16 v107, v107, v118, v111
	v_lshrrev_b32_e32 v116, 16, v115
	v_lshlrev_b16 v122, 8, v115
	v_lshrrev_b32_e32 v111, 8, v110
	v_add_nc_u16 v114, 0xf800, v114
	v_bfe_i32 v110, v110, 0, 8
	v_lshlrev_b16 v125, 8, v116
	v_add_nc_u16 v122, 0xf800, v122
	v_bfe_i32 v111, v111, 0, 8
	v_lshrrev_b32_e32 v124, 8, v114
	v_bfe_i32 v114, v114, 0, 8
	v_add_nc_u16 v125, 0xf800, v125
	v_cvt_f16_i16_e32 v110, v110
	v_cvt_f16_i16_e32 v111, v111
	v_bfe_i32 v124, v124, 0, 8
	v_cvt_f16_i16_e32 v114, v114
	v_and_b32_e32 v115, 0xf00, v115
	v_lshrrev_b16 v122, 8, v122
	v_and_b32_e32 v116, 0xf00, v116
	v_cvt_f16_i16_e32 v124, v124
	v_lshrrev_b16 v125, 8, v125
	v_pack_b32_f16 v110, v110, v111
	v_or_b32_e32 v111, v115, v122
	v_pk_fma_f16 v105, v105, v118, v106
	v_pack_b32_f16 v114, v114, v124
	v_or_b32_e32 v115, v116, v125
	v_pk_mul_f16 v110, v110, v113
	v_add_nc_u16 v111, 0xf800, v111
	s_wait_dscnt 0x2
	v_mul_u32_u24_e32 v116, 0x10001, v127
	v_pk_mul_f16 v106, v114, v113
	v_add_nc_u16 v113, 0xf800, v115
	v_pk_fma_f16 v107, v110, v108, v107
	v_lshrrev_b32_e32 v110, 8, v111
	v_bfe_i32 v111, v111, 0, 8
	v_pk_fma_f16 v105, v106, v108, v105
	v_lshrrev_b32_e32 v106, 8, v113
	v_bfe_i32 v113, v113, 0, 8
	v_bfe_i32 v110, v110, 0, 8
	v_cvt_f16_i16_e32 v111, v111
	s_wait_loadcnt 0x4
	v_ashrrev_i32_e32 v108, v23, v119
	v_bfe_i32 v106, v106, 0, 8
	v_cvt_f16_i16_e32 v113, v113
	v_cvt_f16_i16_e32 v110, v110
	s_wait_loadcnt 0x3
	v_mul_u32_u24_e32 v114, 0x10001, v117
	v_and_b32_e32 v108, 0xf0f0f0f, v108
	v_cvt_f16_i16_e32 v106, v106
	s_wait_alu 0xfffd
	v_add_co_ci_u32_e64 v57, null, 0, v57, vcc_lo
	v_pack_b32_f16 v110, v111, v110
	v_lshrrev_b32_e32 v115, 16, v108
	v_lshlrev_b16 v111, 8, v108
	v_pack_b32_f16 v106, v113, v106
	s_wait_loadcnt 0x2
	v_ashrrev_i32_e32 v117, v23, v120
	v_pk_mul_f16 v110, v110, v114
	v_lshlrev_b16 v113, 8, v115
	v_add_nc_u16 v111, 0xf800, v111
	v_pk_mul_f16 v106, v106, v114
	v_and_b32_e32 v114, 0xf0f0f0f, v117
	v_and_b32_e32 v108, 0xf00, v108
	v_add_nc_u16 v113, 0xf800, v113
	v_lshrrev_b16 v111, 8, v111
	v_and_b32_e32 v115, 0xf00, v115
	v_pk_fma_f16 v107, v110, v116, v107
	v_lshrrev_b32_e32 v110, 16, v114
	v_lshrrev_b16 v113, 8, v113
	v_or_b32_e32 v108, v108, v111
	v_pk_fma_f16 v105, v106, v116, v105
	v_lshlrev_b16 v111, 8, v114
	v_add_co_u32 v58, vcc_lo, v58, s21
	v_or_b32_e32 v106, v115, v113
	v_lshlrev_b16 v113, 8, v110
	v_add_nc_u16 v108, 0xf800, v108
	v_add_nc_u16 v111, 0xf800, v111
	s_wait_alu 0xfffd
	v_add_co_ci_u32_e64 v59, null, 0, v59, vcc_lo
	v_add_nc_u16 v113, 0xf800, v113
	v_add_co_u32 v60, vcc_lo, v60, s21
	v_lshrrev_b32_e32 v115, 8, v108
	v_and_b32_e32 v114, 0xf00, v114
	v_lshrrev_b16 v111, 8, v111
	v_and_b32_e32 v110, 0xf00, v110
	v_lshrrev_b16 v113, 8, v113
	s_wait_alu 0xfffd
	v_add_co_ci_u32_e64 v61, null, 0, v61, vcc_lo
	v_add_co_u32 v62, vcc_lo, v62, s21
	s_wait_alu 0xfffd
	v_add_co_ci_u32_e64 v63, null, 0, v63, vcc_lo
	v_add_co_u32 v64, vcc_lo, v64, s21
	;; [unrolled: 3-line block ×3, first 2 shown]
	v_add_nc_u16 v106, 0xf800, v106
	v_bfe_i32 v108, v108, 0, 8
	v_bfe_i32 v115, v115, 0, 8
	v_or_b32_e32 v111, v114, v111
	v_or_b32_e32 v110, v110, v113
	s_wait_alu 0xfffd
	v_add_co_ci_u32_e64 v67, null, 0, v67, vcc_lo
	v_add_co_u32 v68, vcc_lo, v68, s21
	s_wait_alu 0xfffd
	v_add_co_ci_u32_e64 v69, null, 0, v69, vcc_lo
	v_add_co_u32 v70, vcc_lo, v70, s21
	v_cvt_f16_i16_e32 v108, v108
	v_lshrrev_b32_e32 v113, 8, v106
	v_cvt_f16_i16_e32 v114, v115
	v_add_nc_u16 v111, 0xf800, v111
	v_add_nc_u16 v110, 0xf800, v110
	s_wait_alu 0xfffd
	v_add_co_ci_u32_e64 v71, null, 0, v71, vcc_lo
	v_add_co_u32 v72, vcc_lo, v72, s21
	s_wait_alu 0xfffd
	v_add_co_ci_u32_e64 v73, null, 0, v73, vcc_lo
	v_add_co_u32 v74, vcc_lo, v74, s21
	s_wait_alu 0xfffd
	v_add_co_ci_u32_e64 v75, null, 0, v75, vcc_lo
	v_add_co_u32 v76, vcc_lo, v76, s21
	v_bfe_i32 v106, v106, 0, 8
	v_bfe_i32 v113, v113, 0, 8
	v_pack_b32_f16 v108, v108, v114
	v_lshrrev_b32_e32 v114, 8, v111
	v_lshrrev_b32_e32 v115, 8, v110
	s_wait_alu 0xfffd
	v_add_co_ci_u32_e64 v77, null, 0, v77, vcc_lo
	v_add_co_u32 v78, vcc_lo, v78, s21
	s_wait_alu 0xfffd
	v_add_co_ci_u32_e64 v79, null, 0, v79, vcc_lo
	v_add_co_u32 v80, vcc_lo, v80, s21
	v_cvt_f16_i16_e32 v106, v106
	v_cvt_f16_i16_e32 v113, v113
	v_bfe_i32 v111, v111, 0, 8
	v_bfe_i32 v114, v114, 0, 8
	;; [unrolled: 1-line block ×4, first 2 shown]
	s_wait_alu 0xfffd
	v_add_co_ci_u32_e64 v81, null, 0, v81, vcc_lo
	v_add_co_u32 v82, vcc_lo, v82, s21
	s_wait_alu 0xfffd
	v_add_co_ci_u32_e64 v83, null, 0, v83, vcc_lo
	v_add_co_u32 v84, vcc_lo, v84, s21
	;; [unrolled: 3-line block ×3, first 2 shown]
	s_wait_loadcnt 0x1
	v_mul_u32_u24_e32 v116, 0x10001, v121
	v_pack_b32_f16 v106, v106, v113
	v_cvt_f16_i16_e32 v111, v111
	v_cvt_f16_i16_e32 v113, v114
	;; [unrolled: 1-line block ×4, first 2 shown]
	s_wait_alu 0xfffd
	v_add_co_ci_u32_e64 v87, null, 0, v87, vcc_lo
	v_add_co_u32 v88, vcc_lo, v88, s21
	s_wait_alu 0xfffd
	v_add_co_ci_u32_e64 v89, null, 0, v89, vcc_lo
	v_add_co_u32 v90, vcc_lo, v90, s21
	s_wait_dscnt 0x1
	v_mul_u32_u24_e32 v112, 0x10001, v112
	v_pk_mul_f16 v108, v108, v116
	v_pk_mul_f16 v106, v106, v116
	s_wait_loadcnt 0x0
	v_mul_u32_u24_e32 v109, 0x10001, v109
	v_pack_b32_f16 v111, v111, v113
	v_pack_b32_f16 v110, v110, v114
	s_wait_alu 0xfffd
	v_add_co_ci_u32_e64 v91, null, 0, v91, vcc_lo
	v_add_co_u32 v92, vcc_lo, v92, s21
	s_wait_alu 0xfffd
	v_add_co_ci_u32_e64 v93, null, 0, v93, vcc_lo
	v_add_co_u32 v94, vcc_lo, v94, s21
	s_wait_alu 0xfffd
	v_add_co_ci_u32_e64 v95, null, 0, v95, vcc_lo
	v_add_co_u32 v96, vcc_lo, v96, s21
	v_pk_fma_f16 v107, v108, v112, v107
	v_pk_fma_f16 v105, v106, v112, v105
	s_wait_dscnt 0x0
	v_mul_u32_u24_e32 v108, 0x10001, v123
	v_pk_mul_f16 v106, v111, v109
	v_pk_mul_f16 v109, v110, v109
	s_wait_alu 0xfffd
	v_add_co_ci_u32_e64 v97, null, 0, v97, vcc_lo
	v_add_co_u32 v98, vcc_lo, v98, s21
	s_wait_alu 0xfffd
	v_add_co_ci_u32_e64 v99, null, 0, v99, vcc_lo
	v_add_co_u32 v100, vcc_lo, v100, s21
	v_pk_fma_f16 v106, v106, v108, v107
	v_pk_fma_f16 v105, v109, v108, v105
	s_wait_alu 0xfffd
	v_add_co_ci_u32_e64 v101, null, 0, v101, vcc_lo
	s_cbranch_scc1 .LBB0_26
; %bb.24:                               ;   in Loop: Header=BB0_19 Depth=1
	v_mov_b32_e32 v103, v102
	s_branch .LBB0_19
.LBB0_25:
	v_dual_mov_b32 v106, 0 :: v_dual_mov_b32 v105, 0
	v_mov_b32_e32 v102, 0xfeffffff
.LBB0_26:
	v_or_b32_e32 v0, s31, v14
	s_cmp_lg_u64 s[12:13], 0
	s_cselect_b32 s3, -1, 0
	s_delay_alu instid0(VALU_DEP_1)
	v_cmp_eq_u32_e32 vcc_lo, 0, v0
	s_wait_alu 0xfffe
	s_and_b32 s4, vcc_lo, s3
	s_wait_alu 0xfffe
	s_and_saveexec_b32 s3, s4
	s_cbranch_execz .LBB0_28
; %bb.27:
	s_lshl_b64 s[4:5], s[28:29], 2
	v_max_num_f32_e32 v0, v102, v102
	s_wait_alu 0xfffe
	s_add_nc_u64 s[4:5], s[12:13], s[4:5]
	s_load_b32 s4, s[4:5], 0x0
	s_wait_kmcnt 0x0
	v_max_num_f32_e64 v1, s4, s4
	s_delay_alu instid0(VALU_DEP_1) | instskip(NEXT) | instid1(VALU_DEP_1)
	v_max_num_f32_e32 v0, v0, v1
	v_sub_f32_e32 v1, v102, v0
	s_delay_alu instid0(VALU_DEP_1) | instskip(NEXT) | instid1(VALU_DEP_1)
	v_mul_f32_e32 v3, 0x3fb8aa3b, v1
	v_rndne_f32_e32 v6, v3
	v_fma_f32 v5, 0x3fb8aa3b, v1, -v3
	s_delay_alu instid0(VALU_DEP_2) | instskip(SKIP_1) | instid1(VALU_DEP_2)
	v_dual_sub_f32 v3, v3, v6 :: v_dual_sub_f32 v2, s4, v0
	v_mov_b32_e32 v102, v0
	v_mul_f32_e32 v4, 0x3fb8aa3b, v2
	s_delay_alu instid0(VALU_DEP_4) | instskip(SKIP_1) | instid1(VALU_DEP_3)
	v_fmac_f32_e32 v5, 0x32a5705f, v1
	v_cmp_ngt_f32_e32 vcc_lo, 0xc2ce8ed0, v1
	v_fma_f32 v7, 0x3fb8aa3b, v2, -v4
	v_rndne_f32_e32 v8, v4
	s_delay_alu instid0(VALU_DEP_1) | instskip(SKIP_3) | instid1(VALU_DEP_4)
	v_dual_fmac_f32 v7, 0x32a5705f, v2 :: v_dual_sub_f32 v4, v4, v8
	v_add_f32_e32 v3, v3, v5
	v_cvt_i32_f32_e32 v5, v6
	v_cvt_i32_f32_e32 v6, v8
	v_add_f32_e32 v4, v4, v7
	s_delay_alu instid0(VALU_DEP_4) | instskip(NEXT) | instid1(VALU_DEP_1)
	v_exp_f32_e32 v3, v3
	v_exp_f32_e32 v4, v4
	s_delay_alu instid0(TRANS32_DEP_2) | instskip(NEXT) | instid1(TRANS32_DEP_1)
	v_ldexp_f32 v3, v3, v5
	v_ldexp_f32 v4, v4, v6
	s_wait_alu 0xfffd
	s_delay_alu instid0(VALU_DEP_2)
	v_cndmask_b32_e32 v3, 0, v3, vcc_lo
	v_cmp_ngt_f32_e32 vcc_lo, 0xc2ce8ed0, v2
	s_wait_alu 0xfffd
	v_cndmask_b32_e32 v4, 0, v4, vcc_lo
	v_cmp_nlt_f32_e32 vcc_lo, 0x42b17218, v1
	s_wait_alu 0xfffd
	v_cndmask_b32_e32 v1, 0x7f800000, v3, vcc_lo
	v_cmp_nlt_f32_e32 vcc_lo, 0x42b17218, v2
	s_delay_alu instid0(VALU_DEP_2) | instskip(SKIP_4) | instid1(VALU_DEP_2)
	v_cvt_f16_f32_e32 v3, v1
	s_wait_alu 0xfffd
	v_cndmask_b32_e32 v2, 0x7f800000, v4, vcc_lo
	v_cmp_eq_u32_e32 vcc_lo, 0, v15
	s_wait_alu 0xfffd
	v_dual_cndmask_b32 v2, 0, v2 :: v_dual_and_b32 v3, 0xffff, v3
	s_delay_alu instid0(VALU_DEP_1) | instskip(NEXT) | instid1(VALU_DEP_2)
	v_fmac_f32_e32 v2, v21, v1
	v_mul_u32_u24_e32 v1, 0x10001, v3
	s_delay_alu instid0(VALU_DEP_2) | instskip(NEXT) | instid1(VALU_DEP_2)
	v_mov_b32_e32 v21, v2
	v_pk_mul_f16 v106, v106, v1
	v_pk_mul_f16 v105, v105, v1
.LBB0_28:
	s_wait_alu 0xfffe
	s_or_b32 exec_lo, exec_lo, s3
	s_and_saveexec_b32 s3, s2
; %bb.29:
	v_dual_mov_b32 v0, 0xfeffffff :: v_dual_mov_b32 v1, 0
	v_add_nc_u32_e32 v2, 0x400, v19
	ds_store_2addr_b32 v2, v0, v1 offset1:32
; %bb.30:
	s_wait_alu 0xfffe
	s_or_b32 exec_lo, exec_lo, s3
	v_cmp_eq_u32_e32 vcc_lo, 0, v15
	v_lshlrev_b32_e32 v3, 2, v14
	s_wait_loadcnt_dscnt 0x0
	s_barrier_signal -1
	s_barrier_wait -1
	global_inv scope:SCOPE_SE
	s_and_saveexec_b32 s2, vcc_lo
; %bb.31:
	ds_store_b32 v3, v102 offset:1024
; %bb.32:
	s_wait_alu 0xfffe
	s_or_b32 exec_lo, exec_lo, s2
	s_wait_loadcnt_dscnt 0x0
	s_barrier_signal -1
	s_barrier_wait -1
	global_inv scope:SCOPE_SE
	ds_load_b32 v0, v19 offset:1024
	v_xor_b32_e32 v1, 16, v20
	v_xor_b32_e32 v2, 8, v20
	s_delay_alu instid0(VALU_DEP_2) | instskip(SKIP_1) | instid1(VALU_DEP_1)
	v_cmp_gt_i32_e64 s2, 32, v1
	s_wait_alu 0xf1ff
	v_cndmask_b32_e64 v1, v20, v1, s2
	s_delay_alu instid0(VALU_DEP_3) | instskip(NEXT) | instid1(VALU_DEP_2)
	v_cmp_gt_i32_e64 s2, 32, v2
	v_lshlrev_b32_e32 v5, 2, v1
	s_wait_alu 0xf1ff
	s_delay_alu instid0(VALU_DEP_2)
	v_cndmask_b32_e64 v2, v20, v2, s2
	s_wait_dscnt 0x0
	ds_bpermute_b32 v1, v5, v0
	v_max_num_f32_e32 v0, v0, v0
	v_lshlrev_b32_e32 v6, 2, v2
	v_xor_b32_e32 v2, 4, v20
	s_delay_alu instid0(VALU_DEP_1) | instskip(SKIP_1) | instid1(VALU_DEP_1)
	v_cmp_gt_i32_e64 s2, 32, v2
	s_wait_alu 0xf1ff
	v_cndmask_b32_e64 v2, v20, v2, s2
	s_delay_alu instid0(VALU_DEP_1) | instskip(SKIP_3) | instid1(VALU_DEP_2)
	v_lshlrev_b32_e32 v7, 2, v2
	v_xor_b32_e32 v2, 2, v20
	s_wait_dscnt 0x0
	v_max_num_f32_e32 v1, v1, v1
	v_cmp_gt_i32_e64 s2, 32, v2
	s_delay_alu instid0(VALU_DEP_2) | instskip(SKIP_1) | instid1(VALU_DEP_2)
	v_max_num_f32_e32 v0, v0, v1
	s_wait_alu 0xf1ff
	v_cndmask_b32_e64 v2, v20, v2, s2
	ds_bpermute_b32 v1, v6, v0
	v_lshlrev_b32_e32 v4, 2, v2
	v_xor_b32_e32 v2, 1, v20
	s_delay_alu instid0(VALU_DEP_1) | instskip(SKIP_1) | instid1(VALU_DEP_1)
	v_cmp_gt_i32_e64 s2, 32, v2
	s_wait_alu 0xf1ff
	v_cndmask_b32_e64 v2, v20, v2, s2
	s_wait_dscnt 0x0
	s_delay_alu instid0(VALU_DEP_1) | instskip(NEXT) | instid1(VALU_DEP_1)
	v_dual_max_num_f32 v1, v1, v1 :: v_dual_lshlrev_b32 v2, 2, v2
	v_max_num_f32_e32 v0, v0, v1
	ds_bpermute_b32 v1, v7, v0
	s_wait_dscnt 0x0
	v_max_num_f32_e32 v1, v1, v1
	s_delay_alu instid0(VALU_DEP_1) | instskip(SKIP_3) | instid1(VALU_DEP_1)
	v_max_num_f32_e32 v0, v0, v1
	ds_bpermute_b32 v1, v4, v0
	s_wait_dscnt 0x0
	v_max_num_f32_e32 v1, v1, v1
	v_max_num_f32_e32 v0, v0, v1
	ds_bpermute_b32 v1, v2, v0
	s_wait_dscnt 0x0
	v_max_num_f32_e32 v1, v1, v1
	s_delay_alu instid0(VALU_DEP_1) | instskip(NEXT) | instid1(VALU_DEP_1)
	v_max_num_f32_e32 v0, v0, v1
	v_sub_f32_e32 v1, v102, v0
	s_delay_alu instid0(VALU_DEP_1) | instskip(NEXT) | instid1(VALU_DEP_1)
	v_mul_f32_e32 v8, 0x3fb8aa3b, v1
	v_fma_f32 v9, 0x3fb8aa3b, v1, -v8
	v_rndne_f32_e32 v10, v8
	s_delay_alu instid0(VALU_DEP_1) | instskip(NEXT) | instid1(VALU_DEP_1)
	v_dual_fmamk_f32 v9, v1, 0x32a5705f, v9 :: v_dual_sub_f32 v8, v8, v10
	v_add_f32_e32 v8, v8, v9
	v_cvt_i32_f32_e32 v9, v10
	v_cmp_ngt_f32_e64 s2, 0xc2ce8ed0, v1
	s_delay_alu instid0(VALU_DEP_3) | instskip(NEXT) | instid1(TRANS32_DEP_1)
	v_exp_f32_e32 v8, v8
	v_ldexp_f32 v8, v8, v9
	s_wait_alu 0xf1ff
	s_delay_alu instid0(VALU_DEP_1) | instskip(SKIP_2) | instid1(VALU_DEP_1)
	v_cndmask_b32_e64 v8, 0, v8, s2
	v_cmp_nlt_f32_e64 s2, 0x42b17218, v1
	s_wait_alu 0xf1ff
	v_cndmask_b32_e64 v1, 0x7f800000, v8, s2
	s_delay_alu instid0(VALU_DEP_1)
	v_mul_f32_e32 v8, v21, v1
	ds_bpermute_b32 v8, v5, v8
	s_wait_dscnt 0x0
	v_fmac_f32_e32 v8, v21, v1
	v_cvt_f16_f32_e32 v1, v1
	ds_bpermute_b32 v9, v6, v8
	v_and_b32_e32 v1, 0xffff, v1
	s_delay_alu instid0(VALU_DEP_1)
	v_mul_u32_u24_e32 v1, 0x10001, v1
	s_wait_dscnt 0x0
	v_add_f32_e32 v8, v8, v9
	ds_bpermute_b32 v9, v7, v8
	s_wait_dscnt 0x0
	v_add_f32_e32 v8, v8, v9
	ds_bpermute_b32 v9, v4, v8
	s_wait_dscnt 0x0
	v_add_f32_e32 v10, v8, v9
	v_lshlrev_b32_e32 v8, 3, v15
	ds_bpermute_b32 v11, v2, v10
	v_and_b32_e32 v9, 0x380, v8
	s_delay_alu instid0(VALU_DEP_1) | instskip(NEXT) | instid1(VALU_DEP_1)
	v_lshl_add_u32 v9, v14, 8, v9
	v_and_or_b32 v12, 0x78, v8, v9
	v_pk_mul_f16 v8, v106, v1
	v_pk_mul_f16 v9, v105, v1
	ds_store_b64 v12, v[8:9]
	s_wait_dscnt 0x1
	v_add_f32_e32 v1, v10, v11
	s_and_saveexec_b32 s2, vcc_lo
; %bb.33:
	ds_store_b32 v3, v1 offset:1152
; %bb.34:
	s_wait_alu 0xfffe
	s_or_b32 exec_lo, exec_lo, s2
	s_wait_loadcnt_dscnt 0x0
	s_barrier_signal -1
	s_barrier_wait -1
	global_inv scope:SCOPE_SE
	s_load_b32 s1, s[0:1], 0xd4
	s_mul_i32 s0, s26, s24
	s_mov_b32 s2, exec_lo
	s_add_co_i32 s0, s0, ttmp9
	s_delay_alu instid0(SALU_CYCLE_1) | instskip(NEXT) | instid1(SALU_CYCLE_1)
	s_mul_i32 s0, s0, s25
	s_add_co_i32 s0, s0, s28
	s_wait_kmcnt 0x0
	s_mul_i32 s0, s1, s0
	v_cmpx_gt_u32_e32 64, v17
	s_cbranch_execz .LBB0_36
; %bb.35:
	ds_load_b32 v1, v19 offset:1152
	s_add_co_i32 s3, s0, s31
	s_cmp_eq_u32 s1, 1
	s_wait_dscnt 0x0
	ds_bpermute_b32 v3, v5, v1
	s_wait_dscnt 0x0
	v_add_f32_e32 v1, v1, v3
	ds_bpermute_b32 v3, v6, v1
	s_wait_dscnt 0x0
	v_add_f32_e32 v1, v1, v3
	ds_bpermute_b32 v3, v7, v1
	ds_load_u16 v5, v18
	ds_load_u16 v6, v18 offset:128
	ds_load_u16 v7, v18 offset:256
	s_wait_dscnt 0x2
	v_cvt_f32_f16_e32 v5, v5
	v_add_f32_e32 v1, v1, v3
	ds_load_u16 v3, v18 offset:384
	ds_load_u16 v8, v18 offset:512
	;; [unrolled: 1-line block ×5, first 2 shown]
	s_wait_dscnt 0x6
	v_cvt_f32_f16_e32 v6, v6
	v_add_f32_e32 v5, 0, v5
	ds_bpermute_b32 v4, v4, v1
	s_wait_dscnt 0x6
	v_cvt_f32_f16_e32 v7, v7
	v_add_f32_e32 v5, v5, v6
	s_delay_alu instid0(VALU_DEP_1)
	v_add_f32_e32 v5, v5, v7
	s_wait_dscnt 0x5
	v_cvt_f32_f16_e32 v3, v3
	s_wait_dscnt 0x0
	v_add_f32_e32 v1, v1, v4
	v_cvt_f32_f16_e32 v4, v8
	s_delay_alu instid0(VALU_DEP_3) | instskip(SKIP_4) | instid1(VALU_DEP_2)
	v_add_f32_e32 v3, v5, v3
	v_cvt_f32_f16_e32 v5, v9
	ds_bpermute_b32 v2, v2, v1
	v_add_f32_e32 v3, v3, v4
	v_cvt_f32_f16_e32 v4, v10
	v_add_f32_e32 v3, v3, v5
	v_cvt_f32_f16_e32 v5, v11
	s_delay_alu instid0(VALU_DEP_2) | instskip(SKIP_1) | instid1(VALU_DEP_1)
	v_add_f32_e32 v3, v3, v4
	s_wait_dscnt 0x0
	v_dual_add_f32 v4, v3, v5 :: v_dual_add_f32 v1, v1, v2
	s_delay_alu instid0(VALU_DEP_1) | instskip(SKIP_1) | instid1(VALU_DEP_2)
	v_div_scale_f32 v2, null, v1, v1, v4
	v_div_scale_f32 v6, vcc_lo, v4, v1, v4
	v_rcp_f32_e32 v5, v2
	s_delay_alu instid0(TRANS32_DEP_1) | instskip(NEXT) | instid1(VALU_DEP_1)
	v_fma_f32 v3, -v2, v5, 1.0
	v_fmac_f32_e32 v5, v3, v5
	s_delay_alu instid0(VALU_DEP_1) | instskip(NEXT) | instid1(VALU_DEP_1)
	v_mul_f32_e32 v7, v6, v5
	v_fma_f32 v3, -v2, v7, v6
	s_delay_alu instid0(VALU_DEP_1) | instskip(SKIP_1) | instid1(VALU_DEP_2)
	v_fmac_f32_e32 v7, v3, v5
	v_mov_b32_e32 v3, 0
	v_fma_f32 v6, -v2, v7, v6
	s_wait_alu 0xfffe
	v_lshl_or_b32 v2, s3, 6, v17
	s_wait_alu 0xfffd
	s_delay_alu instid0(VALU_DEP_2) | instskip(NEXT) | instid1(VALU_DEP_2)
	v_div_fmas_f32 v5, v6, v5, v7
	v_lshlrev_b64_e32 v[2:3], 2, v[2:3]
	s_delay_alu instid0(VALU_DEP_2) | instskip(NEXT) | instid1(VALU_DEP_2)
	v_div_fixup_f32 v5, v5, v1, v4
	v_add_co_u32 v2, vcc_lo, s16, v2
	s_wait_alu 0xfffd
	s_delay_alu instid0(VALU_DEP_3)
	v_add_co_ci_u32_e64 v3, null, s17, v3, vcc_lo
	s_cselect_b32 vcc_lo, -1, 0
	s_wait_alu 0xfffe
	v_cndmask_b32_e32 v4, v4, v5, vcc_lo
	global_store_b32 v[2:3], v4, off
.LBB0_36:
	s_wait_alu 0xfffe
	s_or_b32 exec_lo, exec_lo, s2
	v_cmp_eq_u32_e32 vcc_lo, 0, v17
	s_cmp_lg_u32 s1, 1
	s_mov_b32 s1, 0
	s_cselect_b32 s2, -1, 0
	s_wait_alu 0xfffe
	s_and_b32 s2, vcc_lo, s2
	s_wait_alu 0xfffe
	s_and_saveexec_b32 s3, s2
	s_cbranch_execz .LBB0_38
; %bb.37:
	s_add_co_i32 s0, s0, s31
	v_mov_b32_e32 v2, 0
	s_lshl_b64 s[0:1], s[0:1], 3
	s_delay_alu instid0(SALU_CYCLE_1)
	s_add_nc_u64 s[0:1], s[18:19], s[0:1]
	global_store_b64 v2, v[0:1], s[0:1]
.LBB0_38:
	s_nop 0
	s_sendmsg sendmsg(MSG_DEALLOC_VGPRS)
	s_endpgm
	.section	.rodata,"a",@progbits
	.p2align	6, 0x0
	.amdhsa_kernel _ZL18flash_attn_ext_vecILi64ELi1EL9ggml_type3ELS0_2ELb0EEvPKcS2_S2_S2_S2_PKiPfP15HIP_vector_typeIfLj2EEffffjfiS6_IjLj3EEiiiiiiiiiiiliiliiiiil
		.amdhsa_group_segment_fixed_size 1280
		.amdhsa_private_segment_fixed_size 0
		.amdhsa_kernarg_size 464
		.amdhsa_user_sgpr_count 2
		.amdhsa_user_sgpr_dispatch_ptr 0
		.amdhsa_user_sgpr_queue_ptr 0
		.amdhsa_user_sgpr_kernarg_segment_ptr 1
		.amdhsa_user_sgpr_dispatch_id 0
		.amdhsa_user_sgpr_private_segment_size 0
		.amdhsa_wavefront_size32 1
		.amdhsa_uses_dynamic_stack 0
		.amdhsa_enable_private_segment 0
		.amdhsa_system_sgpr_workgroup_id_x 1
		.amdhsa_system_sgpr_workgroup_id_y 1
		.amdhsa_system_sgpr_workgroup_id_z 1
		.amdhsa_system_sgpr_workgroup_info 0
		.amdhsa_system_vgpr_workitem_id 1
		.amdhsa_next_free_vgpr 136
		.amdhsa_next_free_sgpr 51
		.amdhsa_reserve_vcc 1
		.amdhsa_float_round_mode_32 0
		.amdhsa_float_round_mode_16_64 0
		.amdhsa_float_denorm_mode_32 3
		.amdhsa_float_denorm_mode_16_64 3
		.amdhsa_fp16_overflow 0
		.amdhsa_workgroup_processor_mode 1
		.amdhsa_memory_ordered 1
		.amdhsa_forward_progress 1
		.amdhsa_inst_pref_size 123
		.amdhsa_round_robin_scheduling 0
		.amdhsa_exception_fp_ieee_invalid_op 0
		.amdhsa_exception_fp_denorm_src 0
		.amdhsa_exception_fp_ieee_div_zero 0
		.amdhsa_exception_fp_ieee_overflow 0
		.amdhsa_exception_fp_ieee_underflow 0
		.amdhsa_exception_fp_ieee_inexact 0
		.amdhsa_exception_int_div_zero 0
	.end_amdhsa_kernel
	.section	.text._ZL18flash_attn_ext_vecILi64ELi1EL9ggml_type3ELS0_2ELb0EEvPKcS2_S2_S2_S2_PKiPfP15HIP_vector_typeIfLj2EEffffjfiS6_IjLj3EEiiiiiiiiiiiliiliiiiil,"axG",@progbits,_ZL18flash_attn_ext_vecILi64ELi1EL9ggml_type3ELS0_2ELb0EEvPKcS2_S2_S2_S2_PKiPfP15HIP_vector_typeIfLj2EEffffjfiS6_IjLj3EEiiiiiiiiiiiliiliiiiil,comdat
.Lfunc_end0:
	.size	_ZL18flash_attn_ext_vecILi64ELi1EL9ggml_type3ELS0_2ELb0EEvPKcS2_S2_S2_S2_PKiPfP15HIP_vector_typeIfLj2EEffffjfiS6_IjLj3EEiiiiiiiiiiiliiliiiiil, .Lfunc_end0-_ZL18flash_attn_ext_vecILi64ELi1EL9ggml_type3ELS0_2ELb0EEvPKcS2_S2_S2_S2_PKiPfP15HIP_vector_typeIfLj2EEffffjfiS6_IjLj3EEiiiiiiiiiiiliiliiiiil
                                        ; -- End function
	.set _ZL18flash_attn_ext_vecILi64ELi1EL9ggml_type3ELS0_2ELb0EEvPKcS2_S2_S2_S2_PKiPfP15HIP_vector_typeIfLj2EEffffjfiS6_IjLj3EEiiiiiiiiiiiliiliiiiil.num_vgpr, 136
	.set _ZL18flash_attn_ext_vecILi64ELi1EL9ggml_type3ELS0_2ELb0EEvPKcS2_S2_S2_S2_PKiPfP15HIP_vector_typeIfLj2EEffffjfiS6_IjLj3EEiiiiiiiiiiiliiliiiiil.num_agpr, 0
	.set _ZL18flash_attn_ext_vecILi64ELi1EL9ggml_type3ELS0_2ELb0EEvPKcS2_S2_S2_S2_PKiPfP15HIP_vector_typeIfLj2EEffffjfiS6_IjLj3EEiiiiiiiiiiiliiliiiiil.numbered_sgpr, 51
	.set _ZL18flash_attn_ext_vecILi64ELi1EL9ggml_type3ELS0_2ELb0EEvPKcS2_S2_S2_S2_PKiPfP15HIP_vector_typeIfLj2EEffffjfiS6_IjLj3EEiiiiiiiiiiiliiliiiiil.num_named_barrier, 0
	.set _ZL18flash_attn_ext_vecILi64ELi1EL9ggml_type3ELS0_2ELb0EEvPKcS2_S2_S2_S2_PKiPfP15HIP_vector_typeIfLj2EEffffjfiS6_IjLj3EEiiiiiiiiiiiliiliiiiil.private_seg_size, 0
	.set _ZL18flash_attn_ext_vecILi64ELi1EL9ggml_type3ELS0_2ELb0EEvPKcS2_S2_S2_S2_PKiPfP15HIP_vector_typeIfLj2EEffffjfiS6_IjLj3EEiiiiiiiiiiiliiliiiiil.uses_vcc, 1
	.set _ZL18flash_attn_ext_vecILi64ELi1EL9ggml_type3ELS0_2ELb0EEvPKcS2_S2_S2_S2_PKiPfP15HIP_vector_typeIfLj2EEffffjfiS6_IjLj3EEiiiiiiiiiiiliiliiiiil.uses_flat_scratch, 0
	.set _ZL18flash_attn_ext_vecILi64ELi1EL9ggml_type3ELS0_2ELb0EEvPKcS2_S2_S2_S2_PKiPfP15HIP_vector_typeIfLj2EEffffjfiS6_IjLj3EEiiiiiiiiiiiliiliiiiil.has_dyn_sized_stack, 0
	.set _ZL18flash_attn_ext_vecILi64ELi1EL9ggml_type3ELS0_2ELb0EEvPKcS2_S2_S2_S2_PKiPfP15HIP_vector_typeIfLj2EEffffjfiS6_IjLj3EEiiiiiiiiiiiliiliiiiil.has_recursion, 0
	.set _ZL18flash_attn_ext_vecILi64ELi1EL9ggml_type3ELS0_2ELb0EEvPKcS2_S2_S2_S2_PKiPfP15HIP_vector_typeIfLj2EEffffjfiS6_IjLj3EEiiiiiiiiiiiliiliiiiil.has_indirect_call, 0
	.section	.AMDGPU.csdata,"",@progbits
; Kernel info:
; codeLenInByte = 15708
; TotalNumSgprs: 53
; NumVgprs: 136
; ScratchSize: 0
; MemoryBound: 0
; FloatMode: 240
; IeeeMode: 1
; LDSByteSize: 1280 bytes/workgroup (compile time only)
; SGPRBlocks: 0
; VGPRBlocks: 16
; NumSGPRsForWavesPerEU: 53
; NumVGPRsForWavesPerEU: 136
; Occupancy: 10
; WaveLimiterHint : 0
; COMPUTE_PGM_RSRC2:SCRATCH_EN: 0
; COMPUTE_PGM_RSRC2:USER_SGPR: 2
; COMPUTE_PGM_RSRC2:TRAP_HANDLER: 0
; COMPUTE_PGM_RSRC2:TGID_X_EN: 1
; COMPUTE_PGM_RSRC2:TGID_Y_EN: 1
; COMPUTE_PGM_RSRC2:TGID_Z_EN: 1
; COMPUTE_PGM_RSRC2:TIDIG_COMP_CNT: 1
	.section	.text._ZL25flash_attn_mask_to_KV_maxILi1EEvPK7__half2Piiii,"axG",@progbits,_ZL25flash_attn_mask_to_KV_maxILi1EEvPK7__half2Piiii,comdat
	.globl	_ZL25flash_attn_mask_to_KV_maxILi1EEvPK7__half2Piiii ; -- Begin function _ZL25flash_attn_mask_to_KV_maxILi1EEvPK7__half2Piiii
	.p2align	8
	.type	_ZL25flash_attn_mask_to_KV_maxILi1EEvPK7__half2Piiii,@function
_ZL25flash_attn_mask_to_KV_maxILi1EEvPK7__half2Piiii: ; @_ZL25flash_attn_mask_to_KV_maxILi1EEvPK7__half2Piiii
; %bb.0:
	s_load_b64 s[4:5], s[0:1], 0x0
	s_mov_b32 s2, exec_lo
	v_cmpx_gt_u32_e32 32, v0
; %bb.1:
	v_dual_mov_b32 v2, 1 :: v_dual_lshlrev_b32 v1, 2, v0
	ds_store_b32 v1, v2
; %bb.2:
	s_or_b32 exec_lo, exec_lo, s2
	s_clause 0x2
	s_load_b96 s[8:10], s[0:1], 0x10
	s_load_b64 s[2:3], s[0:1], 0x8
	s_load_b32 s1, s[0:1], 0x20
	v_dual_mov_b32 v2, 0 :: v_dual_and_b32 v1, 31, v0
	v_lshrrev_b32_e32 v3, 3, v0
	s_wait_dscnt 0x0
	s_barrier_signal -1
	s_delay_alu instid0(VALU_DEP_2)
	v_lshlrev_b32_e32 v4, 2, v1
	s_barrier_wait -1
	global_inv scope:SCOPE_SE
	s_wait_kmcnt 0x0
	s_mul_i32 s0, s10, ttmp7
	s_mul_i32 s6, s9, ttmp9
	s_delay_alu instid0(SALU_CYCLE_1) | instskip(SKIP_2) | instid1(SALU_CYCLE_1)
	s_add_co_i32 s6, s0, s6
	v_cmp_eq_u32_e64 s0, 0, v1
	s_ashr_i32 s7, s6, 31
	s_lshl_b64 s[6:7], s[6:7], 2
	s_delay_alu instid0(SALU_CYCLE_1)
	s_add_nc_u64 s[4:5], s[4:5], s[6:7]
	s_lshl_b32 s7, s8, 8
	s_branch .LBB1_4
.LBB1_3:                                ;   in Loop: Header=BB1_4 Depth=1
	s_wait_alu 0xfffe
	s_or_b32 exec_lo, exec_lo, s9
	s_wait_dscnt 0x0
	s_barrier_signal -1
	s_barrier_wait -1
	global_inv scope:SCOPE_SE
	ds_load_b32 v1, v4
	s_wait_loadcnt_dscnt 0x0
	s_barrier_signal -1
	s_barrier_wait -1
	global_inv scope:SCOPE_SE
	v_cmp_ne_u32_e32 vcc_lo, 0, v1
	s_cmp_lg_u32 vcc_lo, exec_lo
	s_cselect_b32 s8, -1, 0
	s_wait_alu 0xfffe
	s_and_b32 vcc_lo, exec_lo, s8
	s_wait_alu 0xfffe
	s_cbranch_vccnz .LBB1_8
.LBB1_4:                                ; =>This Inner Loop Header: Depth=1
	s_mov_b32 s6, s7
	s_addk_co_i32 s7, 0xff00
	s_delay_alu instid0(SALU_CYCLE_1)
	s_cmp_lt_i32 s7, 0
	s_cbranch_scc1 .LBB1_7
; %bb.5:                                ;   in Loop: Header=BB1_4 Depth=1
	s_lshr_b32 s9, s7, 1
	s_mov_b32 s8, exec_lo
	s_wait_alu 0xfffe
	v_add_nc_u32_e32 v1, s9, v0
	s_delay_alu instid0(VALU_DEP_1) | instskip(NEXT) | instid1(VALU_DEP_1)
	v_lshlrev_b64_e32 v[5:6], 2, v[1:2]
	v_add_co_u32 v5, vcc_lo, s4, v5
	s_wait_alu 0xfffd
	s_delay_alu instid0(VALU_DEP_2) | instskip(SKIP_4) | instid1(VALU_DEP_2)
	v_add_co_ci_u32_e64 v6, null, s5, v6, vcc_lo
	global_load_b32 v1, v[5:6], off
	s_wait_loadcnt 0x0
	v_lshrrev_b32_e32 v5, 16, v1
	v_cmp_class_f16_e64 s9, v1, 0x204
	v_cmp_class_f16_e64 s10, v5, 0x204
	s_and_b32 s9, s9, s10
	s_wait_alu 0xfffe
	v_cndmask_b32_e64 v1, 0, 1, s9
	s_delay_alu instid0(VALU_DEP_1)
	v_cmp_ne_u32_e32 vcc_lo, 0, v1
	s_and_saveexec_b32 s9, s0
	s_cbranch_execz .LBB1_3
; %bb.6:                                ;   in Loop: Header=BB1_4 Depth=1
	s_cmp_eq_u32 vcc_lo, s8
	s_cselect_b32 s8, -1, 0
	s_wait_alu 0xfffe
	v_cndmask_b32_e64 v1, 0, 1, s8
	ds_store_b32 v3, v1
	s_branch .LBB1_3
.LBB1_7:                                ;   in Loop: Header=BB1_4 Depth=1
	s_cbranch_execz .LBB1_4
.LBB1_8:
	s_mov_b32 s0, exec_lo
	v_cmpx_eq_u32_e32 0, v0
	s_cbranch_execz .LBB1_10
; %bb.9:
	s_mul_i32 s0, s1, ttmp7
	v_dual_mov_b32 v0, 0 :: v_dual_mov_b32 v1, s6
	s_add_co_i32 s0, s0, ttmp9
	s_delay_alu instid0(SALU_CYCLE_1) | instskip(NEXT) | instid1(SALU_CYCLE_1)
	s_ashr_i32 s1, s0, 31
	s_lshl_b64 s[0:1], s[0:1], 2
	s_delay_alu instid0(SALU_CYCLE_1)
	s_add_nc_u64 s[0:1], s[2:3], s[0:1]
	global_store_b32 v0, v1, s[0:1]
.LBB1_10:
	s_endpgm
	.section	.rodata,"a",@progbits
	.p2align	6, 0x0
	.amdhsa_kernel _ZL25flash_attn_mask_to_KV_maxILi1EEvPK7__half2Piiii
		.amdhsa_group_segment_fixed_size 128
		.amdhsa_private_segment_fixed_size 0
		.amdhsa_kernarg_size 288
		.amdhsa_user_sgpr_count 2
		.amdhsa_user_sgpr_dispatch_ptr 0
		.amdhsa_user_sgpr_queue_ptr 0
		.amdhsa_user_sgpr_kernarg_segment_ptr 1
		.amdhsa_user_sgpr_dispatch_id 0
		.amdhsa_user_sgpr_private_segment_size 0
		.amdhsa_wavefront_size32 1
		.amdhsa_uses_dynamic_stack 0
		.amdhsa_enable_private_segment 0
		.amdhsa_system_sgpr_workgroup_id_x 1
		.amdhsa_system_sgpr_workgroup_id_y 1
		.amdhsa_system_sgpr_workgroup_id_z 0
		.amdhsa_system_sgpr_workgroup_info 0
		.amdhsa_system_vgpr_workitem_id 0
		.amdhsa_next_free_vgpr 7
		.amdhsa_next_free_sgpr 11
		.amdhsa_reserve_vcc 1
		.amdhsa_float_round_mode_32 0
		.amdhsa_float_round_mode_16_64 0
		.amdhsa_float_denorm_mode_32 3
		.amdhsa_float_denorm_mode_16_64 3
		.amdhsa_fp16_overflow 0
		.amdhsa_workgroup_processor_mode 1
		.amdhsa_memory_ordered 1
		.amdhsa_forward_progress 1
		.amdhsa_inst_pref_size 4
		.amdhsa_round_robin_scheduling 0
		.amdhsa_exception_fp_ieee_invalid_op 0
		.amdhsa_exception_fp_denorm_src 0
		.amdhsa_exception_fp_ieee_div_zero 0
		.amdhsa_exception_fp_ieee_overflow 0
		.amdhsa_exception_fp_ieee_underflow 0
		.amdhsa_exception_fp_ieee_inexact 0
		.amdhsa_exception_int_div_zero 0
	.end_amdhsa_kernel
	.section	.text._ZL25flash_attn_mask_to_KV_maxILi1EEvPK7__half2Piiii,"axG",@progbits,_ZL25flash_attn_mask_to_KV_maxILi1EEvPK7__half2Piiii,comdat
.Lfunc_end1:
	.size	_ZL25flash_attn_mask_to_KV_maxILi1EEvPK7__half2Piiii, .Lfunc_end1-_ZL25flash_attn_mask_to_KV_maxILi1EEvPK7__half2Piiii
                                        ; -- End function
	.set _ZL25flash_attn_mask_to_KV_maxILi1EEvPK7__half2Piiii.num_vgpr, 7
	.set _ZL25flash_attn_mask_to_KV_maxILi1EEvPK7__half2Piiii.num_agpr, 0
	.set _ZL25flash_attn_mask_to_KV_maxILi1EEvPK7__half2Piiii.numbered_sgpr, 11
	.set _ZL25flash_attn_mask_to_KV_maxILi1EEvPK7__half2Piiii.num_named_barrier, 0
	.set _ZL25flash_attn_mask_to_KV_maxILi1EEvPK7__half2Piiii.private_seg_size, 0
	.set _ZL25flash_attn_mask_to_KV_maxILi1EEvPK7__half2Piiii.uses_vcc, 1
	.set _ZL25flash_attn_mask_to_KV_maxILi1EEvPK7__half2Piiii.uses_flat_scratch, 0
	.set _ZL25flash_attn_mask_to_KV_maxILi1EEvPK7__half2Piiii.has_dyn_sized_stack, 0
	.set _ZL25flash_attn_mask_to_KV_maxILi1EEvPK7__half2Piiii.has_recursion, 0
	.set _ZL25flash_attn_mask_to_KV_maxILi1EEvPK7__half2Piiii.has_indirect_call, 0
	.section	.AMDGPU.csdata,"",@progbits
; Kernel info:
; codeLenInByte = 496
; TotalNumSgprs: 13
; NumVgprs: 7
; ScratchSize: 0
; MemoryBound: 0
; FloatMode: 240
; IeeeMode: 1
; LDSByteSize: 128 bytes/workgroup (compile time only)
; SGPRBlocks: 0
; VGPRBlocks: 0
; NumSGPRsForWavesPerEU: 13
; NumVGPRsForWavesPerEU: 7
; Occupancy: 16
; WaveLimiterHint : 0
; COMPUTE_PGM_RSRC2:SCRATCH_EN: 0
; COMPUTE_PGM_RSRC2:USER_SGPR: 2
; COMPUTE_PGM_RSRC2:TRAP_HANDLER: 0
; COMPUTE_PGM_RSRC2:TGID_X_EN: 1
; COMPUTE_PGM_RSRC2:TGID_Y_EN: 1
; COMPUTE_PGM_RSRC2:TGID_Z_EN: 0
; COMPUTE_PGM_RSRC2:TIDIG_COMP_CNT: 0
	.section	.text._ZL33flash_attn_stream_k_fixup_uniformILi64ELi1ELi1EEvPfPK15HIP_vector_typeIfLj2EEiiiiiiS1_IjLj3EES5_S5_,"axG",@progbits,_ZL33flash_attn_stream_k_fixup_uniformILi64ELi1ELi1EEvPfPK15HIP_vector_typeIfLj2EEiiiiiiS1_IjLj3EES5_S5_,comdat
	.globl	_ZL33flash_attn_stream_k_fixup_uniformILi64ELi1ELi1EEvPfPK15HIP_vector_typeIfLj2EEiiiiiiS1_IjLj3EES5_S5_ ; -- Begin function _ZL33flash_attn_stream_k_fixup_uniformILi64ELi1ELi1EEvPfPK15HIP_vector_typeIfLj2EEiiiiiiS1_IjLj3EES5_S5_
	.p2align	8
	.type	_ZL33flash_attn_stream_k_fixup_uniformILi64ELi1ELi1EEvPfPK15HIP_vector_typeIfLj2EEiiiiiiS1_IjLj3EES5_S5_,@function
_ZL33flash_attn_stream_k_fixup_uniformILi64ELi1ELi1EEvPfPK15HIP_vector_typeIfLj2EEiiiiiiS1_IjLj3EES5_S5_: ; @_ZL33flash_attn_stream_k_fixup_uniformILi64ELi1ELi1EEvPfPK15HIP_vector_typeIfLj2EEiiiiiiS1_IjLj3EES5_S5_
; %bb.0:
	s_clause 0x1
	s_load_b256 s[4:11], s[0:1], 0x1c
	s_load_b128 s[16:19], s[0:1], 0x3c
	s_wait_kmcnt 0x0
	s_mul_hi_u32 s2, s7, ttmp9
	s_and_b32 s7, ttmp7, 0xffff
	s_add_co_i32 s2, ttmp9, s2
	s_delay_alu instid0(SALU_CYCLE_1) | instskip(NEXT) | instid1(SALU_CYCLE_1)
	s_lshr_b32 s12, s2, s8
	s_mul_i32 s2, s12, s9
	s_load_b64 s[8:9], s[0:1], 0x10
	s_sub_co_i32 s2, ttmp9, s2
	s_delay_alu instid0(SALU_CYCLE_1) | instskip(SKIP_2) | instid1(SALU_CYCLE_1)
	s_mul_hi_u32 s3, s2, s10
	s_lshr_b32 s10, ttmp7, 16
	s_add_co_i32 s3, s2, s3
	s_lshr_b32 s11, s3, s11
	s_delay_alu instid0(SALU_CYCLE_1) | instskip(NEXT) | instid1(SALU_CYCLE_1)
	s_mul_i32 s3, s11, s16
	s_sub_co_i32 s2, s2, s3
	s_delay_alu instid0(SALU_CYCLE_1) | instskip(NEXT) | instid1(SALU_CYCLE_1)
	s_mul_hi_u32 s3, s2, s17
	s_add_co_i32 s3, s2, s3
	s_delay_alu instid0(SALU_CYCLE_1) | instskip(NEXT) | instid1(SALU_CYCLE_1)
	s_lshr_b32 s14, s3, s18
	s_mul_i32 s3, s14, s19
	s_delay_alu instid0(SALU_CYCLE_1) | instskip(NEXT) | instid1(SALU_CYCLE_1)
	s_sub_co_i32 s13, s2, s3
	s_add_co_i32 s13, s13, s7
	s_wait_kmcnt 0x0
	s_cmp_lt_i32 s13, s8
	s_cselect_b32 s2, -1, 0
	s_add_co_i32 s14, s14, s10
	s_delay_alu instid0(SALU_CYCLE_1) | instskip(SKIP_1) | instid1(SALU_CYCLE_1)
	s_cmp_lt_i32 s14, s5
	s_cselect_b32 s3, -1, 0
	s_and_b32 s2, s2, s3
	s_delay_alu instid0(SALU_CYCLE_1)
	s_and_not1_b32 vcc_lo, exec_lo, s2
	s_cbranch_vccnz .LBB2_6
; %bb.1:
	s_mul_i32 s12, s12, s8
	s_mul_i32 s11, s11, s5
	s_add_co_i32 s5, s13, s12
	s_load_b128 s[0:3], s[0:1], 0x0
	s_add_co_i32 s8, s14, s11
	s_mul_i32 s5, s5, s9
	s_delay_alu instid0(SALU_CYCLE_1)
	s_add_co_i32 s8, s8, s5
	s_mul_i32 s5, s6, ttmp9
	v_lshl_or_b32 v1, s8, 6, v0
	s_add_co_i32 s8, s7, s10
	s_add_co_i32 s9, s5, s6
	s_wait_alu 0xfffe
	s_add_co_i32 s6, s8, s9
	v_ashrrev_i32_e32 v2, 31, v1
	s_add_co_i32 s10, s9, -2
	s_delay_alu instid0(VALU_DEP_1) | instskip(SKIP_1) | instid1(VALU_DEP_1)
	v_lshlrev_b64_e32 v[1:2], 2, v[1:2]
	s_wait_kmcnt 0x0
	v_add_co_u32 v1, vcc_lo, s0, v1
	s_delay_alu instid0(VALU_DEP_1)
	v_add_co_ci_u32_e64 v2, null, s1, v2, vcc_lo
	s_add_co_i32 s0, s6, -1
	s_wait_alu 0xfffe
	s_ashr_i32 s1, s0, 31
	global_load_b32 v5, v[1:2], off
	s_wait_alu 0xfffe
	s_lshl_b64 s[0:1], s[0:1], 3
	s_cmp_lt_i32 s10, s5
	s_wait_alu 0xfffe
	s_add_nc_u64 s[0:1], s[2:3], s[0:1]
	s_load_b32 s7, s[0:1], 0x4
	s_cbranch_scc1 .LBB2_4
; %bb.2:
	s_load_b32 s0, s[0:1], 0x0
	v_lshl_or_b32 v0, s6, 6, v0
	s_lshl_b32 s10, s4, 2
	s_add_co_i32 s1, s9, -1
	s_ashr_i32 s11, s10, 31
	s_wait_kmcnt 0x0
	v_dual_mov_b32 v6, s7 :: v_dual_add_nc_u32 v3, 0xffffff80, v0
	s_lshl_b64 s[10:11], s[10:11], 2
	s_add_co_i32 s4, s8, s4
	s_add_nc_u64 s[6:7], s[2:3], s[10:11]
.LBB2_3:                                ; =>This Inner Loop Header: Depth=1
	s_delay_alu instid0(VALU_DEP_1)
	v_ashrrev_i32_e32 v4, 31, v3
	s_wait_alu 0xfffe
	s_add_co_i32 s1, s1, -1
	v_mov_b32_e32 v10, v6
	s_wait_alu 0xfffe
	s_add_co_i32 s8, s1, s4
	s_wait_loadcnt 0x0
	v_mov_b32_e32 v9, v5
	v_lshlrev_b64_e32 v[7:8], 2, v[3:4]
	s_wait_alu 0xfffe
	s_ashr_i32 s9, s8, 31
	v_max_num_f32_e64 v4, s0, s0
	s_wait_alu 0xfffe
	s_lshl_b64 s[8:9], s[8:9], 3
	v_subrev_nc_u32_e32 v3, 64, v3
	s_wait_alu 0xfffe
	s_add_nc_u64 s[8:9], s[2:3], s[8:9]
	v_add_co_u32 v7, vcc_lo, s6, v7
	s_wait_alu 0xfffd
	v_add_co_ci_u32_e64 v8, null, s7, v8, vcc_lo
	s_load_b64 s[8:9], s[8:9], 0x0
	v_readfirstlane_b32 s10, v4
	global_load_b32 v0, v[7:8], off
	s_wait_kmcnt 0x0
	v_max_num_f32_e64 v4, s8, s8
	s_delay_alu instid0(VALU_DEP_1) | instskip(SKIP_2) | instid1(SALU_CYCLE_2)
	v_readfirstlane_b32 s11, v4
	s_max_num_f32 s10, s10, s11
	s_wait_alu 0xfffe
	s_sub_f32 s0, s0, s10
	s_sub_f32 s8, s8, s10
	s_wait_alu 0xfffe
	s_delay_alu instid0(SALU_CYCLE_1) | instskip(NEXT) | instid1(SALU_CYCLE_1)
	s_mul_f32 s11, s0, 0x3fb8aa3b
	s_mul_f32 s12, s8, 0x3fb8aa3b
	s_wait_alu 0xfffe
	s_delay_alu instid0(SALU_CYCLE_1)
	s_xor_b32 s13, s11, 0x80000000
	s_rndne_f32 s14, s11
	s_fmamk_f32 s13, s0, 0x3fb8aa3b, s13
	s_cmp_nlt_f32 s0, 0xc2ce8ed0
	s_rndne_f32 s15, s12
	s_wait_alu 0xfffe
	s_sub_f32 s11, s11, s14
	s_fmamk_f32 s13, s0, 0x32a5705f, s13
	s_cvt_i32_f32 s14, s14
	s_cselect_b32 vcc_lo, -1, 0
	s_cmp_ngt_f32 s0, 0x42b17218
	s_wait_alu 0xfffe
	s_add_f32 s11, s11, s13
	s_sub_f32 s13, s12, s15
	s_wait_alu 0xfffe
	s_delay_alu instid0(SALU_CYCLE_1) | instskip(SKIP_1) | instid1(TRANS32_DEP_1)
	v_s_exp_f32 s11, s11
	s_wait_alu 0xf1ff
	v_ldexp_f32 v4, s11, s14
	s_cvt_i32_f32 s11, s15
	s_delay_alu instid0(VALU_DEP_1) | instskip(SKIP_3) | instid1(VALU_DEP_1)
	v_cndmask_b32_e32 v4, 0, v4, vcc_lo
	s_cselect_b32 vcc_lo, -1, 0
	s_cmp_ge_f32 s0, 0xc1a00000
	s_wait_alu 0xfffe
	v_cndmask_b32_e32 v4, 0x7f800000, v4, vcc_lo
	s_cselect_b32 vcc_lo, -1, 0
	s_xor_b32 s0, s12, 0x80000000
	s_cmp_nlt_f32 s8, 0xc2ce8ed0
	s_wait_alu 0xfffe
	s_fmamk_f32 s0, s8, 0x3fb8aa3b, s0
	s_wait_alu 0xfffe
	s_delay_alu instid0(SALU_CYCLE_2) | instskip(SKIP_1) | instid1(SALU_CYCLE_2)
	s_fmamk_f32 s0, s8, 0x32a5705f, s0
	s_wait_alu 0xfffe
	s_add_f32 s0, s13, s0
	s_wait_alu 0xfffe
	s_delay_alu instid0(SALU_CYCLE_2) | instskip(SKIP_1) | instid1(TRANS32_DEP_1)
	v_s_exp_f32 s0, s0
	s_wait_alu 0xf1ff
	v_ldexp_f32 v7, s0, s11
	s_cselect_b32 s0, -1, 0
	s_cmp_ngt_f32 s8, 0x42b17218
	s_wait_alu 0xfffe
	s_delay_alu instid0(VALU_DEP_1) | instskip(SKIP_3) | instid1(VALU_DEP_1)
	v_cndmask_b32_e64 v7, 0, v7, s0
	s_cselect_b32 s0, -1, 0
	s_cmp_ge_f32 s8, 0xc1a00000
	s_wait_alu 0xfffe
	v_cndmask_b32_e64 v7, 0x7f800000, v7, s0
	s_cselect_b32 s0, -1, 0
	s_cmp_le_i32 s1, s5
	s_wait_alu 0xfffe
	s_delay_alu instid0(VALU_DEP_1) | instskip(SKIP_2) | instid1(VALU_DEP_1)
	v_cndmask_b32_e64 v7, 0, v7, s0
	s_mov_b32 s0, s10
	s_wait_loadcnt 0x0
	v_dual_mul_f32 v5, v0, v7 :: v_dual_cndmask_b32 v4, 0, v4
	s_delay_alu instid0(VALU_DEP_1) | instskip(NEXT) | instid1(VALU_DEP_1)
	v_dual_mul_f32 v8, s9, v7 :: v_dual_fmac_f32 v5, v9, v4
	v_mov_b32_e32 v6, v8
	s_delay_alu instid0(VALU_DEP_1)
	v_fmac_f32_e32 v6, v10, v4
	s_cbranch_scc0 .LBB2_3
	s_branch .LBB2_5
.LBB2_4:
	s_wait_kmcnt 0x0
	v_mov_b32_e32 v6, s7
.LBB2_5:
	s_wait_loadcnt 0x0
	s_delay_alu instid0(VALU_DEP_1) | instskip(NEXT) | instid1(VALU_DEP_1)
	v_div_scale_f32 v0, null, v6, v6, v5
	v_rcp_f32_e32 v3, v0
	s_delay_alu instid0(TRANS32_DEP_1) | instskip(NEXT) | instid1(VALU_DEP_1)
	v_fma_f32 v4, -v0, v3, 1.0
	v_fmac_f32_e32 v3, v4, v3
	v_div_scale_f32 v4, vcc_lo, v5, v6, v5
	s_delay_alu instid0(VALU_DEP_1) | instskip(NEXT) | instid1(VALU_DEP_1)
	v_mul_f32_e32 v7, v4, v3
	v_fma_f32 v8, -v0, v7, v4
	s_delay_alu instid0(VALU_DEP_1) | instskip(NEXT) | instid1(VALU_DEP_1)
	v_fmac_f32_e32 v7, v8, v3
	v_fma_f32 v0, -v0, v7, v4
	s_wait_alu 0xfffd
	s_delay_alu instid0(VALU_DEP_1) | instskip(NEXT) | instid1(VALU_DEP_1)
	v_div_fmas_f32 v0, v0, v3, v7
	v_div_fixup_f32 v0, v0, v6, v5
	global_store_b32 v[1:2], v0, off
.LBB2_6:
	s_endpgm
	.section	.rodata,"a",@progbits
	.p2align	6, 0x0
	.amdhsa_kernel _ZL33flash_attn_stream_k_fixup_uniformILi64ELi1ELi1EEvPfPK15HIP_vector_typeIfLj2EEiiiiiiS1_IjLj3EES5_S5_
		.amdhsa_group_segment_fixed_size 0
		.amdhsa_private_segment_fixed_size 0
		.amdhsa_kernarg_size 76
		.amdhsa_user_sgpr_count 2
		.amdhsa_user_sgpr_dispatch_ptr 0
		.amdhsa_user_sgpr_queue_ptr 0
		.amdhsa_user_sgpr_kernarg_segment_ptr 1
		.amdhsa_user_sgpr_dispatch_id 0
		.amdhsa_user_sgpr_private_segment_size 0
		.amdhsa_wavefront_size32 1
		.amdhsa_uses_dynamic_stack 0
		.amdhsa_enable_private_segment 0
		.amdhsa_system_sgpr_workgroup_id_x 1
		.amdhsa_system_sgpr_workgroup_id_y 1
		.amdhsa_system_sgpr_workgroup_id_z 1
		.amdhsa_system_sgpr_workgroup_info 0
		.amdhsa_system_vgpr_workitem_id 0
		.amdhsa_next_free_vgpr 11
		.amdhsa_next_free_sgpr 20
		.amdhsa_reserve_vcc 1
		.amdhsa_float_round_mode_32 0
		.amdhsa_float_round_mode_16_64 0
		.amdhsa_float_denorm_mode_32 3
		.amdhsa_float_denorm_mode_16_64 3
		.amdhsa_fp16_overflow 0
		.amdhsa_workgroup_processor_mode 1
		.amdhsa_memory_ordered 1
		.amdhsa_forward_progress 1
		.amdhsa_inst_pref_size 9
		.amdhsa_round_robin_scheduling 0
		.amdhsa_exception_fp_ieee_invalid_op 0
		.amdhsa_exception_fp_denorm_src 0
		.amdhsa_exception_fp_ieee_div_zero 0
		.amdhsa_exception_fp_ieee_overflow 0
		.amdhsa_exception_fp_ieee_underflow 0
		.amdhsa_exception_fp_ieee_inexact 0
		.amdhsa_exception_int_div_zero 0
	.end_amdhsa_kernel
	.section	.text._ZL33flash_attn_stream_k_fixup_uniformILi64ELi1ELi1EEvPfPK15HIP_vector_typeIfLj2EEiiiiiiS1_IjLj3EES5_S5_,"axG",@progbits,_ZL33flash_attn_stream_k_fixup_uniformILi64ELi1ELi1EEvPfPK15HIP_vector_typeIfLj2EEiiiiiiS1_IjLj3EES5_S5_,comdat
.Lfunc_end2:
	.size	_ZL33flash_attn_stream_k_fixup_uniformILi64ELi1ELi1EEvPfPK15HIP_vector_typeIfLj2EEiiiiiiS1_IjLj3EES5_S5_, .Lfunc_end2-_ZL33flash_attn_stream_k_fixup_uniformILi64ELi1ELi1EEvPfPK15HIP_vector_typeIfLj2EEiiiiiiS1_IjLj3EES5_S5_
                                        ; -- End function
	.set _ZL33flash_attn_stream_k_fixup_uniformILi64ELi1ELi1EEvPfPK15HIP_vector_typeIfLj2EEiiiiiiS1_IjLj3EES5_S5_.num_vgpr, 11
	.set _ZL33flash_attn_stream_k_fixup_uniformILi64ELi1ELi1EEvPfPK15HIP_vector_typeIfLj2EEiiiiiiS1_IjLj3EES5_S5_.num_agpr, 0
	.set _ZL33flash_attn_stream_k_fixup_uniformILi64ELi1ELi1EEvPfPK15HIP_vector_typeIfLj2EEiiiiiiS1_IjLj3EES5_S5_.numbered_sgpr, 20
	.set _ZL33flash_attn_stream_k_fixup_uniformILi64ELi1ELi1EEvPfPK15HIP_vector_typeIfLj2EEiiiiiiS1_IjLj3EES5_S5_.num_named_barrier, 0
	.set _ZL33flash_attn_stream_k_fixup_uniformILi64ELi1ELi1EEvPfPK15HIP_vector_typeIfLj2EEiiiiiiS1_IjLj3EES5_S5_.private_seg_size, 0
	.set _ZL33flash_attn_stream_k_fixup_uniformILi64ELi1ELi1EEvPfPK15HIP_vector_typeIfLj2EEiiiiiiS1_IjLj3EES5_S5_.uses_vcc, 1
	.set _ZL33flash_attn_stream_k_fixup_uniformILi64ELi1ELi1EEvPfPK15HIP_vector_typeIfLj2EEiiiiiiS1_IjLj3EES5_S5_.uses_flat_scratch, 0
	.set _ZL33flash_attn_stream_k_fixup_uniformILi64ELi1ELi1EEvPfPK15HIP_vector_typeIfLj2EEiiiiiiS1_IjLj3EES5_S5_.has_dyn_sized_stack, 0
	.set _ZL33flash_attn_stream_k_fixup_uniformILi64ELi1ELi1EEvPfPK15HIP_vector_typeIfLj2EEiiiiiiS1_IjLj3EES5_S5_.has_recursion, 0
	.set _ZL33flash_attn_stream_k_fixup_uniformILi64ELi1ELi1EEvPfPK15HIP_vector_typeIfLj2EEiiiiiiS1_IjLj3EES5_S5_.has_indirect_call, 0
	.section	.AMDGPU.csdata,"",@progbits
; Kernel info:
; codeLenInByte = 1056
; TotalNumSgprs: 22
; NumVgprs: 11
; ScratchSize: 0
; MemoryBound: 0
; FloatMode: 240
; IeeeMode: 1
; LDSByteSize: 0 bytes/workgroup (compile time only)
; SGPRBlocks: 0
; VGPRBlocks: 1
; NumSGPRsForWavesPerEU: 22
; NumVGPRsForWavesPerEU: 11
; Occupancy: 16
; WaveLimiterHint : 0
; COMPUTE_PGM_RSRC2:SCRATCH_EN: 0
; COMPUTE_PGM_RSRC2:USER_SGPR: 2
; COMPUTE_PGM_RSRC2:TRAP_HANDLER: 0
; COMPUTE_PGM_RSRC2:TGID_X_EN: 1
; COMPUTE_PGM_RSRC2:TGID_Y_EN: 1
; COMPUTE_PGM_RSRC2:TGID_Z_EN: 1
; COMPUTE_PGM_RSRC2:TIDIG_COMP_CNT: 0
	.section	.text._ZL33flash_attn_stream_k_fixup_generalILi64ELi1ELi1EEvPfPK15HIP_vector_typeIfLj2EEiiiiS1_IjLj3EES5_S5_S5_,"axG",@progbits,_ZL33flash_attn_stream_k_fixup_generalILi64ELi1ELi1EEvPfPK15HIP_vector_typeIfLj2EEiiiiS1_IjLj3EES5_S5_S5_,comdat
	.globl	_ZL33flash_attn_stream_k_fixup_generalILi64ELi1ELi1EEvPfPK15HIP_vector_typeIfLj2EEiiiiS1_IjLj3EES5_S5_S5_ ; -- Begin function _ZL33flash_attn_stream_k_fixup_generalILi64ELi1ELi1EEvPfPK15HIP_vector_typeIfLj2EEiiiiS1_IjLj3EES5_S5_S5_
	.p2align	8
	.type	_ZL33flash_attn_stream_k_fixup_generalILi64ELi1ELi1EEvPfPK15HIP_vector_typeIfLj2EEiiiiS1_IjLj3EES5_S5_S5_,@function
_ZL33flash_attn_stream_k_fixup_generalILi64ELi1ELi1EEvPfPK15HIP_vector_typeIfLj2EEiiiiS1_IjLj3EES5_S5_S5_: ; @_ZL33flash_attn_stream_k_fixup_generalILi64ELi1ELi1EEvPfPK15HIP_vector_typeIfLj2EEiiiiS1_IjLj3EES5_S5_S5_
; %bb.0:
	s_clause 0x1
	s_load_b128 s[4:7], s[0:1], 0x10
	s_load_b32 s16, s[0:1], 0x50
	s_mov_b32 s2, ttmp9
	s_ashr_i32 s3, ttmp9, 31
	s_mov_b32 s17, 0
	s_delay_alu instid0(SALU_CYCLE_1) | instskip(SKIP_3) | instid1(SALU_CYCLE_1)
	s_mov_b32 s8, s17
	s_wait_kmcnt 0x0
	s_ashr_i32 s19, s7, 31
	s_mov_b32 s18, s7
	s_mul_u64 s[2:3], s[18:19], s[2:3]
	s_delay_alu instid0(SALU_CYCLE_1) | instskip(NEXT) | instid1(SALU_CYCLE_1)
	s_mov_b32 s9, s3
	s_cmp_lg_u64 s[8:9], 0
	s_cbranch_scc0 .LBB3_21
; %bb.1:
	s_add_nc_u64 s[8:9], s[16:17], 0
	s_mov_b32 s15, s17
	s_xor_b64 s[8:9], s[8:9], 0
	s_mov_b32 s23, s17
	s_cvt_f32_u32 s7, s8
	s_cvt_f32_u32 s10, s9
	s_sub_nc_u64 s[12:13], 0, s[8:9]
	s_delay_alu instid0(SALU_CYCLE_2) | instskip(NEXT) | instid1(SALU_CYCLE_3)
	s_fmamk_f32 s7, s10, 0x4f800000, s7
	v_s_rcp_f32 s7, s7
	s_delay_alu instid0(TRANS32_DEP_1) | instskip(SKIP_1) | instid1(SALU_CYCLE_2)
	s_mul_f32 s7, s7, 0x5f7ffffc
	s_wait_alu 0xfffe
	s_mul_f32 s10, s7, 0x2f800000
	s_delay_alu instid0(SALU_CYCLE_3) | instskip(NEXT) | instid1(SALU_CYCLE_3)
	s_trunc_f32 s10, s10
	s_fmamk_f32 s7, s10, 0xcf800000, s7
	s_cvt_u32_f32 s11, s10
	s_wait_alu 0xfffe
	s_delay_alu instid0(SALU_CYCLE_1) | instskip(NEXT) | instid1(SALU_CYCLE_3)
	s_cvt_u32_f32 s10, s7
	s_mul_u64 s[20:21], s[12:13], s[10:11]
	s_delay_alu instid0(SALU_CYCLE_1)
	s_mul_hi_u32 s25, s10, s21
	s_mul_i32 s24, s10, s21
	s_mul_hi_u32 s14, s10, s20
	s_mul_i32 s22, s11, s20
	s_add_nc_u64 s[14:15], s[14:15], s[24:25]
	s_mul_hi_u32 s7, s11, s20
	s_mul_hi_u32 s26, s11, s21
	s_add_co_u32 s14, s14, s22
	s_wait_alu 0xfffe
	s_add_co_ci_u32 s22, s15, s7
	s_mul_i32 s20, s11, s21
	s_add_co_ci_u32 s21, s26, 0
	s_delay_alu instid0(SALU_CYCLE_1)
	s_add_nc_u64 s[14:15], s[22:23], s[20:21]
	s_mov_b32 s21, s17
	s_add_co_u32 s10, s10, s14
	s_cselect_b32 s7, -1, 0
	s_wait_alu 0xfffe
	s_cmp_lg_u32 s7, 0
	s_add_co_ci_u32 s11, s11, s15
	s_mov_b32 s15, s17
	s_mul_u64 s[12:13], s[12:13], s[10:11]
	s_delay_alu instid0(SALU_CYCLE_1)
	s_mul_hi_u32 s23, s10, s13
	s_mul_i32 s22, s10, s13
	s_mul_hi_u32 s14, s10, s12
	s_mul_i32 s20, s11, s12
	s_add_nc_u64 s[14:15], s[14:15], s[22:23]
	s_mul_hi_u32 s7, s11, s12
	s_mul_hi_u32 s24, s11, s13
	s_mul_i32 s12, s11, s13
	s_add_co_u32 s13, s14, s20
	s_wait_alu 0xfffe
	s_add_co_ci_u32 s20, s15, s7
	s_add_co_ci_u32 s13, s24, 0
	s_mov_b32 s15, s17
	s_add_nc_u64 s[12:13], s[20:21], s[12:13]
	s_delay_alu instid0(SALU_CYCLE_1) | instskip(SKIP_1) | instid1(SALU_CYCLE_1)
	s_add_co_u32 s7, s10, s12
	s_cselect_b32 s10, -1, 0
	s_cmp_lg_u32 s10, 0
	s_add_co_ci_u32 s20, s11, s13
	s_ashr_i32 s10, s3, 31
	s_delay_alu instid0(SALU_CYCLE_1) | instskip(NEXT) | instid1(SALU_CYCLE_1)
	s_mov_b32 s11, s10
	s_add_nc_u64 s[12:13], s[2:3], s[10:11]
	s_delay_alu instid0(SALU_CYCLE_1) | instskip(NEXT) | instid1(SALU_CYCLE_1)
	s_xor_b64 s[12:13], s[12:13], s[10:11]
	s_mul_hi_u32 s23, s12, s20
	s_mul_i32 s22, s12, s20
	s_wait_alu 0xfffe
	s_mul_hi_u32 s14, s12, s7
	s_mul_hi_u32 s24, s13, s7
	s_mul_i32 s7, s13, s7
	s_add_nc_u64 s[14:15], s[14:15], s[22:23]
	s_mul_hi_u32 s3, s13, s20
	s_wait_alu 0xfffe
	s_add_co_u32 s7, s14, s7
	s_mul_i32 s22, s13, s20
	s_add_co_ci_u32 s20, s15, s24
	s_add_co_ci_u32 s23, s3, 0
	s_delay_alu instid0(SALU_CYCLE_1) | instskip(NEXT) | instid1(SALU_CYCLE_1)
	s_add_nc_u64 s[14:15], s[20:21], s[22:23]
	s_mul_u64 s[20:21], s[8:9], s[14:15]
	s_delay_alu instid0(SALU_CYCLE_1)
	s_sub_co_u32 s3, s12, s20
	s_cselect_b32 s7, -1, 0
	s_sub_co_i32 s12, s13, s21
	s_wait_alu 0xfffe
	s_cmp_lg_u32 s7, 0
	s_sub_co_ci_u32 s12, s12, s9
	s_sub_co_u32 s20, s3, s8
	s_cselect_b32 s22, -1, 0
	s_delay_alu instid0(SALU_CYCLE_1) | instskip(SKIP_2) | instid1(SALU_CYCLE_1)
	s_cmp_lg_u32 s22, 0
	s_add_nc_u64 s[22:23], s[14:15], 1
	s_sub_co_ci_u32 s12, s12, 0
	s_cmp_ge_u32 s12, s9
	s_cselect_b32 s24, -1, 0
	s_cmp_ge_u32 s20, s8
	s_cselect_b32 s20, -1, 0
	s_cmp_eq_u32 s12, s9
	s_cselect_b32 s12, s20, s24
	s_add_nc_u64 s[24:25], s[14:15], 2
	s_cmp_lg_u32 s12, 0
	s_cselect_b32 s12, s24, s22
	s_cselect_b32 s20, s25, s23
	s_cmp_lg_u32 s7, 0
	s_sub_co_ci_u32 s7, s13, s21
	s_wait_alu 0xfffe
	s_cmp_ge_u32 s7, s9
	s_cselect_b32 s13, -1, 0
	s_cmp_ge_u32 s3, s8
	s_cselect_b32 s3, -1, 0
	s_cmp_eq_u32 s7, s9
	s_cselect_b32 s3, s3, s13
	s_delay_alu instid0(SALU_CYCLE_1) | instskip(SKIP_4) | instid1(SALU_CYCLE_1)
	s_cmp_lg_u32 s3, 0
	s_mov_b32 s3, s17
	s_cselect_b32 s9, s20, s15
	s_cselect_b32 s8, s12, s14
	s_xor_b64 s[10:11], s[10:11], 0
	s_xor_b64 s[8:9], s[8:9], s[10:11]
	s_delay_alu instid0(SALU_CYCLE_1)
	s_sub_nc_u64 s[20:21], s[8:9], s[10:11]
	s_and_not1_b32 vcc_lo, exec_lo, s3
	s_cbranch_vccnz .LBB3_3
.LBB3_2:
	v_cvt_f32_u32_e32 v1, s16
	s_sub_co_i32 s7, 0, s16
	s_delay_alu instid0(VALU_DEP_1) | instskip(NEXT) | instid1(TRANS32_DEP_1)
	v_rcp_iflag_f32_e32 v1, v1
	v_mul_f32_e32 v1, 0x4f7ffffe, v1
	s_delay_alu instid0(VALU_DEP_1) | instskip(NEXT) | instid1(VALU_DEP_1)
	v_cvt_u32_f32_e32 v1, v1
	v_readfirstlane_b32 s3, v1
	s_wait_alu 0xfffe
	s_mul_i32 s7, s7, s3
	s_wait_alu 0xfffe
	s_mul_hi_u32 s7, s3, s7
	s_wait_alu 0xfffe
	s_add_co_i32 s3, s3, s7
	s_delay_alu instid0(SALU_CYCLE_1) | instskip(NEXT) | instid1(SALU_CYCLE_1)
	s_mul_hi_u32 s3, s2, s3
	s_mul_i32 s7, s3, s16
	s_wait_alu 0xfffe
	s_sub_co_i32 s2, s2, s7
	s_add_co_i32 s7, s3, 1
	s_sub_co_i32 s8, s2, s16
	s_cmp_ge_u32 s2, s16
	s_wait_alu 0xfffe
	s_cselect_b32 s3, s7, s3
	s_cselect_b32 s2, s8, s2
	s_add_co_i32 s7, s3, 1
	s_cmp_ge_u32 s2, s16
	s_wait_alu 0xfffe
	s_cselect_b32 s20, s7, s3
.LBB3_3:
	s_add_co_i32 s2, ttmp9, 1
	s_mov_b32 s8, 0
	s_ashr_i32 s3, s2, 31
	s_delay_alu instid0(SALU_CYCLE_1) | instskip(NEXT) | instid1(SALU_CYCLE_1)
	s_mul_u64 s[2:3], s[18:19], s[2:3]
	s_mov_b32 s9, s3
	s_delay_alu instid0(SALU_CYCLE_1)
	s_cmp_lg_u64 s[8:9], 0
	s_cbranch_scc0 .LBB3_22
; %bb.4:
	s_add_nc_u64 s[10:11], s[16:17], 0
	s_mov_b32 s23, s8
	s_xor_b64 s[10:11], s[10:11], 0
	s_mov_b32 s27, s8
	s_cvt_f32_u32 s7, s10
	s_cvt_f32_u32 s9, s11
	s_sub_nc_u64 s[14:15], 0, s[10:11]
	s_wait_alu 0xfffe
	s_delay_alu instid0(SALU_CYCLE_1) | instskip(SKIP_1) | instid1(SALU_CYCLE_2)
	s_fmamk_f32 s7, s9, 0x4f800000, s7
	s_wait_alu 0xfffe
	v_s_rcp_f32 s7, s7
	s_delay_alu instid0(TRANS32_DEP_1) | instskip(SKIP_1) | instid1(SALU_CYCLE_2)
	s_mul_f32 s7, s7, 0x5f7ffffc
	s_wait_alu 0xfffe
	s_mul_f32 s9, s7, 0x2f800000
	s_delay_alu instid0(SALU_CYCLE_3) | instskip(NEXT) | instid1(SALU_CYCLE_3)
	s_trunc_f32 s9, s9
	s_fmamk_f32 s7, s9, 0xcf800000, s7
	s_cvt_u32_f32 s13, s9
	s_wait_alu 0xfffe
	s_delay_alu instid0(SALU_CYCLE_1) | instskip(NEXT) | instid1(SALU_CYCLE_3)
	s_cvt_u32_f32 s12, s7
	s_mul_u64 s[24:25], s[14:15], s[12:13]
	s_delay_alu instid0(SALU_CYCLE_1)
	s_mul_hi_u32 s29, s12, s25
	s_mul_i32 s28, s12, s25
	s_mul_hi_u32 s22, s12, s24
	s_mul_i32 s9, s13, s24
	s_add_nc_u64 s[22:23], s[22:23], s[28:29]
	s_mul_hi_u32 s7, s13, s24
	s_mul_hi_u32 s21, s13, s25
	s_add_co_u32 s9, s22, s9
	s_wait_alu 0xfffe
	s_add_co_ci_u32 s26, s23, s7
	s_mul_i32 s24, s13, s25
	s_add_co_ci_u32 s25, s21, 0
	s_delay_alu instid0(SALU_CYCLE_1)
	s_add_nc_u64 s[22:23], s[26:27], s[24:25]
	s_mov_b32 s25, s8
	s_add_co_u32 s12, s12, s22
	s_cselect_b32 s7, -1, 0
	s_wait_alu 0xfffe
	s_cmp_lg_u32 s7, 0
	s_add_co_ci_u32 s13, s13, s23
	s_mov_b32 s23, s8
	s_mul_u64 s[14:15], s[14:15], s[12:13]
	s_delay_alu instid0(SALU_CYCLE_1)
	s_mul_hi_u32 s27, s12, s15
	s_mul_i32 s26, s12, s15
	s_mul_hi_u32 s22, s12, s14
	s_mul_i32 s9, s13, s14
	s_add_nc_u64 s[22:23], s[22:23], s[26:27]
	s_mul_hi_u32 s7, s13, s14
	s_mul_hi_u32 s21, s13, s15
	s_add_co_u32 s9, s22, s9
	s_wait_alu 0xfffe
	s_add_co_ci_u32 s24, s23, s7
	s_mul_i32 s14, s13, s15
	s_add_co_ci_u32 s15, s21, 0
	s_mov_b32 s23, s8
	s_add_nc_u64 s[14:15], s[24:25], s[14:15]
	s_delay_alu instid0(SALU_CYCLE_1) | instskip(SKIP_1) | instid1(SALU_CYCLE_1)
	s_add_co_u32 s7, s12, s14
	s_cselect_b32 s9, -1, 0
	s_cmp_lg_u32 s9, 0
	s_add_co_ci_u32 s9, s13, s15
	s_ashr_i32 s12, s3, 31
	s_delay_alu instid0(SALU_CYCLE_1) | instskip(NEXT) | instid1(SALU_CYCLE_1)
	s_mov_b32 s13, s12
	s_add_nc_u64 s[14:15], s[2:3], s[12:13]
	s_delay_alu instid0(SALU_CYCLE_1) | instskip(NEXT) | instid1(SALU_CYCLE_1)
	s_xor_b64 s[14:15], s[14:15], s[12:13]
	s_mul_hi_u32 s27, s14, s9
	s_mul_i32 s26, s14, s9
	s_wait_alu 0xfffe
	s_mul_hi_u32 s22, s14, s7
	s_mul_hi_u32 s21, s15, s7
	s_mul_i32 s7, s15, s7
	s_add_nc_u64 s[22:23], s[22:23], s[26:27]
	s_mul_hi_u32 s3, s15, s9
	s_wait_alu 0xfffe
	s_add_co_u32 s7, s22, s7
	s_add_co_ci_u32 s24, s23, s21
	s_mul_i32 s26, s15, s9
	s_add_co_ci_u32 s27, s3, 0
	s_delay_alu instid0(SALU_CYCLE_1) | instskip(NEXT) | instid1(SALU_CYCLE_1)
	s_add_nc_u64 s[22:23], s[24:25], s[26:27]
	s_mul_u64 s[24:25], s[10:11], s[22:23]
	s_add_nc_u64 s[26:27], s[22:23], 1
	s_sub_co_u32 s3, s14, s24
	s_cselect_b32 s7, -1, 0
	s_sub_co_i32 s9, s15, s25
	s_wait_alu 0xfffe
	s_cmp_lg_u32 s7, 0
	s_add_nc_u64 s[28:29], s[22:23], 2
	s_sub_co_ci_u32 s9, s9, s11
	s_sub_co_u32 s14, s3, s10
	s_cselect_b32 s21, -1, 0
	s_delay_alu instid0(SALU_CYCLE_1) | instskip(SKIP_1) | instid1(SALU_CYCLE_1)
	s_cmp_lg_u32 s21, 0
	s_sub_co_ci_u32 s9, s9, 0
	s_cmp_ge_u32 s9, s11
	s_cselect_b32 s21, -1, 0
	s_cmp_ge_u32 s14, s10
	s_cselect_b32 s14, -1, 0
	s_cmp_eq_u32 s9, s11
	s_cselect_b32 s9, s14, s21
	s_delay_alu instid0(SALU_CYCLE_1)
	s_cmp_lg_u32 s9, 0
	s_cselect_b32 s9, s28, s26
	s_cselect_b32 s14, s29, s27
	s_cmp_lg_u32 s7, 0
	s_sub_co_ci_u32 s7, s15, s25
	s_wait_alu 0xfffe
	s_cmp_ge_u32 s7, s11
	s_cselect_b32 s15, -1, 0
	s_cmp_ge_u32 s3, s10
	s_cselect_b32 s3, -1, 0
	s_cmp_eq_u32 s7, s11
	s_cselect_b32 s3, s3, s15
	s_delay_alu instid0(SALU_CYCLE_1) | instskip(SKIP_3) | instid1(SALU_CYCLE_1)
	s_cmp_lg_u32 s3, 0
	s_cselect_b32 s11, s14, s23
	s_cselect_b32 s10, s9, s22
	s_xor_b64 s[12:13], s[12:13], 0
	s_xor_b64 s[10:11], s[10:11], s[12:13]
	s_delay_alu instid0(SALU_CYCLE_1)
	s_sub_nc_u64 s[10:11], s[10:11], s[12:13]
	s_load_b96 s[12:14], s[0:1], 0x44
	s_and_not1_b32 vcc_lo, exec_lo, s8
	s_cbranch_vccnz .LBB3_6
.LBB3_5:
	v_cvt_f32_u32_e32 v1, s16
	s_sub_co_i32 s7, 0, s16
	s_delay_alu instid0(VALU_DEP_1) | instskip(NEXT) | instid1(TRANS32_DEP_1)
	v_rcp_iflag_f32_e32 v1, v1
	v_mul_f32_e32 v1, 0x4f7ffffe, v1
	s_delay_alu instid0(VALU_DEP_1) | instskip(NEXT) | instid1(VALU_DEP_1)
	v_cvt_u32_f32_e32 v1, v1
	v_readfirstlane_b32 s3, v1
	s_wait_alu 0xfffe
	s_mul_i32 s7, s7, s3
	s_wait_alu 0xfffe
	s_mul_hi_u32 s7, s3, s7
	s_wait_alu 0xfffe
	s_add_co_i32 s3, s3, s7
	s_delay_alu instid0(SALU_CYCLE_1) | instskip(NEXT) | instid1(SALU_CYCLE_1)
	s_mul_hi_u32 s3, s2, s3
	s_mul_i32 s7, s3, s16
	s_wait_alu 0xfffe
	s_sub_co_i32 s2, s2, s7
	s_add_co_i32 s7, s3, 1
	s_sub_co_i32 s8, s2, s16
	s_cmp_ge_u32 s2, s16
	s_wait_alu 0xfffe
	s_cselect_b32 s3, s7, s3
	s_cselect_b32 s2, s8, s2
	s_add_co_i32 s7, s3, 1
	s_cmp_ge_u32 s2, s16
	s_wait_alu 0xfffe
	s_cselect_b32 s10, s7, s3
.LBB3_6:
	s_mov_b32 s21, 0
	s_wait_kmcnt 0x0
	s_mov_b32 s22, s12
	s_mov_b32 s23, s21
	s_cmp_eq_u32 s20, s10
	s_mul_u64 s[2:3], s[20:21], s[22:23]
	s_cselect_b32 s7, -1, 0
	s_add_co_i32 s2, s3, s20
	s_mov_b32 s11, s21
	s_lshr_b32 s12, s2, s13
	s_mul_u64 s[2:3], s[10:11], s[22:23]
	s_mul_i32 s2, s12, s14
	s_delay_alu instid0(SALU_CYCLE_1) | instskip(SKIP_2) | instid1(SALU_CYCLE_1)
	s_cmp_eq_u32 s2, s20
	s_cselect_b32 s2, -1, 0
	s_add_co_i32 s3, s3, s10
	s_lshr_b32 s3, s3, s13
	s_delay_alu instid0(SALU_CYCLE_1)
	s_cmp_eq_u32 s12, s3
	s_mul_i32 s3, s3, s14
	s_cselect_b32 s8, -1, 0
	s_cmp_lg_u32 s3, s10
	s_cselect_b32 s3, -1, 0
	s_wait_alu 0xfffe
	s_or_b32 s2, s7, s2
	s_and_b32 s3, s8, s3
	s_delay_alu instid0(SALU_CYCLE_1) | instskip(NEXT) | instid1(SALU_CYCLE_1)
	s_or_b32 s2, s2, s3
	s_and_b32 vcc_lo, exec_lo, s2
	s_cbranch_vccnz .LBB3_24
; %bb.7:
	s_load_b256 s[24:31], s[0:1], 0x20
	s_mov_b32 s3, s21
	s_and_b32 s15, ttmp7, 0xffff
	s_wait_kmcnt 0x0
	s_mov_b32 s2, s24
	s_delay_alu instid0(SALU_CYCLE_1) | instskip(NEXT) | instid1(SALU_CYCLE_1)
	s_mul_u64 s[2:3], s[20:21], s[2:3]
	s_add_co_i32 s2, s3, s20
	s_delay_alu instid0(SALU_CYCLE_1) | instskip(SKIP_4) | instid1(SALU_CYCLE_1)
	s_lshr_b32 s3, s2, s25
	s_load_b32 s2, s[0:1], 0x40
	s_mul_i32 s7, s3, s26
	s_wait_alu 0xfffe
	s_sub_co_i32 s8, s20, s7
	s_mul_hi_u32 s7, s8, s27
	s_wait_alu 0xfffe
	s_add_co_i32 s7, s8, s7
	s_wait_alu 0xfffe
	s_lshr_b32 s7, s7, s28
	s_wait_alu 0xfffe
	s_mul_i32 s9, s7, s29
	s_delay_alu instid0(SALU_CYCLE_1) | instskip(NEXT) | instid1(SALU_CYCLE_1)
	s_sub_co_i32 s8, s8, s9
	s_mul_hi_u32 s9, s8, s30
	s_delay_alu instid0(SALU_CYCLE_1) | instskip(NEXT) | instid1(SALU_CYCLE_1)
	s_add_co_i32 s9, s8, s9
	s_lshr_b32 s24, s9, s31
	s_mov_b32 s9, s21
	s_wait_kmcnt 0x0
	s_mul_i32 s2, s24, s2
	s_delay_alu instid0(SALU_CYCLE_1) | instskip(NEXT) | instid1(SALU_CYCLE_1)
	s_sub_co_i32 s8, s8, s2
	s_mul_u64 s[10:11], s[8:9], s[22:23]
	s_delay_alu instid0(SALU_CYCLE_1) | instskip(NEXT) | instid1(SALU_CYCLE_1)
	s_add_co_i32 s2, s8, s11
	s_lshr_b32 s21, s2, s13
	s_lshr_b32 s2, ttmp7, 16
	s_add_co_i32 s21, s21, s15
	s_delay_alu instid0(SALU_CYCLE_1) | instskip(SKIP_2) | instid1(SALU_CYCLE_1)
	s_cmp_lt_i32 s21, s4
	s_cselect_b32 s8, -1, 0
	s_add_co_i32 s24, s24, s2
	s_cmp_lt_i32 s24, s6
	s_cselect_b32 s9, -1, 0
	s_delay_alu instid0(SALU_CYCLE_1) | instskip(NEXT) | instid1(SALU_CYCLE_1)
	s_and_b32 s8, s8, s9
	s_and_not1_b32 vcc_lo, exec_lo, s8
	s_cbranch_vccnz .LBB3_24
; %bb.8:
	s_mul_i32 s3, s3, s4
	s_load_b128 s[8:11], s[0:1], 0x0
	s_mul_i32 s7, s7, s6
	s_add_co_i32 s0, s21, s3
	s_wait_alu 0xfffe
	s_add_co_i32 s1, s24, s7
	s_mul_i32 s0, s0, s5
	s_add_co_i32 s15, s15, s2
	s_add_co_i32 s1, s1, s0
	v_cvt_f32_u32_e32 v4, s16
	v_lshl_or_b32 v1, s1, 6, v0
	s_add_nc_u64 s[0:1], s[16:17], 0
	s_wait_alu 0xfffe
	s_add_co_i32 s34, ttmp9, -1
	s_xor_b64 s[6:7], s[0:1], 0
	s_add_co_i32 s0, s15, ttmp9
	v_ashrrev_i32_e32 v2, 31, v1
	s_wait_alu 0xfffe
	s_cvt_f32_u32 s1, s6
	s_cvt_f32_u32 s3, s7
	v_rcp_iflag_f32_e32 v4, v4
	s_sub_nc_u64 s[30:31], 0, s[6:7]
	v_lshlrev_b64_e32 v[1:2], 2, v[1:2]
	s_wait_alu 0xfffe
	s_fmamk_f32 s2, s3, 0x4f800000, s1
	s_ashr_i32 s1, s0, 31
	s_wait_alu 0xfffe
	s_lshl_b64 s[0:1], s[0:1], 3
	v_s_rcp_f32 s2, s2
	s_wait_kmcnt 0x0
	v_add_co_u32 v1, vcc_lo, s8, v1
	s_delay_alu instid0(VALU_DEP_1)
	v_add_co_ci_u32_e64 v2, null, s9, v2, vcc_lo
	s_wait_alu 0xfffe
	s_add_nc_u64 s[0:1], s[10:11], s[0:1]
	s_mov_b32 s8, 0
	s_load_b64 s[28:29], s[0:1], 0x0
	global_load_b32 v3, v[1:2], off
	s_mul_f32 s2, s2, 0x5f7ffffc
	v_mul_f32_e32 v4, 0x4f7ffffe, v4
	s_lshl_b32 s0, s16, 2
	s_wait_alu 0xfffe
	s_mul_f32 s1, s2, 0x2f800000
	s_wait_alu 0xfffe
	s_delay_alu instid0(SALU_CYCLE_2)
	s_trunc_f32 s3, s1
	s_mov_b32 s1, s8
	s_wait_alu 0xfffe
	s_lshl_b64 s[0:1], s[0:1], 2
	s_fmamk_f32 s2, s3, 0xcf800000, s2
	s_cvt_u32_f32 s27, s3
	s_wait_alu 0xfffe
	s_add_nc_u64 s[24:25], s[10:11], s[0:1]
	s_cvt_u32_f32 s26, s2
	s_wait_kmcnt 0x0
	v_mov_b32_e32 v5, s29
	v_cvt_u32_f32_e32 v4, v4
.LBB3_9:                                ; =>This Inner Loop Header: Depth=1
	s_wait_alu 0xfffe
	s_ashr_i32 s35, s34, 31
	s_mov_b32 s2, -1
	s_wait_alu 0xfffe
	s_mul_u64 s[0:1], s[34:35], s[18:19]
                                        ; implicit-def: $sgpr38_sgpr39
	s_wait_alu 0xfffe
	s_mov_b32 s9, s1
	s_wait_alu 0xfffe
	s_cmp_lg_u64 s[8:9], 0
	s_cbranch_scc0 .LBB3_11
; %bb.10:                               ;   in Loop: Header=BB3_9 Depth=1
	s_mul_u64 s[2:3], s[30:31], s[26:27]
	s_mov_b32 s37, s8
	s_wait_alu 0xfffe
	s_mul_hi_u32 s5, s26, s3
	s_mul_i32 s4, s26, s3
	s_mul_hi_u32 s36, s26, s2
	s_mul_hi_u32 s9, s27, s2
	s_wait_alu 0xfffe
	s_add_nc_u64 s[4:5], s[36:37], s[4:5]
	s_mul_i32 s2, s27, s2
	s_mul_hi_u32 s17, s27, s3
	s_wait_alu 0xfffe
	s_add_co_u32 s2, s4, s2
	s_add_co_ci_u32 s2, s5, s9
	s_add_co_ci_u32 s5, s17, 0
	s_mul_i32 s4, s27, s3
	s_mov_b32 s3, s8
	s_mov_b32 s39, s8
	s_wait_alu 0xfffe
	s_add_nc_u64 s[2:3], s[2:3], s[4:5]
	s_wait_alu 0xfffe
	s_add_co_u32 s2, s26, s2
	s_cselect_b32 s4, -1, 0
	s_wait_alu 0xfffe
	s_cmp_lg_u32 s4, 0
	s_add_co_ci_u32 s3, s27, s3
	s_wait_alu 0xfffe
	s_mul_u64 s[4:5], s[30:31], s[2:3]
	s_wait_alu 0xfffe
	s_mul_hi_u32 s37, s2, s5
	s_mul_i32 s36, s2, s5
	s_mul_hi_u32 s38, s2, s4
	s_mul_hi_u32 s9, s3, s4
	s_mul_i32 s4, s3, s4
	s_wait_alu 0xfffe
	s_add_nc_u64 s[36:37], s[38:39], s[36:37]
	s_mul_hi_u32 s17, s3, s5
	s_wait_alu 0xfffe
	s_add_co_u32 s4, s36, s4
	s_add_co_ci_u32 s4, s37, s9
	s_add_co_ci_u32 s37, s17, 0
	s_mul_i32 s36, s3, s5
	s_mov_b32 s5, s8
	s_wait_alu 0xfffe
	s_add_nc_u64 s[4:5], s[4:5], s[36:37]
	s_mov_b32 s37, s8
	s_wait_alu 0xfffe
	s_add_co_u32 s9, s2, s4
	s_cselect_b32 s2, -1, 0
	s_wait_alu 0xfffe
	s_cmp_lg_u32 s2, 0
	s_add_co_ci_u32 s17, s3, s5
	s_ashr_i32 s2, s1, 31
	s_wait_alu 0xfffe
	s_mov_b32 s3, s2
	s_wait_alu 0xfffe
	s_add_nc_u64 s[4:5], s[0:1], s[2:3]
	s_wait_alu 0xfffe
	s_xor_b64 s[4:5], s[4:5], s[2:3]
	s_wait_alu 0xfffe
	s_mul_hi_u32 s39, s4, s17
	s_mul_i32 s38, s4, s17
	s_mul_hi_u32 s36, s4, s9
	s_mul_i32 s21, s5, s9
	s_wait_alu 0xfffe
	s_add_nc_u64 s[36:37], s[36:37], s[38:39]
	s_mul_hi_u32 s9, s5, s9
	s_mul_hi_u32 s1, s5, s17
	s_wait_alu 0xfffe
	s_add_co_u32 s21, s36, s21
	s_add_co_ci_u32 s36, s37, s9
	s_add_co_ci_u32 s39, s1, 0
	s_mul_i32 s38, s5, s17
	s_mov_b32 s37, s8
	s_wait_alu 0xfffe
	s_add_nc_u64 s[36:37], s[36:37], s[38:39]
	s_wait_alu 0xfffe
	s_mul_u64 s[38:39], s[6:7], s[36:37]
	s_add_nc_u64 s[40:41], s[36:37], 1
	s_sub_co_u32 s1, s4, s38
	s_cselect_b32 s4, -1, 0
	s_sub_co_i32 s9, s5, s39
	s_wait_alu 0xfffe
	s_cmp_lg_u32 s4, 0
	s_add_nc_u64 s[42:43], s[36:37], 2
	s_sub_co_ci_u32 s9, s9, s7
	s_sub_co_u32 s17, s1, s6
	s_cselect_b32 s21, -1, 0
	s_delay_alu instid0(SALU_CYCLE_1)
	s_cmp_lg_u32 s21, 0
	s_wait_alu 0xfffe
	s_sub_co_ci_u32 s9, s9, 0
	s_wait_alu 0xfffe
	s_cmp_ge_u32 s9, s7
	s_cselect_b32 s21, -1, 0
	s_cmp_ge_u32 s17, s6
	s_cselect_b32 s17, -1, 0
	s_cmp_eq_u32 s9, s7
	s_wait_alu 0xfffe
	s_cselect_b32 s9, s17, s21
	s_wait_alu 0xfffe
	s_cmp_lg_u32 s9, 0
	s_cselect_b32 s9, s42, s40
	s_cselect_b32 s17, s43, s41
	s_cmp_lg_u32 s4, 0
	s_sub_co_ci_u32 s4, s5, s39
	s_wait_alu 0xfffe
	s_cmp_ge_u32 s4, s7
	s_cselect_b32 s5, -1, 0
	s_cmp_ge_u32 s1, s6
	s_cselect_b32 s1, -1, 0
	s_cmp_eq_u32 s4, s7
	s_wait_alu 0xfffe
	s_cselect_b32 s1, s1, s5
	s_wait_alu 0xfffe
	s_cmp_lg_u32 s1, 0
	s_cselect_b32 s5, s17, s37
	s_cselect_b32 s4, s9, s36
	s_xor_b64 s[2:3], s[2:3], 0
	s_wait_alu 0xfffe
	s_xor_b64 s[4:5], s[4:5], s[2:3]
	s_wait_alu 0xfffe
	s_sub_nc_u64 s[38:39], s[4:5], s[2:3]
	s_mov_b32 s2, 0
.LBB3_11:                               ;   in Loop: Header=BB3_9 Depth=1
	s_wait_alu 0xfffe
	s_and_not1_b32 vcc_lo, exec_lo, s2
	s_wait_alu 0xfffe
	s_cbranch_vccnz .LBB3_13
; %bb.12:                               ;   in Loop: Header=BB3_9 Depth=1
	v_readfirstlane_b32 s1, v4
	s_sub_co_i32 s2, 0, s16
	s_wait_alu 0xfffe
	s_mul_i32 s2, s2, s1
	s_wait_alu 0xfffe
	s_mul_hi_u32 s2, s1, s2
	s_wait_alu 0xfffe
	s_add_co_i32 s1, s1, s2
	s_wait_alu 0xfffe
	s_mul_hi_u32 s1, s0, s1
	s_wait_alu 0xfffe
	s_mul_i32 s2, s1, s16
	s_wait_alu 0xfffe
	s_sub_co_i32 s0, s0, s2
	s_add_co_i32 s2, s1, 1
	s_wait_alu 0xfffe
	s_sub_co_i32 s3, s0, s16
	s_cmp_ge_u32 s0, s16
	s_cselect_b32 s1, s2, s1
	s_wait_alu 0xfffe
	s_cselect_b32 s0, s3, s0
	s_add_co_i32 s2, s1, 1
	s_wait_alu 0xfffe
	s_cmp_ge_u32 s0, s16
	s_cselect_b32 s38, s2, s1
.LBB3_13:                               ;   in Loop: Header=BB3_9 Depth=1
	v_readfirstlane_b32 s9, v0
	s_cmp_lg_u32 s20, s38
	s_mov_b32 s0, -1
                                        ; implicit-def: $sgpr21
                                        ; implicit-def: $vgpr6
                                        ; implicit-def: $vgpr7
                                        ; implicit-def: $sgpr17
                                        ; implicit-def: $sgpr29
	s_cbranch_scc1 .LBB3_16
; %bb.14:                               ;   in Loop: Header=BB3_9 Depth=1
	s_wait_alu 0xfffe
	s_and_not1_b32 vcc_lo, exec_lo, s0
	s_wait_alu 0xfffe
	s_cbranch_vccz .LBB3_19
.LBB3_15:                               ;   in Loop: Header=BB3_9 Depth=1
	s_and_not1_b32 vcc_lo, exec_lo, s21
	s_wait_alu 0xfffe
	s_cbranch_vccnz .LBB3_20
	s_branch .LBB3_23
.LBB3_16:                               ;   in Loop: Header=BB3_9 Depth=1
	s_add_co_i32 s40, s34, s15
	s_mov_b32 s1, s8
	s_wait_alu 0xfffe
	s_add_co_i32 s0, s40, s16
	v_max_num_f32_e64 v6, s28, s28
	s_wait_alu 0xfffe
	s_lshl_b64 s[0:1], s[0:1], 3
	s_mov_b32 s39, s8
	s_wait_alu 0xfffe
	s_add_nc_u64 s[0:1], s[10:11], s[0:1]
	s_mul_u64 s[42:43], s[38:39], s[22:23]
	s_load_b64 s[36:37], s[0:1], 0x0
	v_readfirstlane_b32 s0, v6
	s_mov_b32 s29, s20
	s_wait_kmcnt 0x0
	v_max_num_f32_e64 v7, s36, s36
	s_delay_alu instid0(VALU_DEP_1) | instskip(SKIP_2) | instid1(SALU_CYCLE_2)
	v_readfirstlane_b32 s1, v7
	s_max_num_f32 s9, s0, s1
	s_wait_alu 0xfffe
	s_sub_f32 s33, s28, s9
	s_sub_f32 s35, s36, s9
	s_wait_alu 0xfffe
	s_delay_alu instid0(SALU_CYCLE_1)
	s_cmp_nlt_f32 s33, 0xc2ce8ed0
	s_cselect_b32 s0, -1, 0
	s_cmp_ngt_f32 s33, 0x42b17218
	s_cselect_b32 s1, -1, 0
	s_cmp_ge_f32 s33, 0xc1a00000
	s_cselect_b32 s2, -1, 0
	s_cmp_nlt_f32 s35, 0xc2ce8ed0
	s_cselect_b32 s3, -1, 0
	s_cmp_ngt_f32 s35, 0x42b17218
	s_cselect_b32 s4, -1, 0
	s_cmp_ge_f32 s35, 0xc1a00000
	s_cselect_b32 s5, -1, 0
	s_add_co_i32 s17, s43, s38
	s_wait_alu 0xfffe
	s_lshr_b32 s17, s17, s13
	s_wait_alu 0xfffe
	s_mul_i32 s21, s17, s14
	s_delay_alu instid0(SALU_CYCLE_1)
	s_cmp_eq_u32 s21, s38
	s_cselect_b32 s21, -1, 0
	s_cmp_lt_u32 s17, s12
	s_cselect_b32 s17, -1, 0
	s_wait_alu 0xfffe
	s_or_b32 s17, s17, s21
	s_mov_b32 s21, -1
	s_wait_alu 0xfffe
	s_and_b32 vcc_lo, exec_lo, s17
	s_mov_b32 s17, s34
	s_wait_alu 0xfffe
	s_cbranch_vccnz .LBB3_18
; %bb.17:                               ;   in Loop: Header=BB3_9 Depth=1
	s_add_co_i32 s17, s34, -1
	s_mov_b32 s21, 0
	s_mov_b32 s29, s38
.LBB3_18:                               ;   in Loop: Header=BB3_9 Depth=1
	v_lshl_or_b32 v6, s40, 6, v0
	s_mul_f32 s36, s35, 0x3fb8aa3b
	s_mul_f32 s38, s33, 0x3fb8aa3b
	s_wait_alu 0xfffe
	s_delay_alu instid0(SALU_CYCLE_1)
	s_xor_b32 s39, s36, 0x80000000
	v_ashrrev_i32_e32 v7, 31, v6
	s_rndne_f32 s40, s36
	s_fmamk_f32 s39, s35, 0x3fb8aa3b, s39
	s_xor_b32 s41, s38, 0x80000000
	s_rndne_f32 s42, s38
	v_lshlrev_b64_e32 v[6:7], 2, v[6:7]
	s_wait_alu 0xfffe
	s_sub_f32 s36, s36, s40
	s_fmamk_f32 s35, s35, 0x32a5705f, s39
	s_fmamk_f32 s39, s33, 0x3fb8aa3b, s41
	s_sub_f32 s38, s38, s42
	v_add_co_u32 v6, vcc_lo, s24, v6
	s_wait_alu 0xfffd
	v_add_co_ci_u32_e64 v7, null, s25, v7, vcc_lo
	s_wait_alu 0xfffe
	s_add_f32 s35, s36, s35
	s_fmamk_f32 s33, s33, 0x32a5705f, s39
	s_cvt_i32_f32 s36, s40
	global_load_b32 v6, v[6:7], off
	s_wait_alu 0xfffe
	v_s_exp_f32 s35, s35
	s_add_f32 s33, s38, s33
	s_wait_alu 0xfffe
	s_delay_alu instid0(SALU_CYCLE_2) | instskip(NEXT) | instid1(TRANS32_DEP_2)
	v_s_exp_f32 s33, s33
	v_ldexp_f32 v7, s35, s36
	s_cvt_i32_f32 s35, s42
	s_wait_alu 0xf1fe
	s_delay_alu instid0(TRANS32_DEP_1) | instid1(SALU_CYCLE_2)
	v_ldexp_f32 v8, s33, s35
	s_delay_alu instid0(VALU_DEP_2) | instskip(NEXT) | instid1(VALU_DEP_2)
	v_cndmask_b32_e64 v7, 0, v7, s3
	v_cndmask_b32_e64 v8, 0, v8, s0
	s_delay_alu instid0(VALU_DEP_2) | instskip(NEXT) | instid1(VALU_DEP_2)
	v_cndmask_b32_e64 v7, 0x7f800000, v7, s4
	v_cndmask_b32_e64 v8, 0x7f800000, v8, s1
	;; [unrolled: 3-line block ×3, first 2 shown]
	s_wait_loadcnt 0x0
	s_delay_alu instid0(VALU_DEP_2) | instskip(SKIP_1) | instid1(VALU_DEP_1)
	v_mul_f32_e32 v6, v6, v7
	v_mul_f32_e32 v7, s37, v7
	v_fmac_f32_e32 v7, v5, v8
	s_delay_alu instid0(VALU_DEP_3)
	v_fmac_f32_e32 v6, v3, v8
	s_cbranch_execnz .LBB3_15
.LBB3_19:                               ;   in Loop: Header=BB3_9 Depth=1
	s_wait_loadcnt 0x0
	v_dual_mov_b32 v7, v5 :: v_dual_mov_b32 v6, v3
	s_add_co_i32 s17, s34, -1
	s_mov_b32 s29, s20
	s_mov_b32 s9, s28
	s_cbranch_execz .LBB3_23
.LBB3_20:                               ;   in Loop: Header=BB3_9 Depth=1
	v_mov_b32_e32 v5, v7
	s_wait_loadcnt 0x0
	v_mov_b32_e32 v3, v6
	s_wait_alu 0xfffe
	s_mov_b32 s20, s29
	s_mov_b32 s34, s17
	;; [unrolled: 1-line block ×3, first 2 shown]
	s_branch .LBB3_9
.LBB3_21:
                                        ; implicit-def: $sgpr20_sgpr21
	s_branch .LBB3_2
.LBB3_22:
                                        ; implicit-def: $sgpr10_sgpr11
	s_load_b96 s[12:14], s[0:1], 0x44
	s_branch .LBB3_5
.LBB3_23:
	v_div_scale_f32 v0, null, v7, v7, v6
	s_wait_loadcnt 0x0
	s_delay_alu instid0(VALU_DEP_1) | instskip(NEXT) | instid1(TRANS32_DEP_1)
	v_rcp_f32_e32 v3, v0
	v_fma_f32 v4, -v0, v3, 1.0
	s_delay_alu instid0(VALU_DEP_1) | instskip(SKIP_1) | instid1(VALU_DEP_1)
	v_fmac_f32_e32 v3, v4, v3
	v_div_scale_f32 v4, vcc_lo, v6, v7, v6
	v_mul_f32_e32 v5, v4, v3
	s_delay_alu instid0(VALU_DEP_1) | instskip(NEXT) | instid1(VALU_DEP_1)
	v_fma_f32 v8, -v0, v5, v4
	v_fmac_f32_e32 v5, v8, v3
	s_delay_alu instid0(VALU_DEP_1) | instskip(SKIP_1) | instid1(VALU_DEP_1)
	v_fma_f32 v0, -v0, v5, v4
	s_wait_alu 0xfffd
	v_div_fmas_f32 v0, v0, v3, v5
	s_delay_alu instid0(VALU_DEP_1)
	v_div_fixup_f32 v0, v0, v7, v6
	global_store_b32 v[1:2], v0, off
.LBB3_24:
	s_endpgm
	.section	.rodata,"a",@progbits
	.p2align	6, 0x0
	.amdhsa_kernel _ZL33flash_attn_stream_k_fixup_generalILi64ELi1ELi1EEvPfPK15HIP_vector_typeIfLj2EEiiiiS1_IjLj3EES5_S5_S5_
		.amdhsa_group_segment_fixed_size 0
		.amdhsa_private_segment_fixed_size 0
		.amdhsa_kernarg_size 336
		.amdhsa_user_sgpr_count 2
		.amdhsa_user_sgpr_dispatch_ptr 0
		.amdhsa_user_sgpr_queue_ptr 0
		.amdhsa_user_sgpr_kernarg_segment_ptr 1
		.amdhsa_user_sgpr_dispatch_id 0
		.amdhsa_user_sgpr_private_segment_size 0
		.amdhsa_wavefront_size32 1
		.amdhsa_uses_dynamic_stack 0
		.amdhsa_enable_private_segment 0
		.amdhsa_system_sgpr_workgroup_id_x 1
		.amdhsa_system_sgpr_workgroup_id_y 1
		.amdhsa_system_sgpr_workgroup_id_z 1
		.amdhsa_system_sgpr_workgroup_info 0
		.amdhsa_system_vgpr_workitem_id 0
		.amdhsa_next_free_vgpr 9
		.amdhsa_next_free_sgpr 44
		.amdhsa_reserve_vcc 1
		.amdhsa_float_round_mode_32 0
		.amdhsa_float_round_mode_16_64 0
		.amdhsa_float_denorm_mode_32 3
		.amdhsa_float_denorm_mode_16_64 3
		.amdhsa_fp16_overflow 0
		.amdhsa_workgroup_processor_mode 1
		.amdhsa_memory_ordered 1
		.amdhsa_forward_progress 1
		.amdhsa_inst_pref_size 28
		.amdhsa_round_robin_scheduling 0
		.amdhsa_exception_fp_ieee_invalid_op 0
		.amdhsa_exception_fp_denorm_src 0
		.amdhsa_exception_fp_ieee_div_zero 0
		.amdhsa_exception_fp_ieee_overflow 0
		.amdhsa_exception_fp_ieee_underflow 0
		.amdhsa_exception_fp_ieee_inexact 0
		.amdhsa_exception_int_div_zero 0
	.end_amdhsa_kernel
	.section	.text._ZL33flash_attn_stream_k_fixup_generalILi64ELi1ELi1EEvPfPK15HIP_vector_typeIfLj2EEiiiiS1_IjLj3EES5_S5_S5_,"axG",@progbits,_ZL33flash_attn_stream_k_fixup_generalILi64ELi1ELi1EEvPfPK15HIP_vector_typeIfLj2EEiiiiS1_IjLj3EES5_S5_S5_,comdat
.Lfunc_end3:
	.size	_ZL33flash_attn_stream_k_fixup_generalILi64ELi1ELi1EEvPfPK15HIP_vector_typeIfLj2EEiiiiS1_IjLj3EES5_S5_S5_, .Lfunc_end3-_ZL33flash_attn_stream_k_fixup_generalILi64ELi1ELi1EEvPfPK15HIP_vector_typeIfLj2EEiiiiS1_IjLj3EES5_S5_S5_
                                        ; -- End function
	.set _ZL33flash_attn_stream_k_fixup_generalILi64ELi1ELi1EEvPfPK15HIP_vector_typeIfLj2EEiiiiS1_IjLj3EES5_S5_S5_.num_vgpr, 9
	.set _ZL33flash_attn_stream_k_fixup_generalILi64ELi1ELi1EEvPfPK15HIP_vector_typeIfLj2EEiiiiS1_IjLj3EES5_S5_S5_.num_agpr, 0
	.set _ZL33flash_attn_stream_k_fixup_generalILi64ELi1ELi1EEvPfPK15HIP_vector_typeIfLj2EEiiiiS1_IjLj3EES5_S5_S5_.numbered_sgpr, 44
	.set _ZL33flash_attn_stream_k_fixup_generalILi64ELi1ELi1EEvPfPK15HIP_vector_typeIfLj2EEiiiiS1_IjLj3EES5_S5_S5_.num_named_barrier, 0
	.set _ZL33flash_attn_stream_k_fixup_generalILi64ELi1ELi1EEvPfPK15HIP_vector_typeIfLj2EEiiiiS1_IjLj3EES5_S5_S5_.private_seg_size, 0
	.set _ZL33flash_attn_stream_k_fixup_generalILi64ELi1ELi1EEvPfPK15HIP_vector_typeIfLj2EEiiiiS1_IjLj3EES5_S5_S5_.uses_vcc, 1
	.set _ZL33flash_attn_stream_k_fixup_generalILi64ELi1ELi1EEvPfPK15HIP_vector_typeIfLj2EEiiiiS1_IjLj3EES5_S5_S5_.uses_flat_scratch, 0
	.set _ZL33flash_attn_stream_k_fixup_generalILi64ELi1ELi1EEvPfPK15HIP_vector_typeIfLj2EEiiiiS1_IjLj3EES5_S5_S5_.has_dyn_sized_stack, 0
	.set _ZL33flash_attn_stream_k_fixup_generalILi64ELi1ELi1EEvPfPK15HIP_vector_typeIfLj2EEiiiiS1_IjLj3EES5_S5_S5_.has_recursion, 0
	.set _ZL33flash_attn_stream_k_fixup_generalILi64ELi1ELi1EEvPfPK15HIP_vector_typeIfLj2EEiiiiS1_IjLj3EES5_S5_S5_.has_indirect_call, 0
	.section	.AMDGPU.csdata,"",@progbits
; Kernel info:
; codeLenInByte = 3512
; TotalNumSgprs: 46
; NumVgprs: 9
; ScratchSize: 0
; MemoryBound: 0
; FloatMode: 240
; IeeeMode: 1
; LDSByteSize: 0 bytes/workgroup (compile time only)
; SGPRBlocks: 0
; VGPRBlocks: 1
; NumSGPRsForWavesPerEU: 46
; NumVGPRsForWavesPerEU: 9
; Occupancy: 16
; WaveLimiterHint : 0
; COMPUTE_PGM_RSRC2:SCRATCH_EN: 0
; COMPUTE_PGM_RSRC2:USER_SGPR: 2
; COMPUTE_PGM_RSRC2:TRAP_HANDLER: 0
; COMPUTE_PGM_RSRC2:TGID_X_EN: 1
; COMPUTE_PGM_RSRC2:TGID_Y_EN: 1
; COMPUTE_PGM_RSRC2:TGID_Z_EN: 1
; COMPUTE_PGM_RSRC2:TIDIG_COMP_CNT: 0
	.section	.text._ZL26flash_attn_combine_resultsILi64EEvPKfPK15HIP_vector_typeIfLj2EEPfi,"axG",@progbits,_ZL26flash_attn_combine_resultsILi64EEvPKfPK15HIP_vector_typeIfLj2EEPfi,comdat
	.globl	_ZL26flash_attn_combine_resultsILi64EEvPKfPK15HIP_vector_typeIfLj2EEPfi ; -- Begin function _ZL26flash_attn_combine_resultsILi64EEvPKfPK15HIP_vector_typeIfLj2EEPfi
	.p2align	8
	.type	_ZL26flash_attn_combine_resultsILi64EEvPKfPK15HIP_vector_typeIfLj2EEPfi,@function
_ZL26flash_attn_combine_resultsILi64EEvPKfPK15HIP_vector_typeIfLj2EEPfi: ; @_ZL26flash_attn_combine_resultsILi64EEvPKfPK15HIP_vector_typeIfLj2EEPfi
; %bb.0:
	s_clause 0x2
	s_load_b64 s[2:3], s[0:1], 0x20
	s_load_b96 s[8:10], s[0:1], 0x10
	s_load_b128 s[4:7], s[0:1], 0x0
	s_lshr_b32 s0, ttmp7, 16
	v_lshlrev_b32_e32 v5, 2, v0
	s_mov_b32 s12, exec_lo
	s_wait_kmcnt 0x0
	s_mul_i32 s0, s2, s0
	s_and_b32 s2, ttmp7, 0xffff
	s_add_co_i32 s0, s0, ttmp9
	s_lshl_b32 s1, s10, 1
	s_mul_i32 s11, s0, s3
	s_delay_alu instid0(SALU_CYCLE_1) | instskip(NEXT) | instid1(SALU_CYCLE_1)
	s_add_co_i32 s11, s11, s2
	s_mul_i32 s2, s11, s10
	v_cmpx_gt_i32_e64 s1, v0
	s_cbranch_execz .LBB4_3
; %bb.1:
	s_ashr_i32 s3, s2, 31
	v_dual_mov_b32 v4, v0 :: v_dual_add_nc_u32 v3, 0, v5
	s_lshl_b64 s[14:15], s[2:3], 3
	s_mov_b32 s3, 0
	s_add_nc_u64 s[6:7], s[6:7], s[14:15]
	s_delay_alu instid0(SALU_CYCLE_1)
	v_add_co_u32 v1, s0, s6, v5
	s_wait_alu 0xf1ff
	v_add_co_ci_u32_e64 v2, null, s7, 0, s0
.LBB4_2:                                ; =>This Inner Loop Header: Depth=1
	global_load_b32 v6, v[1:2], off
	v_add_nc_u32_e32 v4, 64, v4
	v_add_co_u32 v1, vcc_lo, 0x100, v1
	s_wait_alu 0xfffd
	v_add_co_ci_u32_e64 v2, null, 0, v2, vcc_lo
	s_delay_alu instid0(VALU_DEP_3)
	v_cmp_le_i32_e64 s0, s1, v4
	s_or_b32 s3, s0, s3
	s_wait_loadcnt 0x0
	ds_store_b32 v3, v6
	v_add_nc_u32_e32 v3, 0x100, v3
	s_and_not1_b32 exec_lo, exec_lo, s3
	s_cbranch_execnz .LBB4_2
.LBB4_3:
	s_or_b32 exec_lo, exec_lo, s12
	v_mov_b32_e32 v1, 0
	s_wait_dscnt 0x0
	s_barrier_signal -1
	s_barrier_wait -1
	global_inv scope:SCOPE_SE
	ds_load_b32 v6, v1
	s_cmp_lt_i32 s10, 2
	s_cbranch_scc1 .LBB4_11
; %bb.4:
	s_add_co_i32 s1, s10, -2
	s_add_co_i32 s0, s10, -1
	s_wait_alu 0xfffe
	s_cmp_lt_u32 s1, 7
	s_cbranch_scc1 .LBB4_8
; %bb.5:
	s_mov_b32 s3, 0
	s_add_co_i32 s1, 0, 8
	s_and_b32 s6, s0, -8
.LBB4_6:                                ; =>This Inner Loop Header: Depth=1
	s_wait_alu 0xfffe
	v_mov_b32_e32 v9, s1
	s_mov_b32 s7, s3
	s_add_co_i32 s3, s3, 8
	s_add_co_i32 s1, s1, 64
	s_cmp_eq_u32 s6, s3
	ds_load_2addr_b32 v[1:2], v9 offset1:2
	ds_load_2addr_b32 v[3:4], v9 offset0:4 offset1:6
	ds_load_2addr_b32 v[7:8], v9 offset0:8 offset1:10
	;; [unrolled: 1-line block ×3, first 2 shown]
	s_wait_dscnt 0x3
	v_max3_num_f32 v1, v6, v1, v2
	s_wait_dscnt 0x2
	s_delay_alu instid0(VALU_DEP_1) | instskip(SKIP_1) | instid1(VALU_DEP_1)
	v_max3_num_f32 v1, v1, v3, v4
	s_wait_dscnt 0x1
	v_max3_num_f32 v1, v1, v7, v8
	s_wait_dscnt 0x0
	s_delay_alu instid0(VALU_DEP_1)
	v_max3_num_f32 v6, v1, v9, v10
	s_cbranch_scc0 .LBB4_6
; %bb.7:
	s_wait_alu 0xfffe
	s_add_co_i32 s1, s7, 9
	s_and_b32 s0, s0, 7
	s_wait_alu 0xfffe
	s_cmp_eq_u32 s0, 0
	s_cbranch_scc0 .LBB4_9
	s_branch .LBB4_11
.LBB4_8:
	s_mov_b32 s1, 1
	s_and_b32 s0, s0, 7
	s_wait_alu 0xfffe
	s_cmp_eq_u32 s0, 0
	s_cbranch_scc1 .LBB4_11
.LBB4_9:
	s_lshl_b32 s1, s1, 3
	s_wait_alu 0xfffe
	s_add_co_i32 s1, s1, 0
.LBB4_10:                               ; =>This Inner Loop Header: Depth=1
	s_wait_dscnt 0x0
	s_wait_alu 0xfffe
	s_delay_alu instid0(VALU_DEP_1)
	v_dual_mov_b32 v1, s1 :: v_dual_max_num_f32 v2, v6, v6
	s_add_co_i32 s0, s0, -1
	s_add_co_i32 s1, s1, 8
	s_wait_alu 0xfffe
	s_cmp_lg_u32 s0, 0
	ds_load_b32 v1, v1
	s_wait_dscnt 0x0
	v_max_num_f32_e32 v1, v1, v1
	s_delay_alu instid0(VALU_DEP_1)
	v_max_num_f32_e32 v6, v2, v1
	s_cbranch_scc1 .LBB4_10
.LBB4_11:
	s_cmp_lt_i32 s10, 1
	s_cbranch_scc1 .LBB4_16
; %bb.12:
	s_lshl_b32 s0, s2, 6
	s_wait_alu 0xfffe
	s_ashr_i32 s1, s0, 31
	s_wait_alu 0xfffe
	s_lshl_b64 s[0:1], s[0:1], 2
	s_cmp_lt_u32 s10, 8
	s_wait_alu 0xfffe
	s_add_nc_u64 s[6:7], s[4:5], s[0:1]
	s_cbranch_scc1 .LBB4_17
; %bb.13:
	v_or_b32_e32 v1, 0x1c0, v0
	v_dual_mov_b32 v4, 0 :: v_dual_mov_b32 v7, 0
	v_mov_b32_e32 v8, 0
	s_and_b32 s12, s10, 0x7ffffff8
	s_mov_b32 s13, 0
	s_mov_b32 s14, 0
.LBB4_14:                               ; =>This Inner Loop Header: Depth=1
	v_dual_mov_b32 v2, v4 :: v_dual_add_nc_u32 v3, 0xfffffe40, v1
	v_mov_b32_e32 v21, s14
	s_add_co_i32 s13, s13, 8
	s_add_co_i32 s14, s14, 64
	s_delay_alu instid0(VALU_DEP_2) | instskip(SKIP_3) | instid1(VALU_DEP_2)
	v_lshlrev_b64_e32 v[9:10], 2, v[3:4]
	v_add_nc_u32_e32 v3, 0xfffffe80, v1
	v_lshlrev_b64_e32 v[11:12], 2, v[1:2]
	s_cmp_eq_u32 s12, s13
	v_lshlrev_b64_e32 v[13:14], 2, v[3:4]
	s_wait_alu 0xfffe
	v_add_co_u32 v9, vcc_lo, s6, v9
	s_wait_alu 0xfffd
	v_add_co_ci_u32_e64 v10, null, s7, v10, vcc_lo
	v_add_nc_u32_e32 v3, 0xfffffec0, v1
	v_add_co_u32 v13, vcc_lo, s6, v13
	global_load_b32 v25, v[9:10], off
	s_wait_alu 0xfffd
	v_add_co_ci_u32_e64 v14, null, s7, v14, vcc_lo
	v_lshlrev_b64_e32 v[15:16], 2, v[3:4]
	v_add_nc_u32_e32 v3, 0xffffff00, v1
	global_load_b32 v26, v[13:14], off
	v_lshlrev_b64_e32 v[9:10], 2, v[3:4]
	v_add_nc_u32_e32 v3, 0xffffff40, v1
	v_add_co_u32 v13, vcc_lo, s6, v15
	s_wait_alu 0xfffd
	v_add_co_ci_u32_e64 v14, null, s7, v16, vcc_lo
	s_delay_alu instid0(VALU_DEP_4)
	v_add_co_u32 v9, vcc_lo, s6, v9
	v_lshlrev_b64_e32 v[15:16], 2, v[3:4]
	v_add_nc_u32_e32 v3, 0xffffff80, v1
	s_wait_alu 0xfffd
	v_add_co_ci_u32_e64 v10, null, s7, v10, vcc_lo
	s_clause 0x1
	global_load_b32 v27, v[13:14], off
	global_load_b32 v28, v[9:10], off
	v_lshlrev_b64_e32 v[13:14], 2, v[3:4]
	v_subrev_nc_u32_e32 v3, 64, v1
	v_add_co_u32 v9, vcc_lo, s6, v15
	s_wait_alu 0xfffd
	v_add_co_ci_u32_e64 v10, null, s7, v16, vcc_lo
	s_delay_alu instid0(VALU_DEP_4)
	v_add_co_u32 v13, vcc_lo, s6, v13
	v_lshlrev_b64_e32 v[2:3], 2, v[3:4]
	s_wait_alu 0xfffd
	v_add_co_ci_u32_e64 v14, null, s7, v14, vcc_lo
	s_clause 0x1
	global_load_b32 v29, v[9:10], off
	global_load_b32 v30, v[13:14], off
	v_add_co_u32 v2, vcc_lo, s6, v2
	s_wait_alu 0xfffd
	v_add_co_ci_u32_e64 v3, null, s7, v3, vcc_lo
	v_add_co_u32 v9, vcc_lo, s6, v11
	s_wait_alu 0xfffd
	v_add_co_ci_u32_e64 v10, null, s7, v12, vcc_lo
	s_clause 0x1
	global_load_b32 v2, v[2:3], off
	global_load_b32 v3, v[9:10], off
	ds_load_2addr_b64 v[9:12], v21 offset1:1
	ds_load_2addr_b64 v[13:16], v21 offset0:2 offset1:3
	ds_load_2addr_b64 v[17:20], v21 offset0:4 offset1:5
	;; [unrolled: 1-line block ×3, first 2 shown]
	v_add_nc_u32_e32 v1, 0x200, v1
	s_wait_dscnt 0x1
	v_sub_f32_e32 v19, v19, v6
	v_sub_f32_e32 v11, v11, v6
	s_wait_dscnt 0x0
	v_sub_f32_e32 v23, v23, v6
	s_delay_alu instid0(VALU_DEP_3) | instskip(NEXT) | instid1(VALU_DEP_3)
	v_dual_sub_f32 v13, v13, v6 :: v_dual_mul_f32 v36, 0x3fb8aa3b, v19
	v_mul_f32_e32 v32, 0x3fb8aa3b, v11
	s_delay_alu instid0(VALU_DEP_2) | instskip(SKIP_1) | instid1(VALU_DEP_4)
	v_dual_mul_f32 v38, 0x3fb8aa3b, v23 :: v_dual_mul_f32 v33, 0x3fb8aa3b, v13
	v_cmp_ngt_f32_e32 vcc_lo, 0xc2ce8ed0, v13
	v_xor_b32_e32 v49, 0x80000000, v36
	s_delay_alu instid0(VALU_DEP_4) | instskip(SKIP_4) | instid1(VALU_DEP_4)
	v_xor_b32_e32 v41, 0x80000000, v32
	v_rndne_f32_e32 v42, v32
	v_xor_b32_e32 v43, 0x80000000, v33
	v_rndne_f32_e32 v44, v33
	v_xor_b32_e32 v53, 0x80000000, v38
	v_dual_fmac_f32 v41, 0x3fb8aa3b, v11 :: v_dual_sub_f32 v32, v32, v42
	s_delay_alu instid0(VALU_DEP_4) | instskip(NEXT) | instid1(VALU_DEP_4)
	v_fmac_f32_e32 v43, 0x3fb8aa3b, v13
	v_sub_f32_e32 v33, v33, v44
	v_cvt_i32_f32_e32 v42, v42
	s_delay_alu instid0(VALU_DEP_4)
	v_fmac_f32_e32 v41, 0x32a5705f, v11
	v_sub_f32_e32 v15, v15, v6
	v_fmac_f32_e32 v43, 0x32a5705f, v13
	v_cvt_i32_f32_e32 v44, v44
	v_rndne_f32_e32 v54, v38
	v_dual_add_f32 v32, v32, v41 :: v_dual_sub_f32 v9, v9, v6
	v_mul_f32_e32 v34, 0x3fb8aa3b, v15
	v_add_f32_e32 v33, v33, v43
	v_cmp_ngt_f32_e64 s0, 0xc2ce8ed0, v15
	s_delay_alu instid0(VALU_DEP_4)
	v_exp_f32_e32 v32, v32
	v_mul_f32_e32 v31, 0x3fb8aa3b, v9
	v_xor_b32_e32 v45, 0x80000000, v34
	v_rndne_f32_e32 v46, v34
	v_exp_f32_e32 v33, v33
	v_cmp_ngt_f32_e64 s5, 0xc2ce8ed0, v9
	v_xor_b32_e32 v39, 0x80000000, v31
	v_rndne_f32_e32 v40, v31
	v_dual_fmac_f32 v45, 0x3fb8aa3b, v15 :: v_dual_sub_f32 v34, v34, v46
	s_delay_alu instid0(TRANS32_DEP_2) | instskip(NEXT) | instid1(VALU_DEP_4)
	v_ldexp_f32 v32, v32, v42
	v_fmac_f32_e32 v39, 0x3fb8aa3b, v9
	s_delay_alu instid0(VALU_DEP_4)
	v_sub_f32_e32 v31, v31, v40
	v_cvt_i32_f32_e32 v40, v40
	v_fmac_f32_e32 v45, 0x32a5705f, v15
	v_sub_f32_e32 v17, v17, v6
	v_fmac_f32_e32 v39, 0x32a5705f, v9
	v_ldexp_f32 v33, v33, v44
	v_cvt_i32_f32_e32 v46, v46
	v_add_f32_e32 v34, v34, v45
	v_cmp_ngt_f32_e64 s1, 0xc2ce8ed0, v17
	v_dual_add_f32 v31, v31, v39 :: v_dual_sub_f32 v38, v38, v54
	v_rndne_f32_e32 v50, v36
	s_delay_alu instid0(VALU_DEP_4) | instskip(SKIP_1) | instid1(VALU_DEP_3)
	v_exp_f32_e32 v34, v34
	v_fmac_f32_e32 v49, 0x3fb8aa3b, v19
	v_exp_f32_e32 v31, v31
	v_cvt_i32_f32_e32 v54, v54
	v_sub_f32_e32 v36, v36, v50
	v_cvt_i32_f32_e32 v50, v50
	v_fmac_f32_e32 v49, 0x32a5705f, v19
	s_delay_alu instid0(TRANS32_DEP_2) | instskip(NEXT) | instid1(VALU_DEP_2)
	v_ldexp_f32 v34, v34, v46
	v_add_f32_e32 v36, v36, v49
	s_delay_alu instid0(TRANS32_DEP_1) | instskip(SKIP_1) | instid1(VALU_DEP_3)
	v_ldexp_f32 v31, v31, v40
	v_cmp_ngt_f32_e64 s2, 0xc2ce8ed0, v19
	v_exp_f32_e32 v36, v36
	s_wait_alu 0xf1ff
	s_delay_alu instid0(VALU_DEP_2) | instskip(SKIP_2) | instid1(VALU_DEP_1)
	v_cndmask_b32_e64 v31, 0, v31, s5
	v_cmp_ngt_f32_e64 s5, 0xc2ce8ed0, v11
	s_wait_alu 0xf1ff
	v_cndmask_b32_e64 v32, 0, v32, s5
	v_cmp_nlt_f32_e64 s5, 0x42b17218, v9
	s_delay_alu instid0(TRANS32_DEP_1) | instskip(SKIP_1) | instid1(VALU_DEP_2)
	v_ldexp_f32 v36, v36, v50
	s_wait_alu 0xf1ff
	v_cndmask_b32_e64 v9, 0x7f800000, v31, s5
	s_wait_alu 0xfffd
	v_cndmask_b32_e32 v31, 0, v33, vcc_lo
	v_cmp_nlt_f32_e32 vcc_lo, 0x42b17218, v11
	s_wait_alu 0xfffd
	v_dual_fmac_f32 v8, v9, v10 :: v_dual_cndmask_b32 v11, 0x7f800000, v32
	v_cmp_nlt_f32_e32 vcc_lo, 0x42b17218, v13
	s_delay_alu instid0(VALU_DEP_2)
	v_fmac_f32_e32 v8, v11, v12
	s_wait_alu 0xfffd
	v_cndmask_b32_e32 v10, 0x7f800000, v31, vcc_lo
	v_cmp_nlt_f32_e32 vcc_lo, 0x42b17218, v15
	v_fmac_f32_e32 v53, 0x3fb8aa3b, v23
	v_cmp_ngt_f32_e64 s4, 0xc2ce8ed0, v23
	s_delay_alu instid0(VALU_DEP_2) | instskip(NEXT) | instid1(VALU_DEP_1)
	v_dual_fmac_f32 v8, v10, v14 :: v_dual_fmac_f32 v53, 0x32a5705f, v23
	v_dual_sub_f32 v21, v21, v6 :: v_dual_add_f32 v38, v38, v53
	s_delay_alu instid0(VALU_DEP_1) | instskip(NEXT) | instid1(VALU_DEP_2)
	v_cmp_ngt_f32_e64 s3, 0xc2ce8ed0, v21
	v_exp_f32_e32 v38, v38
	s_delay_alu instid0(TRANS32_DEP_1) | instskip(SKIP_4) | instid1(VALU_DEP_1)
	v_ldexp_f32 v38, v38, v54
	s_wait_loadcnt 0x7
	v_fmac_f32_e32 v7, v25, v9
	v_cndmask_b32_e64 v9, 0, v34, s0
	s_wait_alu 0xfffd
	v_cndmask_b32_e32 v9, 0x7f800000, v9, vcc_lo
	v_mul_f32_e32 v35, 0x3fb8aa3b, v17
	s_wait_loadcnt 0x6
	v_fmac_f32_e32 v7, v26, v11
	v_cmp_nlt_f32_e32 vcc_lo, 0x42b17218, v17
	v_fmac_f32_e32 v8, v9, v16
	v_xor_b32_e32 v47, 0x80000000, v35
	v_rndne_f32_e32 v48, v35
	s_delay_alu instid0(VALU_DEP_2) | instskip(NEXT) | instid1(VALU_DEP_2)
	v_fmac_f32_e32 v47, 0x3fb8aa3b, v17
	v_sub_f32_e32 v35, v35, v48
	v_cvt_i32_f32_e32 v48, v48
	s_wait_loadcnt 0x5
	v_fmac_f32_e32 v7, v27, v10
	v_fmac_f32_e32 v47, 0x32a5705f, v17
	v_cndmask_b32_e64 v10, 0, v36, s2
	s_wait_loadcnt 0x4
	s_delay_alu instid0(VALU_DEP_3) | instskip(NEXT) | instid1(VALU_DEP_3)
	v_fmac_f32_e32 v7, v28, v9
	v_add_f32_e32 v35, v35, v47
	s_delay_alu instid0(VALU_DEP_1) | instskip(NEXT) | instid1(TRANS32_DEP_1)
	v_exp_f32_e32 v35, v35
	v_ldexp_f32 v35, v35, v48
	s_delay_alu instid0(VALU_DEP_1) | instskip(SKIP_1) | instid1(VALU_DEP_1)
	v_cndmask_b32_e64 v11, 0, v35, s1
	s_wait_alu 0xfffd
	v_cndmask_b32_e32 v11, 0x7f800000, v11, vcc_lo
	v_mul_f32_e32 v37, 0x3fb8aa3b, v21
	v_cmp_nlt_f32_e32 vcc_lo, 0x42b17218, v19
	s_delay_alu instid0(VALU_DEP_3) | instskip(NEXT) | instid1(VALU_DEP_3)
	v_fmac_f32_e32 v8, v11, v18
	v_xor_b32_e32 v51, 0x80000000, v37
	v_rndne_f32_e32 v52, v37
	s_wait_loadcnt 0x3
	s_wait_alu 0xfffd
	v_dual_cndmask_b32 v10, 0x7f800000, v10 :: v_dual_fmac_f32 v7, v29, v11
	v_cmp_nlt_f32_e32 vcc_lo, 0x42b17218, v21
	v_fmac_f32_e32 v51, 0x3fb8aa3b, v21
	v_sub_f32_e32 v37, v37, v52
	v_cvt_i32_f32_e32 v52, v52
	s_wait_alu 0xf1ff
	v_cndmask_b32_e64 v11, 0, v38, s4
	v_dual_fmac_f32 v8, v10, v20 :: v_dual_fmac_f32 v51, 0x32a5705f, v21
	s_wait_loadcnt 0x2
	v_fmac_f32_e32 v7, v30, v10
	s_delay_alu instid0(VALU_DEP_2) | instskip(NEXT) | instid1(VALU_DEP_1)
	v_add_f32_e32 v37, v37, v51
	v_exp_f32_e32 v37, v37
	s_delay_alu instid0(TRANS32_DEP_1) | instskip(NEXT) | instid1(VALU_DEP_1)
	v_ldexp_f32 v37, v37, v52
	v_cndmask_b32_e64 v9, 0, v37, s3
	s_wait_alu 0xfffd
	s_delay_alu instid0(VALU_DEP_1) | instskip(SKIP_1) | instid1(VALU_DEP_2)
	v_cndmask_b32_e32 v9, 0x7f800000, v9, vcc_lo
	v_cmp_nlt_f32_e32 vcc_lo, 0x42b17218, v23
	v_fmac_f32_e32 v8, v9, v22
	s_wait_loadcnt 0x1
	s_wait_alu 0xfffd
	v_dual_cndmask_b32 v10, 0x7f800000, v11 :: v_dual_fmac_f32 v7, v2, v9
	s_wait_loadcnt 0x0
	s_delay_alu instid0(VALU_DEP_1)
	v_dual_fmac_f32 v8, v10, v24 :: v_dual_fmac_f32 v7, v3, v10
	s_cbranch_scc0 .LBB4_14
; %bb.15:
	s_and_b32 s0, s10, 7
	s_wait_alu 0xfffe
	s_cmp_eq_u32 s0, 0
	s_cbranch_scc0 .LBB4_18
	s_branch .LBB4_20
.LBB4_16:
	v_mov_b32_e32 v0, 0x7fc00000
	s_branch .LBB4_21
.LBB4_17:
	v_dual_mov_b32 v7, 0 :: v_dual_mov_b32 v8, 0
	s_mov_b32 s12, 0
	s_and_b32 s0, s10, 7
	s_wait_alu 0xfffe
	s_cmp_eq_u32 s0, 0
	s_cbranch_scc1 .LBB4_20
.LBB4_18:
	v_lshl_or_b32 v0, s12, 6, v0
	v_mov_b32_e32 v1, 0
	s_lshl_b32 s1, s12, 3
	s_wait_alu 0xfffe
	s_add_co_i32 s1, s1, 0
.LBB4_19:                               ; =>This Inner Loop Header: Depth=1
	s_delay_alu instid0(VALU_DEP_1) | instskip(SKIP_2) | instid1(VALU_DEP_2)
	v_lshlrev_b64_e32 v[2:3], 2, v[0:1]
	s_add_co_i32 s0, s0, -1
	v_add_nc_u32_e32 v0, 64, v0
	v_add_co_u32 v2, vcc_lo, s6, v2
	s_wait_alu 0xfffd
	s_delay_alu instid0(VALU_DEP_3)
	v_add_co_ci_u32_e64 v3, null, s7, v3, vcc_lo
	global_load_b32 v4, v[2:3], off
	s_wait_alu 0xfffe
	v_mov_b32_e32 v2, s1
	s_add_co_i32 s1, s1, 8
	s_cmp_lg_u32 s0, 0
	ds_load_b64 v[2:3], v2
	s_wait_dscnt 0x0
	v_sub_f32_e32 v2, v2, v6
	s_delay_alu instid0(VALU_DEP_1) | instskip(SKIP_1) | instid1(VALU_DEP_2)
	v_mul_f32_e32 v9, 0x3fb8aa3b, v2
	v_cmp_ngt_f32_e32 vcc_lo, 0xc2ce8ed0, v2
	v_xor_b32_e32 v10, 0x80000000, v9
	v_rndne_f32_e32 v11, v9
	s_delay_alu instid0(VALU_DEP_1) | instskip(NEXT) | instid1(VALU_DEP_1)
	v_dual_fmac_f32 v10, 0x3fb8aa3b, v2 :: v_dual_sub_f32 v9, v9, v11
	v_fmac_f32_e32 v10, 0x32a5705f, v2
	s_delay_alu instid0(VALU_DEP_1) | instskip(SKIP_1) | instid1(VALU_DEP_2)
	v_add_f32_e32 v9, v9, v10
	v_cvt_i32_f32_e32 v10, v11
	v_exp_f32_e32 v9, v9
	s_delay_alu instid0(TRANS32_DEP_1) | instskip(SKIP_1) | instid1(VALU_DEP_1)
	v_ldexp_f32 v9, v9, v10
	s_wait_alu 0xfffd
	v_cndmask_b32_e32 v9, 0, v9, vcc_lo
	v_cmp_nlt_f32_e32 vcc_lo, 0x42b17218, v2
	s_wait_alu 0xfffd
	s_delay_alu instid0(VALU_DEP_2) | instskip(SKIP_1) | instid1(VALU_DEP_1)
	v_cndmask_b32_e32 v2, 0x7f800000, v9, vcc_lo
	s_wait_loadcnt 0x0
	v_dual_fmac_f32 v8, v2, v3 :: v_dual_fmac_f32 v7, v4, v2
	s_cbranch_scc1 .LBB4_19
.LBB4_20:
	s_delay_alu instid0(VALU_DEP_1) | instskip(NEXT) | instid1(VALU_DEP_1)
	v_div_scale_f32 v0, null, v8, v8, v7
	v_rcp_f32_e32 v1, v0
	s_delay_alu instid0(TRANS32_DEP_1) | instskip(NEXT) | instid1(VALU_DEP_1)
	v_fma_f32 v2, -v0, v1, 1.0
	v_fmac_f32_e32 v1, v2, v1
	v_div_scale_f32 v2, vcc_lo, v7, v8, v7
	s_delay_alu instid0(VALU_DEP_1) | instskip(NEXT) | instid1(VALU_DEP_1)
	v_mul_f32_e32 v3, v2, v1
	v_fma_f32 v4, -v0, v3, v2
	s_delay_alu instid0(VALU_DEP_1) | instskip(NEXT) | instid1(VALU_DEP_1)
	v_fmac_f32_e32 v3, v4, v1
	v_fma_f32 v0, -v0, v3, v2
	s_wait_alu 0xfffd
	s_delay_alu instid0(VALU_DEP_1) | instskip(NEXT) | instid1(VALU_DEP_1)
	v_div_fmas_f32 v0, v0, v1, v3
	v_div_fixup_f32 v0, v0, v8, v7
.LBB4_21:
	s_lshl_b32 s0, s11, 6
	s_wait_alu 0xfffe
	s_ashr_i32 s1, s0, 31
	s_wait_alu 0xfffe
	s_lshl_b64 s[0:1], s[0:1], 2
	s_wait_alu 0xfffe
	s_add_nc_u64 s[0:1], s[8:9], s[0:1]
	global_store_b32 v5, v0, s[0:1]
	s_endpgm
	.section	.rodata,"a",@progbits
	.p2align	6, 0x0
	.amdhsa_kernel _ZL26flash_attn_combine_resultsILi64EEvPKfPK15HIP_vector_typeIfLj2EEPfi
		.amdhsa_group_segment_fixed_size 0
		.amdhsa_private_segment_fixed_size 0
		.amdhsa_kernarg_size 288
		.amdhsa_user_sgpr_count 2
		.amdhsa_user_sgpr_dispatch_ptr 0
		.amdhsa_user_sgpr_queue_ptr 0
		.amdhsa_user_sgpr_kernarg_segment_ptr 1
		.amdhsa_user_sgpr_dispatch_id 0
		.amdhsa_user_sgpr_private_segment_size 0
		.amdhsa_wavefront_size32 1
		.amdhsa_uses_dynamic_stack 0
		.amdhsa_enable_private_segment 0
		.amdhsa_system_sgpr_workgroup_id_x 1
		.amdhsa_system_sgpr_workgroup_id_y 1
		.amdhsa_system_sgpr_workgroup_id_z 1
		.amdhsa_system_sgpr_workgroup_info 0
		.amdhsa_system_vgpr_workitem_id 0
		.amdhsa_next_free_vgpr 55
		.amdhsa_next_free_sgpr 16
		.amdhsa_reserve_vcc 1
		.amdhsa_float_round_mode_32 0
		.amdhsa_float_round_mode_16_64 0
		.amdhsa_float_denorm_mode_32 3
		.amdhsa_float_denorm_mode_16_64 3
		.amdhsa_fp16_overflow 0
		.amdhsa_workgroup_processor_mode 1
		.amdhsa_memory_ordered 1
		.amdhsa_forward_progress 1
		.amdhsa_inst_pref_size 20
		.amdhsa_round_robin_scheduling 0
		.amdhsa_exception_fp_ieee_invalid_op 0
		.amdhsa_exception_fp_denorm_src 0
		.amdhsa_exception_fp_ieee_div_zero 0
		.amdhsa_exception_fp_ieee_overflow 0
		.amdhsa_exception_fp_ieee_underflow 0
		.amdhsa_exception_fp_ieee_inexact 0
		.amdhsa_exception_int_div_zero 0
	.end_amdhsa_kernel
	.section	.text._ZL26flash_attn_combine_resultsILi64EEvPKfPK15HIP_vector_typeIfLj2EEPfi,"axG",@progbits,_ZL26flash_attn_combine_resultsILi64EEvPKfPK15HIP_vector_typeIfLj2EEPfi,comdat
.Lfunc_end4:
	.size	_ZL26flash_attn_combine_resultsILi64EEvPKfPK15HIP_vector_typeIfLj2EEPfi, .Lfunc_end4-_ZL26flash_attn_combine_resultsILi64EEvPKfPK15HIP_vector_typeIfLj2EEPfi
                                        ; -- End function
	.set _ZL26flash_attn_combine_resultsILi64EEvPKfPK15HIP_vector_typeIfLj2EEPfi.num_vgpr, 55
	.set _ZL26flash_attn_combine_resultsILi64EEvPKfPK15HIP_vector_typeIfLj2EEPfi.num_agpr, 0
	.set _ZL26flash_attn_combine_resultsILi64EEvPKfPK15HIP_vector_typeIfLj2EEPfi.numbered_sgpr, 16
	.set _ZL26flash_attn_combine_resultsILi64EEvPKfPK15HIP_vector_typeIfLj2EEPfi.num_named_barrier, 0
	.set _ZL26flash_attn_combine_resultsILi64EEvPKfPK15HIP_vector_typeIfLj2EEPfi.private_seg_size, 0
	.set _ZL26flash_attn_combine_resultsILi64EEvPKfPK15HIP_vector_typeIfLj2EEPfi.uses_vcc, 1
	.set _ZL26flash_attn_combine_resultsILi64EEvPKfPK15HIP_vector_typeIfLj2EEPfi.uses_flat_scratch, 0
	.set _ZL26flash_attn_combine_resultsILi64EEvPKfPK15HIP_vector_typeIfLj2EEPfi.has_dyn_sized_stack, 0
	.set _ZL26flash_attn_combine_resultsILi64EEvPKfPK15HIP_vector_typeIfLj2EEPfi.has_recursion, 0
	.set _ZL26flash_attn_combine_resultsILi64EEvPKfPK15HIP_vector_typeIfLj2EEPfi.has_indirect_call, 0
	.section	.AMDGPU.csdata,"",@progbits
; Kernel info:
; codeLenInByte = 2548
; TotalNumSgprs: 18
; NumVgprs: 55
; ScratchSize: 0
; MemoryBound: 0
; FloatMode: 240
; IeeeMode: 1
; LDSByteSize: 0 bytes/workgroup (compile time only)
; SGPRBlocks: 0
; VGPRBlocks: 6
; NumSGPRsForWavesPerEU: 18
; NumVGPRsForWavesPerEU: 55
; Occupancy: 16
; WaveLimiterHint : 0
; COMPUTE_PGM_RSRC2:SCRATCH_EN: 0
; COMPUTE_PGM_RSRC2:USER_SGPR: 2
; COMPUTE_PGM_RSRC2:TRAP_HANDLER: 0
; COMPUTE_PGM_RSRC2:TGID_X_EN: 1
; COMPUTE_PGM_RSRC2:TGID_Y_EN: 1
; COMPUTE_PGM_RSRC2:TGID_Z_EN: 1
; COMPUTE_PGM_RSRC2:TIDIG_COMP_CNT: 0
	.text
	.p2align	2                               ; -- Begin function __ockl_printf_append_string_n
	.type	__ockl_printf_append_string_n,@function
__ockl_printf_append_string_n:          ; @__ockl_printf_append_string_n
; %bb.0:
	s_wait_loadcnt_dscnt 0x0
	s_wait_expcnt 0x0
	s_wait_samplecnt 0x0
	s_wait_bvhcnt 0x0
	s_wait_kmcnt 0x0
	v_mov_b32_e32 v3, v0
	v_mbcnt_lo_u32_b32 v38, -1, 0
	s_getpc_b64 s[0:1]
	s_wait_alu 0xfffe
	s_sext_i32_i16 s1, s1
	s_add_co_u32 s0, s0, __FUNCTION__._ZL18flash_attn_ext_vecILi64ELi1EL9ggml_type3ELS0_2ELb1EEvPKcS2_S2_S2_S2_PKiPfP15HIP_vector_typeIfLj2EEffffjfiS6_IjLj3EEiiiiiiiiiiiliiliiiiil@rel32@lo+12
	s_wait_alu 0xfffe
	s_add_co_ci_u32 s1, s1, __FUNCTION__._ZL18flash_attn_ext_vecILi64ELi1EL9ggml_type3ELS0_2ELb1EEvPKcS2_S2_S2_S2_PKiPfP15HIP_vector_typeIfLj2EEffffjfiS6_IjLj3EEiiiiiiiiiiiliiliiiiil@rel32@hi+24
	s_wait_alu 0xfffe
	s_cmp_lg_u64 s[0:1], 0
	s_cbranch_scc0 .LBB5_87
; %bb.1:
	s_load_b64 s[2:3], s[8:9], 0x50
	s_getpc_b64 s[0:1]
	s_wait_alu 0xfffe
	s_sext_i32_i16 s1, s1
	s_add_co_u32 s0, s0, __FUNCTION__._ZL18flash_attn_ext_vecILi64ELi1EL9ggml_type3ELS0_2ELb1EEvPKcS2_S2_S2_S2_PKiPfP15HIP_vector_typeIfLj2EEffffjfiS6_IjLj3EEiiiiiiiiiiiliiliiiiil@rel32@lo+12
	s_wait_alu 0xfffe
	s_add_co_ci_u32 s1, s1, __FUNCTION__._ZL18flash_attn_ext_vecILi64ELi1EL9ggml_type3ELS0_2ELb1EEvPKcS2_S2_S2_S2_PKiPfP15HIP_vector_typeIfLj2EEffffjfiS6_IjLj3EEiiiiiiiiiiiliiliiiiil@rel32@hi+24
	s_wait_alu 0xfffe
	v_dual_mov_b32 v31, s1 :: v_dual_and_b32 v0, -3, v3
	v_dual_mov_b32 v12, 2 :: v_dual_mov_b32 v7, v1
	v_dual_mov_b32 v11, 0 :: v_dual_and_b32 v2, 2, v3
	v_dual_mov_b32 v30, s0 :: v_dual_mov_b32 v13, 1
	s_delay_alu instid0(VALU_DEP_4)
	v_mov_b32_e32 v6, v0
	s_mov_b32 s7, 0
	s_mov_b32 s6, 0
	s_branch .LBB5_3
.LBB5_2:                                ;   in Loop: Header=BB5_3 Depth=1
	s_wait_alu 0xfffe
	s_or_b32 exec_lo, exec_lo, s10
	v_sub_co_u32 v4, vcc_lo, v4, v32
	s_wait_alu 0xfffd
	v_sub_co_ci_u32_e64 v5, null, v5, v33, vcc_lo
	v_add_co_u32 v30, s0, v30, v32
	s_wait_alu 0xf1ff
	v_add_co_ci_u32_e64 v31, null, v31, v33, s0
	s_delay_alu instid0(VALU_DEP_3)
	v_cmp_eq_u64_e32 vcc_lo, 0, v[4:5]
	s_or_b32 s6, vcc_lo, s6
	s_wait_alu 0xfffe
	s_and_not1_b32 exec_lo, exec_lo, s6
	s_cbranch_execz .LBB5_85
.LBB5_3:                                ; =>This Loop Header: Depth=1
                                        ;     Child Loop BB5_6 Depth 2
                                        ;     Child Loop BB5_14 Depth 2
	;; [unrolled: 1-line block ×11, first 2 shown]
	v_cmp_gt_u64_e32 vcc_lo, 56, v[4:5]
	s_mov_b32 s1, exec_lo
	s_wait_alu 0xfffd
	v_dual_cndmask_b32 v33, 0, v5 :: v_dual_cndmask_b32 v32, 56, v4
	v_add_co_u32 v16, vcc_lo, v30, 8
	s_wait_alu 0xfffd
	v_add_co_ci_u32_e64 v17, null, 0, v31, vcc_lo
	v_cmpx_gt_u64_e32 8, v[4:5]
	s_wait_alu 0xfffe
	s_xor_b32 s1, exec_lo, s1
	s_cbranch_execz .LBB5_9
; %bb.4:                                ;   in Loop: Header=BB5_3 Depth=1
	v_mov_b32_e32 v8, 0
	v_mov_b32_e32 v9, 0
	s_mov_b32 s10, exec_lo
	v_cmpx_ne_u64_e32 0, v[4:5]
	s_cbranch_execz .LBB5_8
; %bb.5:                                ;   in Loop: Header=BB5_3 Depth=1
	v_lshlrev_b64_e32 v[14:15], 3, v[32:33]
	v_dual_mov_b32 v8, 0 :: v_dual_mov_b32 v15, v30
	v_dual_mov_b32 v9, 0 :: v_dual_mov_b32 v16, v31
	s_mov_b64 s[4:5], 0
	s_mov_b32 s11, 0
.LBB5_6:                                ;   Parent Loop BB5_3 Depth=1
                                        ; =>  This Inner Loop Header: Depth=2
	global_load_u8 v0, v[15:16], off
	v_mov_b32_e32 v18, s7
	v_add_co_u32 v15, vcc_lo, v15, 1
	s_wait_alu 0xfffd
	v_add_co_ci_u32_e64 v16, null, 0, v16, vcc_lo
	s_wait_loadcnt 0x0
	v_and_b32_e32 v17, 0xffff, v0
	s_wait_alu 0xfffe
	s_delay_alu instid0(VALU_DEP_1) | instskip(SKIP_3) | instid1(VALU_DEP_2)
	v_lshlrev_b64_e32 v[17:18], s4, v[17:18]
	s_add_nc_u64 s[4:5], s[4:5], 8
	s_wait_alu 0xfffe
	v_cmp_eq_u32_e64 s0, s4, v14
	v_or_b32_e32 v9, v18, v9
	s_delay_alu instid0(VALU_DEP_3)
	v_or_b32_e32 v8, v17, v8
	s_or_b32 s11, s0, s11
	s_wait_alu 0xfffe
	s_and_not1_b32 exec_lo, exec_lo, s11
	s_cbranch_execnz .LBB5_6
; %bb.7:                                ;   in Loop: Header=BB5_3 Depth=1
	s_or_b32 exec_lo, exec_lo, s11
.LBB5_8:                                ;   in Loop: Header=BB5_3 Depth=1
	s_wait_alu 0xfffe
	s_or_b32 exec_lo, exec_lo, s10
	v_dual_mov_b32 v16, v30 :: v_dual_mov_b32 v17, v31
.LBB5_9:                                ;   in Loop: Header=BB5_3 Depth=1
	s_wait_alu 0xfffe
	s_or_saveexec_b32 s0, s1
	v_mov_b32_e32 v0, 0
	s_wait_alu 0xfffe
	s_xor_b32 exec_lo, exec_lo, s0
	s_cbranch_execz .LBB5_11
; %bb.10:                               ;   in Loop: Header=BB5_3 Depth=1
	global_load_b64 v[8:9], v[30:31], off
	v_add_nc_u32_e32 v0, -8, v32
.LBB5_11:                               ;   in Loop: Header=BB5_3 Depth=1
	s_or_b32 exec_lo, exec_lo, s0
	v_add_co_u32 v18, s0, v16, 8
	s_wait_alu 0xf1ff
	v_add_co_ci_u32_e64 v19, null, 0, v17, s0
                                        ; implicit-def: $vgpr14_vgpr15
	s_mov_b32 s0, exec_lo
	v_cmpx_gt_u32_e32 8, v0
	s_wait_alu 0xfffe
	s_xor_b32 s10, exec_lo, s0
	s_cbranch_execz .LBB5_17
; %bb.12:                               ;   in Loop: Header=BB5_3 Depth=1
	v_mov_b32_e32 v14, 0
	v_mov_b32_e32 v15, 0
	s_mov_b32 s11, exec_lo
	v_cmpx_ne_u32_e32 0, v0
	s_cbranch_execz .LBB5_16
; %bb.13:                               ;   in Loop: Header=BB5_3 Depth=1
	v_mov_b32_e32 v14, 0
	v_mov_b32_e32 v15, 0
	s_mov_b64 s[0:1], 0
	s_mov_b32 s12, 0
	s_mov_b64 s[4:5], 0
.LBB5_14:                               ;   Parent Loop BB5_3 Depth=1
                                        ; =>  This Inner Loop Header: Depth=2
	s_wait_alu 0xfffe
	v_add_co_u32 v18, vcc_lo, v16, s4
	s_wait_alu 0xfffd
	v_add_co_ci_u32_e64 v19, null, s5, v17, vcc_lo
	s_add_nc_u64 s[4:5], s[4:5], 1
	s_wait_alu 0xfffe
	v_cmp_eq_u32_e32 vcc_lo, s4, v0
	global_load_u8 v10, v[18:19], off
	v_mov_b32_e32 v19, s7
	s_or_b32 s12, vcc_lo, s12
	s_wait_loadcnt 0x0
	v_and_b32_e32 v18, 0xffff, v10
	s_delay_alu instid0(VALU_DEP_1) | instskip(SKIP_1) | instid1(VALU_DEP_1)
	v_lshlrev_b64_e32 v[18:19], s0, v[18:19]
	s_add_nc_u64 s[0:1], s[0:1], 8
	v_or_b32_e32 v15, v19, v15
	s_delay_alu instid0(VALU_DEP_2)
	v_or_b32_e32 v14, v18, v14
	s_wait_alu 0xfffe
	s_and_not1_b32 exec_lo, exec_lo, s12
	s_cbranch_execnz .LBB5_14
; %bb.15:                               ;   in Loop: Header=BB5_3 Depth=1
	s_or_b32 exec_lo, exec_lo, s12
.LBB5_16:                               ;   in Loop: Header=BB5_3 Depth=1
	s_wait_alu 0xfffe
	s_or_b32 exec_lo, exec_lo, s11
	v_dual_mov_b32 v19, v17 :: v_dual_mov_b32 v18, v16
                                        ; implicit-def: $vgpr0
.LBB5_17:                               ;   in Loop: Header=BB5_3 Depth=1
	s_wait_alu 0xfffe
	s_or_saveexec_b32 s0, s10
	v_mov_b32_e32 v10, 0
	s_wait_alu 0xfffe
	s_xor_b32 exec_lo, exec_lo, s0
	s_cbranch_execz .LBB5_19
; %bb.18:                               ;   in Loop: Header=BB5_3 Depth=1
	global_load_b64 v[14:15], v[16:17], off
	v_add_nc_u32_e32 v10, -8, v0
.LBB5_19:                               ;   in Loop: Header=BB5_3 Depth=1
	s_or_b32 exec_lo, exec_lo, s0
	v_add_co_u32 v20, s0, v18, 8
	s_wait_alu 0xf1ff
	v_add_co_ci_u32_e64 v21, null, 0, v19, s0
	s_mov_b32 s0, exec_lo
	v_cmpx_gt_u32_e32 8, v10
	s_wait_alu 0xfffe
	s_xor_b32 s10, exec_lo, s0
	s_cbranch_execz .LBB5_25
; %bb.20:                               ;   in Loop: Header=BB5_3 Depth=1
	v_mov_b32_e32 v16, 0
	v_mov_b32_e32 v17, 0
	s_mov_b32 s11, exec_lo
	v_cmpx_ne_u32_e32 0, v10
	s_cbranch_execz .LBB5_24
; %bb.21:                               ;   in Loop: Header=BB5_3 Depth=1
	v_mov_b32_e32 v16, 0
	v_mov_b32_e32 v17, 0
	s_mov_b64 s[0:1], 0
	s_mov_b32 s12, 0
	s_mov_b64 s[4:5], 0
.LBB5_22:                               ;   Parent Loop BB5_3 Depth=1
                                        ; =>  This Inner Loop Header: Depth=2
	s_wait_alu 0xfffe
	v_add_co_u32 v20, vcc_lo, v18, s4
	s_wait_alu 0xfffd
	v_add_co_ci_u32_e64 v21, null, s5, v19, vcc_lo
	s_add_nc_u64 s[4:5], s[4:5], 1
	s_wait_alu 0xfffe
	v_cmp_eq_u32_e32 vcc_lo, s4, v10
	global_load_u8 v0, v[20:21], off
	v_mov_b32_e32 v21, s7
	s_or_b32 s12, vcc_lo, s12
	s_wait_loadcnt 0x0
	v_and_b32_e32 v20, 0xffff, v0
	s_delay_alu instid0(VALU_DEP_1) | instskip(SKIP_1) | instid1(VALU_DEP_1)
	v_lshlrev_b64_e32 v[20:21], s0, v[20:21]
	s_add_nc_u64 s[0:1], s[0:1], 8
	v_or_b32_e32 v17, v21, v17
	s_delay_alu instid0(VALU_DEP_2)
	v_or_b32_e32 v16, v20, v16
	s_wait_alu 0xfffe
	s_and_not1_b32 exec_lo, exec_lo, s12
	s_cbranch_execnz .LBB5_22
; %bb.23:                               ;   in Loop: Header=BB5_3 Depth=1
	s_or_b32 exec_lo, exec_lo, s12
.LBB5_24:                               ;   in Loop: Header=BB5_3 Depth=1
	s_wait_alu 0xfffe
	s_or_b32 exec_lo, exec_lo, s11
	v_dual_mov_b32 v21, v19 :: v_dual_mov_b32 v20, v18
                                        ; implicit-def: $vgpr10
.LBB5_25:                               ;   in Loop: Header=BB5_3 Depth=1
	s_wait_alu 0xfffe
	s_or_saveexec_b32 s0, s10
	v_mov_b32_e32 v0, 0
	s_wait_alu 0xfffe
	s_xor_b32 exec_lo, exec_lo, s0
	s_cbranch_execz .LBB5_27
; %bb.26:                               ;   in Loop: Header=BB5_3 Depth=1
	global_load_b64 v[16:17], v[18:19], off
	v_add_nc_u32_e32 v0, -8, v10
.LBB5_27:                               ;   in Loop: Header=BB5_3 Depth=1
	s_or_b32 exec_lo, exec_lo, s0
	v_add_co_u32 v22, s0, v20, 8
	s_wait_alu 0xf1ff
	v_add_co_ci_u32_e64 v23, null, 0, v21, s0
                                        ; implicit-def: $vgpr18_vgpr19
	s_mov_b32 s0, exec_lo
	v_cmpx_gt_u32_e32 8, v0
	s_wait_alu 0xfffe
	s_xor_b32 s10, exec_lo, s0
	s_cbranch_execz .LBB5_33
; %bb.28:                               ;   in Loop: Header=BB5_3 Depth=1
	v_mov_b32_e32 v18, 0
	v_mov_b32_e32 v19, 0
	s_mov_b32 s11, exec_lo
	v_cmpx_ne_u32_e32 0, v0
	s_cbranch_execz .LBB5_32
; %bb.29:                               ;   in Loop: Header=BB5_3 Depth=1
	v_mov_b32_e32 v18, 0
	v_mov_b32_e32 v19, 0
	s_mov_b64 s[0:1], 0
	s_mov_b32 s12, 0
	s_mov_b64 s[4:5], 0
.LBB5_30:                               ;   Parent Loop BB5_3 Depth=1
                                        ; =>  This Inner Loop Header: Depth=2
	s_wait_alu 0xfffe
	v_add_co_u32 v22, vcc_lo, v20, s4
	s_wait_alu 0xfffd
	v_add_co_ci_u32_e64 v23, null, s5, v21, vcc_lo
	s_add_nc_u64 s[4:5], s[4:5], 1
	s_wait_alu 0xfffe
	v_cmp_eq_u32_e32 vcc_lo, s4, v0
	global_load_u8 v10, v[22:23], off
	v_mov_b32_e32 v23, s7
	s_or_b32 s12, vcc_lo, s12
	s_wait_loadcnt 0x0
	v_and_b32_e32 v22, 0xffff, v10
	s_delay_alu instid0(VALU_DEP_1) | instskip(SKIP_1) | instid1(VALU_DEP_1)
	v_lshlrev_b64_e32 v[22:23], s0, v[22:23]
	s_add_nc_u64 s[0:1], s[0:1], 8
	v_or_b32_e32 v19, v23, v19
	s_delay_alu instid0(VALU_DEP_2)
	v_or_b32_e32 v18, v22, v18
	s_wait_alu 0xfffe
	s_and_not1_b32 exec_lo, exec_lo, s12
	s_cbranch_execnz .LBB5_30
; %bb.31:                               ;   in Loop: Header=BB5_3 Depth=1
	s_or_b32 exec_lo, exec_lo, s12
.LBB5_32:                               ;   in Loop: Header=BB5_3 Depth=1
	s_wait_alu 0xfffe
	s_or_b32 exec_lo, exec_lo, s11
	v_dual_mov_b32 v23, v21 :: v_dual_mov_b32 v22, v20
                                        ; implicit-def: $vgpr0
.LBB5_33:                               ;   in Loop: Header=BB5_3 Depth=1
	s_wait_alu 0xfffe
	s_or_saveexec_b32 s0, s10
	v_mov_b32_e32 v10, 0
	s_wait_alu 0xfffe
	s_xor_b32 exec_lo, exec_lo, s0
	s_cbranch_execz .LBB5_35
; %bb.34:                               ;   in Loop: Header=BB5_3 Depth=1
	global_load_b64 v[18:19], v[20:21], off
	v_add_nc_u32_e32 v10, -8, v0
.LBB5_35:                               ;   in Loop: Header=BB5_3 Depth=1
	s_or_b32 exec_lo, exec_lo, s0
	v_add_co_u32 v24, s0, v22, 8
	s_wait_alu 0xf1ff
	v_add_co_ci_u32_e64 v25, null, 0, v23, s0
	s_mov_b32 s0, exec_lo
	v_cmpx_gt_u32_e32 8, v10
	s_wait_alu 0xfffe
	s_xor_b32 s10, exec_lo, s0
	s_cbranch_execz .LBB5_41
; %bb.36:                               ;   in Loop: Header=BB5_3 Depth=1
	v_mov_b32_e32 v20, 0
	v_mov_b32_e32 v21, 0
	s_mov_b32 s11, exec_lo
	v_cmpx_ne_u32_e32 0, v10
	s_cbranch_execz .LBB5_40
; %bb.37:                               ;   in Loop: Header=BB5_3 Depth=1
	v_mov_b32_e32 v20, 0
	v_mov_b32_e32 v21, 0
	s_mov_b64 s[0:1], 0
	s_mov_b32 s12, 0
	s_mov_b64 s[4:5], 0
.LBB5_38:                               ;   Parent Loop BB5_3 Depth=1
                                        ; =>  This Inner Loop Header: Depth=2
	s_wait_alu 0xfffe
	v_add_co_u32 v24, vcc_lo, v22, s4
	s_wait_alu 0xfffd
	v_add_co_ci_u32_e64 v25, null, s5, v23, vcc_lo
	s_add_nc_u64 s[4:5], s[4:5], 1
	s_wait_alu 0xfffe
	v_cmp_eq_u32_e32 vcc_lo, s4, v10
	global_load_u8 v0, v[24:25], off
	v_mov_b32_e32 v25, s7
	s_or_b32 s12, vcc_lo, s12
	s_wait_loadcnt 0x0
	v_and_b32_e32 v24, 0xffff, v0
	s_delay_alu instid0(VALU_DEP_1) | instskip(SKIP_1) | instid1(VALU_DEP_1)
	v_lshlrev_b64_e32 v[24:25], s0, v[24:25]
	s_add_nc_u64 s[0:1], s[0:1], 8
	v_or_b32_e32 v21, v25, v21
	s_delay_alu instid0(VALU_DEP_2)
	v_or_b32_e32 v20, v24, v20
	s_wait_alu 0xfffe
	s_and_not1_b32 exec_lo, exec_lo, s12
	s_cbranch_execnz .LBB5_38
; %bb.39:                               ;   in Loop: Header=BB5_3 Depth=1
	s_or_b32 exec_lo, exec_lo, s12
.LBB5_40:                               ;   in Loop: Header=BB5_3 Depth=1
	s_wait_alu 0xfffe
	s_or_b32 exec_lo, exec_lo, s11
	v_dual_mov_b32 v25, v23 :: v_dual_mov_b32 v24, v22
                                        ; implicit-def: $vgpr10
.LBB5_41:                               ;   in Loop: Header=BB5_3 Depth=1
	s_wait_alu 0xfffe
	s_or_saveexec_b32 s0, s10
	v_mov_b32_e32 v0, 0
	s_wait_alu 0xfffe
	s_xor_b32 exec_lo, exec_lo, s0
	s_cbranch_execz .LBB5_43
; %bb.42:                               ;   in Loop: Header=BB5_3 Depth=1
	global_load_b64 v[20:21], v[22:23], off
	v_add_nc_u32_e32 v0, -8, v10
.LBB5_43:                               ;   in Loop: Header=BB5_3 Depth=1
	s_or_b32 exec_lo, exec_lo, s0
	v_add_co_u32 v26, s0, v24, 8
	s_wait_alu 0xf1ff
	v_add_co_ci_u32_e64 v27, null, 0, v25, s0
                                        ; implicit-def: $vgpr22_vgpr23
	s_mov_b32 s0, exec_lo
	v_cmpx_gt_u32_e32 8, v0
	s_wait_alu 0xfffe
	s_xor_b32 s10, exec_lo, s0
	s_cbranch_execz .LBB5_49
; %bb.44:                               ;   in Loop: Header=BB5_3 Depth=1
	v_mov_b32_e32 v22, 0
	v_mov_b32_e32 v23, 0
	s_mov_b32 s11, exec_lo
	v_cmpx_ne_u32_e32 0, v0
	s_cbranch_execz .LBB5_48
; %bb.45:                               ;   in Loop: Header=BB5_3 Depth=1
	v_mov_b32_e32 v22, 0
	v_mov_b32_e32 v23, 0
	s_mov_b64 s[0:1], 0
	s_mov_b32 s12, 0
	s_mov_b64 s[4:5], 0
.LBB5_46:                               ;   Parent Loop BB5_3 Depth=1
                                        ; =>  This Inner Loop Header: Depth=2
	s_wait_alu 0xfffe
	v_add_co_u32 v26, vcc_lo, v24, s4
	s_wait_alu 0xfffd
	v_add_co_ci_u32_e64 v27, null, s5, v25, vcc_lo
	s_add_nc_u64 s[4:5], s[4:5], 1
	s_wait_alu 0xfffe
	v_cmp_eq_u32_e32 vcc_lo, s4, v0
	global_load_u8 v10, v[26:27], off
	v_mov_b32_e32 v27, s7
	s_or_b32 s12, vcc_lo, s12
	s_wait_loadcnt 0x0
	v_and_b32_e32 v26, 0xffff, v10
	s_delay_alu instid0(VALU_DEP_1) | instskip(SKIP_1) | instid1(VALU_DEP_1)
	v_lshlrev_b64_e32 v[26:27], s0, v[26:27]
	s_add_nc_u64 s[0:1], s[0:1], 8
	v_or_b32_e32 v23, v27, v23
	s_delay_alu instid0(VALU_DEP_2)
	v_or_b32_e32 v22, v26, v22
	s_wait_alu 0xfffe
	s_and_not1_b32 exec_lo, exec_lo, s12
	s_cbranch_execnz .LBB5_46
; %bb.47:                               ;   in Loop: Header=BB5_3 Depth=1
	s_or_b32 exec_lo, exec_lo, s12
.LBB5_48:                               ;   in Loop: Header=BB5_3 Depth=1
	s_wait_alu 0xfffe
	s_or_b32 exec_lo, exec_lo, s11
	v_dual_mov_b32 v27, v25 :: v_dual_mov_b32 v26, v24
                                        ; implicit-def: $vgpr0
.LBB5_49:                               ;   in Loop: Header=BB5_3 Depth=1
	s_wait_alu 0xfffe
	s_or_saveexec_b32 s0, s10
	v_mov_b32_e32 v10, 0
	s_wait_alu 0xfffe
	s_xor_b32 exec_lo, exec_lo, s0
	s_cbranch_execz .LBB5_51
; %bb.50:                               ;   in Loop: Header=BB5_3 Depth=1
	global_load_b64 v[22:23], v[24:25], off
	v_add_nc_u32_e32 v10, -8, v0
.LBB5_51:                               ;   in Loop: Header=BB5_3 Depth=1
	s_or_b32 exec_lo, exec_lo, s0
	s_delay_alu instid0(SALU_CYCLE_1) | instskip(NEXT) | instid1(VALU_DEP_1)
	s_mov_b32 s0, exec_lo
	v_cmpx_gt_u32_e32 8, v10
	s_wait_alu 0xfffe
	s_xor_b32 s1, exec_lo, s0
	s_cbranch_execz .LBB5_57
; %bb.52:                               ;   in Loop: Header=BB5_3 Depth=1
	v_mov_b32_e32 v24, 0
	v_mov_b32_e32 v25, 0
	s_mov_b32 s10, exec_lo
	v_cmpx_ne_u32_e32 0, v10
	s_cbranch_execz .LBB5_56
; %bb.53:                               ;   in Loop: Header=BB5_3 Depth=1
	v_mov_b32_e32 v24, 0
	v_mov_b32_e32 v25, 0
	s_mov_b64 s[4:5], 0
	s_mov_b32 s11, 0
.LBB5_54:                               ;   Parent Loop BB5_3 Depth=1
                                        ; =>  This Inner Loop Header: Depth=2
	global_load_u8 v0, v[26:27], off
	v_dual_mov_b32 v29, s7 :: v_dual_add_nc_u32 v10, -1, v10
	v_add_co_u32 v26, vcc_lo, v26, 1
	s_wait_alu 0xfffd
	v_add_co_ci_u32_e64 v27, null, 0, v27, vcc_lo
	s_delay_alu instid0(VALU_DEP_3) | instskip(SKIP_4) | instid1(VALU_DEP_1)
	v_cmp_eq_u32_e64 s0, 0, v10
	s_wait_alu 0xfffe
	s_or_b32 s11, s0, s11
	s_wait_loadcnt 0x0
	v_and_b32_e32 v28, 0xffff, v0
	v_lshlrev_b64_e32 v[28:29], s4, v[28:29]
	s_add_nc_u64 s[4:5], s[4:5], 8
	s_delay_alu instid0(VALU_DEP_1) | instskip(NEXT) | instid1(VALU_DEP_2)
	v_or_b32_e32 v25, v29, v25
	v_or_b32_e32 v24, v28, v24
	s_wait_alu 0xfffe
	s_and_not1_b32 exec_lo, exec_lo, s11
	s_cbranch_execnz .LBB5_54
; %bb.55:                               ;   in Loop: Header=BB5_3 Depth=1
	s_or_b32 exec_lo, exec_lo, s11
.LBB5_56:                               ;   in Loop: Header=BB5_3 Depth=1
	s_wait_alu 0xfffe
	s_or_b32 exec_lo, exec_lo, s10
                                        ; implicit-def: $vgpr26_vgpr27
.LBB5_57:                               ;   in Loop: Header=BB5_3 Depth=1
	s_wait_alu 0xfffe
	s_and_not1_saveexec_b32 s0, s1
	s_cbranch_execz .LBB5_59
; %bb.58:                               ;   in Loop: Header=BB5_3 Depth=1
	global_load_b64 v[24:25], v[26:27], off
.LBB5_59:                               ;   in Loop: Header=BB5_3 Depth=1
	s_wait_alu 0xfffe
	s_or_b32 exec_lo, exec_lo, s0
	v_readfirstlane_b32 s0, v38
	v_mov_b32_e32 v34, 0
	v_mov_b32_e32 v35, 0
	s_wait_alu 0xf1ff
	s_delay_alu instid0(VALU_DEP_3)
	v_cmp_eq_u32_e64 s0, s0, v38
	s_and_saveexec_b32 s1, s0
	s_cbranch_execz .LBB5_65
; %bb.60:                               ;   in Loop: Header=BB5_3 Depth=1
	s_wait_kmcnt 0x0
	global_load_b64 v[28:29], v11, s[2:3] offset:24 scope:SCOPE_SYS
	s_wait_loadcnt 0x0
	global_inv scope:SCOPE_SYS
	s_clause 0x1
	global_load_b64 v[26:27], v11, s[2:3] offset:40
	global_load_b64 v[34:35], v11, s[2:3]
	s_mov_b32 s4, exec_lo
	s_wait_loadcnt 0x1
	v_and_b32_e32 v0, v27, v29
	v_and_b32_e32 v10, v26, v28
	s_delay_alu instid0(VALU_DEP_2) | instskip(NEXT) | instid1(VALU_DEP_2)
	v_mul_lo_u32 v0, 24, v0
	v_mul_lo_u32 v26, 0, v10
	v_mul_hi_u32 v27, 24, v10
	v_mul_lo_u32 v10, 24, v10
	s_delay_alu instid0(VALU_DEP_3) | instskip(SKIP_1) | instid1(VALU_DEP_2)
	v_add_nc_u32_e32 v0, v0, v26
	s_wait_loadcnt 0x0
	v_add_co_u32 v26, vcc_lo, v34, v10
	s_delay_alu instid0(VALU_DEP_2) | instskip(SKIP_1) | instid1(VALU_DEP_1)
	v_add_nc_u32_e32 v0, v0, v27
	s_wait_alu 0xfffd
	v_add_co_ci_u32_e64 v27, null, v35, v0, vcc_lo
	global_load_b64 v[26:27], v[26:27], off scope:SCOPE_SYS
	s_wait_loadcnt 0x0
	global_atomic_cmpswap_b64 v[34:35], v11, v[26:29], s[2:3] offset:24 th:TH_ATOMIC_RETURN scope:SCOPE_SYS
	s_wait_loadcnt 0x0
	global_inv scope:SCOPE_SYS
	v_cmpx_ne_u64_e64 v[34:35], v[28:29]
	s_cbranch_execz .LBB5_64
; %bb.61:                               ;   in Loop: Header=BB5_3 Depth=1
	s_mov_b32 s5, 0
.LBB5_62:                               ;   Parent Loop BB5_3 Depth=1
                                        ; =>  This Inner Loop Header: Depth=2
	s_sleep 1
	s_clause 0x1
	global_load_b64 v[26:27], v11, s[2:3] offset:40
	global_load_b64 v[36:37], v11, s[2:3]
	v_dual_mov_b32 v28, v34 :: v_dual_mov_b32 v29, v35
	s_wait_loadcnt 0x1
	s_delay_alu instid0(VALU_DEP_1) | instskip(NEXT) | instid1(VALU_DEP_2)
	v_and_b32_e32 v0, v26, v28
	v_and_b32_e32 v10, v27, v29
	s_wait_loadcnt 0x0
	s_delay_alu instid0(VALU_DEP_2) | instskip(NEXT) | instid1(VALU_DEP_1)
	v_mad_co_u64_u32 v[34:35], null, v0, 24, v[36:37]
	v_mov_b32_e32 v0, v35
	s_delay_alu instid0(VALU_DEP_1) | instskip(NEXT) | instid1(VALU_DEP_1)
	v_mad_co_u64_u32 v[26:27], null, v10, 24, v[0:1]
	v_mov_b32_e32 v35, v26
	global_load_b64 v[26:27], v[34:35], off scope:SCOPE_SYS
	s_wait_loadcnt 0x0
	global_atomic_cmpswap_b64 v[34:35], v11, v[26:29], s[2:3] offset:24 th:TH_ATOMIC_RETURN scope:SCOPE_SYS
	s_wait_loadcnt 0x0
	global_inv scope:SCOPE_SYS
	v_cmp_eq_u64_e32 vcc_lo, v[34:35], v[28:29]
	s_wait_alu 0xfffe
	s_or_b32 s5, vcc_lo, s5
	s_wait_alu 0xfffe
	s_and_not1_b32 exec_lo, exec_lo, s5
	s_cbranch_execnz .LBB5_62
; %bb.63:                               ;   in Loop: Header=BB5_3 Depth=1
	s_or_b32 exec_lo, exec_lo, s5
.LBB5_64:                               ;   in Loop: Header=BB5_3 Depth=1
	s_wait_alu 0xfffe
	s_or_b32 exec_lo, exec_lo, s4
.LBB5_65:                               ;   in Loop: Header=BB5_3 Depth=1
	s_wait_alu 0xfffe
	s_or_b32 exec_lo, exec_lo, s1
	s_wait_kmcnt 0x0
	s_clause 0x1
	global_load_b64 v[36:37], v11, s[2:3] offset:40
	global_load_b128 v[26:29], v11, s[2:3]
	v_readfirstlane_b32 s5, v35
	v_readfirstlane_b32 s4, v34
	s_mov_b32 s1, exec_lo
	s_wait_loadcnt 0x1
	s_wait_alu 0xf1ff
	v_and_b32_e32 v37, s5, v37
	v_and_b32_e32 v36, s4, v36
	s_delay_alu instid0(VALU_DEP_2) | instskip(NEXT) | instid1(VALU_DEP_2)
	v_mul_lo_u32 v0, 24, v37
	v_mul_lo_u32 v10, 0, v36
	v_mul_hi_u32 v34, 24, v36
	v_mul_lo_u32 v35, 24, v36
	s_delay_alu instid0(VALU_DEP_3) | instskip(NEXT) | instid1(VALU_DEP_1)
	v_add_nc_u32_e32 v0, v0, v10
	v_add_nc_u32_e32 v0, v0, v34
	s_wait_loadcnt 0x0
	s_delay_alu instid0(VALU_DEP_3) | instskip(SKIP_1) | instid1(VALU_DEP_2)
	v_add_co_u32 v34, vcc_lo, v26, v35
	s_wait_alu 0xfffd
	v_add_co_ci_u32_e64 v35, null, v27, v0, vcc_lo
	s_and_saveexec_b32 s10, s0
	s_cbranch_execz .LBB5_67
; %bb.66:                               ;   in Loop: Header=BB5_3 Depth=1
	s_wait_alu 0xfffe
	v_mov_b32_e32 v10, s1
	global_store_b128 v[34:35], v[10:13], off offset:8
.LBB5_67:                               ;   in Loop: Header=BB5_3 Depth=1
	s_wait_alu 0xfffe
	s_or_b32 exec_lo, exec_lo, s10
	v_cmp_gt_u64_e32 vcc_lo, 57, v[4:5]
	v_lshlrev_b64_e32 v[36:37], 12, v[36:37]
	v_and_b32_e32 v6, 0xffffff1f, v6
	v_lshl_add_u32 v10, v32, 2, 28
	s_wait_alu 0xfffd
	v_cndmask_b32_e32 v0, 0, v2, vcc_lo
	s_delay_alu instid0(VALU_DEP_1) | instskip(SKIP_3) | instid1(VALU_DEP_3)
	v_or_b32_e32 v6, v6, v0
	v_add_co_u32 v0, vcc_lo, v28, v36
	s_wait_alu 0xfffd
	v_add_co_ci_u32_e64 v28, null, v29, v37, vcc_lo
	v_and_or_b32 v6, 0x1e0, v10, v6
	v_lshlrev_b32_e32 v29, 6, v38
	v_readfirstlane_b32 s10, v0
	s_delay_alu instid0(VALU_DEP_4)
	v_readfirstlane_b32 s11, v28
	s_clause 0x3
	global_store_b128 v29, v[6:9], s[10:11]
	global_store_b128 v29, v[14:17], s[10:11] offset:16
	global_store_b128 v29, v[18:21], s[10:11] offset:32
	global_store_b128 v29, v[22:25], s[10:11] offset:48
	s_and_saveexec_b32 s1, s0
	s_cbranch_execz .LBB5_75
; %bb.68:                               ;   in Loop: Header=BB5_3 Depth=1
	s_clause 0x1
	global_load_b64 v[18:19], v11, s[2:3] offset:32 scope:SCOPE_SYS
	global_load_b64 v[6:7], v11, s[2:3] offset:40
	s_mov_b32 s10, exec_lo
	v_dual_mov_b32 v16, s4 :: v_dual_mov_b32 v17, s5
	s_wait_loadcnt 0x0
	v_and_b32_e32 v6, s4, v6
	v_and_b32_e32 v7, s5, v7
	s_delay_alu instid0(VALU_DEP_2) | instskip(NEXT) | instid1(VALU_DEP_2)
	v_mul_lo_u32 v8, 0, v6
	v_mul_lo_u32 v7, 24, v7
	v_mul_hi_u32 v9, 24, v6
	v_mul_lo_u32 v6, 24, v6
	s_delay_alu instid0(VALU_DEP_3) | instskip(NEXT) | instid1(VALU_DEP_2)
	v_add_nc_u32_e32 v7, v7, v8
	v_add_co_u32 v14, vcc_lo, v26, v6
	s_delay_alu instid0(VALU_DEP_2) | instskip(SKIP_1) | instid1(VALU_DEP_1)
	v_add_nc_u32_e32 v7, v7, v9
	s_wait_alu 0xfffd
	v_add_co_ci_u32_e64 v15, null, v27, v7, vcc_lo
	global_store_b64 v[14:15], v[18:19], off
	global_wb scope:SCOPE_SYS
	s_wait_storecnt 0x0
	global_atomic_cmpswap_b64 v[8:9], v11, v[16:19], s[2:3] offset:32 th:TH_ATOMIC_RETURN scope:SCOPE_SYS
	s_wait_loadcnt 0x0
	v_cmpx_ne_u64_e64 v[8:9], v[18:19]
	s_cbranch_execz .LBB5_71
; %bb.69:                               ;   in Loop: Header=BB5_3 Depth=1
	s_mov_b32 s11, 0
.LBB5_70:                               ;   Parent Loop BB5_3 Depth=1
                                        ; =>  This Inner Loop Header: Depth=2
	v_dual_mov_b32 v6, s4 :: v_dual_mov_b32 v7, s5
	s_sleep 1
	global_store_b64 v[14:15], v[8:9], off
	global_wb scope:SCOPE_SYS
	s_wait_storecnt 0x0
	global_atomic_cmpswap_b64 v[6:7], v11, v[6:9], s[2:3] offset:32 th:TH_ATOMIC_RETURN scope:SCOPE_SYS
	s_wait_loadcnt 0x0
	v_cmp_eq_u64_e32 vcc_lo, v[6:7], v[8:9]
	v_dual_mov_b32 v9, v7 :: v_dual_mov_b32 v8, v6
	s_wait_alu 0xfffe
	s_or_b32 s11, vcc_lo, s11
	s_wait_alu 0xfffe
	s_and_not1_b32 exec_lo, exec_lo, s11
	s_cbranch_execnz .LBB5_70
.LBB5_71:                               ;   in Loop: Header=BB5_3 Depth=1
	s_wait_alu 0xfffe
	s_or_b32 exec_lo, exec_lo, s10
	global_load_b64 v[6:7], v11, s[2:3] offset:16
	s_mov_b32 s11, exec_lo
	s_mov_b32 s10, exec_lo
	s_wait_alu 0xfffe
	v_mbcnt_lo_u32_b32 v8, s11, 0
	s_delay_alu instid0(VALU_DEP_1)
	v_cmpx_eq_u32_e32 0, v8
	s_cbranch_execz .LBB5_73
; %bb.72:                               ;   in Loop: Header=BB5_3 Depth=1
	s_bcnt1_i32_b32 s11, s11
	s_wait_alu 0xfffe
	v_mov_b32_e32 v10, s11
	global_wb scope:SCOPE_SYS
	s_wait_loadcnt 0x0
	s_wait_storecnt 0x0
	global_atomic_add_u64 v[6:7], v[10:11], off offset:8 scope:SCOPE_SYS
.LBB5_73:                               ;   in Loop: Header=BB5_3 Depth=1
	s_or_b32 exec_lo, exec_lo, s10
	s_wait_loadcnt 0x0
	global_load_b64 v[8:9], v[6:7], off offset:16
	s_wait_loadcnt 0x0
	v_cmp_eq_u64_e32 vcc_lo, 0, v[8:9]
	s_cbranch_vccnz .LBB5_75
; %bb.74:                               ;   in Loop: Header=BB5_3 Depth=1
	global_load_b32 v10, v[6:7], off offset:24
	s_wait_loadcnt 0x0
	v_readfirstlane_b32 s10, v10
	global_wb scope:SCOPE_SYS
	s_wait_storecnt 0x0
	global_store_b64 v[8:9], v[10:11], off scope:SCOPE_SYS
	s_and_b32 m0, s10, 0xffffff
	s_sendmsg sendmsg(MSG_INTERRUPT)
.LBB5_75:                               ;   in Loop: Header=BB5_3 Depth=1
	s_wait_alu 0xfffe
	s_or_b32 exec_lo, exec_lo, s1
	v_add_co_u32 v6, vcc_lo, v0, v29
	s_wait_alu 0xfffd
	v_add_co_ci_u32_e64 v7, null, 0, v28, vcc_lo
	s_branch .LBB5_79
.LBB5_76:                               ;   in Loop: Header=BB5_79 Depth=2
	s_wait_alu 0xfffe
	s_or_b32 exec_lo, exec_lo, s1
	s_delay_alu instid0(VALU_DEP_1)
	v_readfirstlane_b32 s1, v0
	s_cmp_eq_u32 s1, 0
	s_cbranch_scc1 .LBB5_78
; %bb.77:                               ;   in Loop: Header=BB5_79 Depth=2
	s_sleep 1
	s_cbranch_execnz .LBB5_79
	s_branch .LBB5_81
.LBB5_78:                               ;   in Loop: Header=BB5_3 Depth=1
	s_branch .LBB5_81
.LBB5_79:                               ;   Parent Loop BB5_3 Depth=1
                                        ; =>  This Inner Loop Header: Depth=2
	v_mov_b32_e32 v0, 1
	s_and_saveexec_b32 s1, s0
	s_cbranch_execz .LBB5_76
; %bb.80:                               ;   in Loop: Header=BB5_79 Depth=2
	global_load_b32 v0, v[34:35], off offset:20 scope:SCOPE_SYS
	s_wait_loadcnt 0x0
	global_inv scope:SCOPE_SYS
	v_and_b32_e32 v0, 1, v0
	s_branch .LBB5_76
.LBB5_81:                               ;   in Loop: Header=BB5_3 Depth=1
	global_load_b64 v[6:7], v[6:7], off
	s_and_saveexec_b32 s10, s0
	s_cbranch_execz .LBB5_2
; %bb.82:                               ;   in Loop: Header=BB5_3 Depth=1
	s_clause 0x2
	global_load_b64 v[8:9], v11, s[2:3] offset:40
	global_load_b64 v[18:19], v11, s[2:3] offset:24 scope:SCOPE_SYS
	global_load_b64 v[14:15], v11, s[2:3]
	s_wait_loadcnt 0x2
	v_readfirstlane_b32 s12, v8
	v_readfirstlane_b32 s13, v9
	s_add_nc_u64 s[0:1], s[12:13], 1
	s_wait_alu 0xfffe
	s_add_nc_u64 s[4:5], s[0:1], s[4:5]
	s_wait_alu 0xfffe
	s_cmp_eq_u64 s[4:5], 0
	s_cselect_b32 s1, s1, s5
	s_cselect_b32 s0, s0, s4
	s_wait_alu 0xfffe
	v_dual_mov_b32 v17, s1 :: v_dual_mov_b32 v16, s0
	s_and_b64 s[4:5], s[0:1], s[12:13]
	s_wait_alu 0xfffe
	s_mul_u64 s[4:5], s[4:5], 24
	s_wait_loadcnt 0x0
	s_wait_alu 0xfffe
	v_add_co_u32 v8, vcc_lo, v14, s4
	s_wait_alu 0xfffd
	v_add_co_ci_u32_e64 v9, null, s5, v15, vcc_lo
	global_store_b64 v[8:9], v[18:19], off
	global_wb scope:SCOPE_SYS
	s_wait_storecnt 0x0
	global_atomic_cmpswap_b64 v[16:17], v11, v[16:19], s[2:3] offset:24 th:TH_ATOMIC_RETURN scope:SCOPE_SYS
	s_wait_loadcnt 0x0
	v_cmp_ne_u64_e32 vcc_lo, v[16:17], v[18:19]
	s_and_b32 exec_lo, exec_lo, vcc_lo
	s_cbranch_execz .LBB5_2
; %bb.83:                               ;   in Loop: Header=BB5_3 Depth=1
	s_mov_b32 s4, 0
.LBB5_84:                               ;   Parent Loop BB5_3 Depth=1
                                        ; =>  This Inner Loop Header: Depth=2
	v_dual_mov_b32 v14, s0 :: v_dual_mov_b32 v15, s1
	s_sleep 1
	global_store_b64 v[8:9], v[16:17], off
	global_wb scope:SCOPE_SYS
	s_wait_storecnt 0x0
	global_atomic_cmpswap_b64 v[14:15], v11, v[14:17], s[2:3] offset:24 th:TH_ATOMIC_RETURN scope:SCOPE_SYS
	s_wait_loadcnt 0x0
	v_cmp_eq_u64_e32 vcc_lo, v[14:15], v[16:17]
	v_dual_mov_b32 v17, v15 :: v_dual_mov_b32 v16, v14
	s_wait_alu 0xfffe
	s_or_b32 s4, vcc_lo, s4
	s_wait_alu 0xfffe
	s_and_not1_b32 exec_lo, exec_lo, s4
	s_cbranch_execnz .LBB5_84
	s_branch .LBB5_2
.LBB5_85:
	s_or_b32 exec_lo, exec_lo, s6
.LBB5_86:
	s_wait_loadcnt 0x0
	v_dual_mov_b32 v0, v6 :: v_dual_mov_b32 v1, v7
	s_wait_kmcnt 0x0
	s_setpc_b64 s[30:31]
.LBB5_87:
                                        ; implicit-def: $vgpr6_vgpr7
	s_cbranch_execz .LBB5_86
; %bb.88:
	s_load_b64 s[2:3], s[8:9], 0x50
	v_readfirstlane_b32 s0, v38
	v_mov_b32_e32 v8, 0
	v_mov_b32_e32 v9, 0
	s_wait_alu 0xf1ff
	s_delay_alu instid0(VALU_DEP_3)
	v_cmp_eq_u32_e64 s0, s0, v38
	s_and_saveexec_b32 s1, s0
	s_cbranch_execz .LBB5_94
; %bb.89:
	v_mov_b32_e32 v0, 0
	s_mov_b32 s4, exec_lo
	s_wait_loadcnt 0x0
	s_wait_kmcnt 0x0
	global_load_b64 v[6:7], v0, s[2:3] offset:24 scope:SCOPE_SYS
	s_wait_loadcnt 0x0
	global_inv scope:SCOPE_SYS
	s_clause 0x1
	global_load_b64 v[4:5], v0, s[2:3] offset:40
	global_load_b64 v[8:9], v0, s[2:3]
	s_wait_loadcnt 0x1
	v_and_b32_e32 v2, v5, v7
	v_and_b32_e32 v4, v4, v6
	s_delay_alu instid0(VALU_DEP_2) | instskip(NEXT) | instid1(VALU_DEP_2)
	v_mul_lo_u32 v2, 24, v2
	v_mul_lo_u32 v5, 0, v4
	v_mul_hi_u32 v10, 24, v4
	v_mul_lo_u32 v4, 24, v4
	s_delay_alu instid0(VALU_DEP_3) | instskip(SKIP_1) | instid1(VALU_DEP_2)
	v_add_nc_u32_e32 v2, v2, v5
	s_wait_loadcnt 0x0
	v_add_co_u32 v4, vcc_lo, v8, v4
	s_delay_alu instid0(VALU_DEP_2) | instskip(SKIP_1) | instid1(VALU_DEP_1)
	v_add_nc_u32_e32 v2, v2, v10
	s_wait_alu 0xfffd
	v_add_co_ci_u32_e64 v5, null, v9, v2, vcc_lo
	global_load_b64 v[4:5], v[4:5], off scope:SCOPE_SYS
	s_wait_loadcnt 0x0
	global_atomic_cmpswap_b64 v[8:9], v0, v[4:7], s[2:3] offset:24 th:TH_ATOMIC_RETURN scope:SCOPE_SYS
	s_wait_loadcnt 0x0
	global_inv scope:SCOPE_SYS
	v_cmpx_ne_u64_e64 v[8:9], v[6:7]
	s_cbranch_execz .LBB5_93
; %bb.90:
	s_mov_b32 s5, 0
.LBB5_91:                               ; =>This Inner Loop Header: Depth=1
	s_sleep 1
	s_clause 0x1
	global_load_b64 v[4:5], v0, s[2:3] offset:40
	global_load_b64 v[10:11], v0, s[2:3]
	v_dual_mov_b32 v6, v8 :: v_dual_mov_b32 v7, v9
	s_wait_loadcnt 0x1
	s_delay_alu instid0(VALU_DEP_1) | instskip(NEXT) | instid1(VALU_DEP_2)
	v_and_b32_e32 v2, v4, v6
	v_and_b32_e32 v4, v5, v7
	s_wait_loadcnt 0x0
	s_delay_alu instid0(VALU_DEP_2) | instskip(NEXT) | instid1(VALU_DEP_1)
	v_mad_co_u64_u32 v[8:9], null, v2, 24, v[10:11]
	v_mov_b32_e32 v2, v9
	s_delay_alu instid0(VALU_DEP_1) | instskip(NEXT) | instid1(VALU_DEP_1)
	v_mad_co_u64_u32 v[4:5], null, v4, 24, v[2:3]
	v_mov_b32_e32 v9, v4
	global_load_b64 v[4:5], v[8:9], off scope:SCOPE_SYS
	s_wait_loadcnt 0x0
	global_atomic_cmpswap_b64 v[8:9], v0, v[4:7], s[2:3] offset:24 th:TH_ATOMIC_RETURN scope:SCOPE_SYS
	s_wait_loadcnt 0x0
	global_inv scope:SCOPE_SYS
	v_cmp_eq_u64_e32 vcc_lo, v[8:9], v[6:7]
	s_wait_alu 0xfffe
	s_or_b32 s5, vcc_lo, s5
	s_wait_alu 0xfffe
	s_and_not1_b32 exec_lo, exec_lo, s5
	s_cbranch_execnz .LBB5_91
; %bb.92:
	s_or_b32 exec_lo, exec_lo, s5
.LBB5_93:
	s_wait_alu 0xfffe
	s_or_b32 exec_lo, exec_lo, s4
.LBB5_94:
	s_wait_alu 0xfffe
	s_or_b32 exec_lo, exec_lo, s1
	v_readfirstlane_b32 s5, v9
	v_mov_b32_e32 v2, 0
	v_readfirstlane_b32 s4, v8
	s_mov_b32 s1, exec_lo
	s_wait_kmcnt 0x0
	global_load_b64 v[10:11], v2, s[2:3] offset:40
	s_wait_loadcnt 0x1
	global_load_b128 v[4:7], v2, s[2:3]
	s_wait_loadcnt 0x1
	s_wait_alu 0xf1ff
	v_and_b32_e32 v11, s5, v11
	v_and_b32_e32 v10, s4, v10
	s_delay_alu instid0(VALU_DEP_2) | instskip(NEXT) | instid1(VALU_DEP_2)
	v_mul_lo_u32 v0, 24, v11
	v_mul_lo_u32 v8, 0, v10
	v_mul_hi_u32 v9, 24, v10
	v_mul_lo_u32 v12, 24, v10
	s_delay_alu instid0(VALU_DEP_3) | instskip(SKIP_1) | instid1(VALU_DEP_2)
	v_add_nc_u32_e32 v0, v0, v8
	s_wait_loadcnt 0x0
	v_add_co_u32 v8, vcc_lo, v4, v12
	s_delay_alu instid0(VALU_DEP_2) | instskip(SKIP_1) | instid1(VALU_DEP_1)
	v_add_nc_u32_e32 v0, v0, v9
	s_wait_alu 0xfffd
	v_add_co_ci_u32_e64 v9, null, v5, v0, vcc_lo
	s_and_saveexec_b32 s6, s0
	s_cbranch_execz .LBB5_96
; %bb.95:
	s_wait_alu 0xfffe
	v_dual_mov_b32 v12, s1 :: v_dual_mov_b32 v13, v2
	v_dual_mov_b32 v14, 2 :: v_dual_mov_b32 v15, 1
	global_store_b128 v[8:9], v[12:15], off offset:8
.LBB5_96:
	s_wait_alu 0xfffe
	s_or_b32 exec_lo, exec_lo, s6
	v_lshlrev_b64_e32 v[10:11], 12, v[10:11]
	v_lshlrev_b32_e32 v14, 6, v38
	s_mov_b32 s8, 0
	v_and_or_b32 v0, 0xffffff1f, v3, 32
	v_mov_b32_e32 v3, v2
	s_wait_alu 0xfffe
	s_mov_b32 s11, s8
	v_add_co_u32 v6, vcc_lo, v6, v10
	s_wait_alu 0xfffd
	v_add_co_ci_u32_e64 v7, null, v7, v11, vcc_lo
	s_mov_b32 s9, s8
	v_readfirstlane_b32 s6, v6
	v_add_co_u32 v6, vcc_lo, v6, v14
	s_mov_b32 s10, s8
	v_readfirstlane_b32 s7, v7
	s_wait_alu 0xfffe
	v_dual_mov_b32 v13, s11 :: v_dual_mov_b32 v12, s10
	s_wait_alu 0xfffd
	v_add_co_ci_u32_e64 v7, null, 0, v7, vcc_lo
	v_dual_mov_b32 v11, s9 :: v_dual_mov_b32 v10, s8
	s_clause 0x3
	global_store_b128 v14, v[0:3], s[6:7]
	global_store_b128 v14, v[10:13], s[6:7] offset:16
	global_store_b128 v14, v[10:13], s[6:7] offset:32
	;; [unrolled: 1-line block ×3, first 2 shown]
	s_and_saveexec_b32 s1, s0
	s_cbranch_execz .LBB5_104
; %bb.97:
	v_mov_b32_e32 v10, 0
	s_mov_b32 s6, exec_lo
	s_clause 0x1
	global_load_b64 v[13:14], v10, s[2:3] offset:32 scope:SCOPE_SYS
	global_load_b64 v[0:1], v10, s[2:3] offset:40
	v_dual_mov_b32 v11, s4 :: v_dual_mov_b32 v12, s5
	s_wait_loadcnt 0x0
	v_and_b32_e32 v1, s5, v1
	v_and_b32_e32 v0, s4, v0
	s_delay_alu instid0(VALU_DEP_2) | instskip(NEXT) | instid1(VALU_DEP_2)
	v_mul_lo_u32 v1, 24, v1
	v_mul_lo_u32 v2, 0, v0
	v_mul_hi_u32 v3, 24, v0
	v_mul_lo_u32 v0, 24, v0
	s_delay_alu instid0(VALU_DEP_3) | instskip(NEXT) | instid1(VALU_DEP_2)
	v_add_nc_u32_e32 v1, v1, v2
	v_add_co_u32 v4, vcc_lo, v4, v0
	s_delay_alu instid0(VALU_DEP_2) | instskip(SKIP_1) | instid1(VALU_DEP_1)
	v_add_nc_u32_e32 v1, v1, v3
	s_wait_alu 0xfffd
	v_add_co_ci_u32_e64 v5, null, v5, v1, vcc_lo
	global_store_b64 v[4:5], v[13:14], off
	global_wb scope:SCOPE_SYS
	s_wait_storecnt 0x0
	global_atomic_cmpswap_b64 v[2:3], v10, v[11:14], s[2:3] offset:32 th:TH_ATOMIC_RETURN scope:SCOPE_SYS
	s_wait_loadcnt 0x0
	v_cmpx_ne_u64_e64 v[2:3], v[13:14]
	s_cbranch_execz .LBB5_100
; %bb.98:
	s_mov_b32 s7, 0
.LBB5_99:                               ; =>This Inner Loop Header: Depth=1
	v_dual_mov_b32 v0, s4 :: v_dual_mov_b32 v1, s5
	s_sleep 1
	global_store_b64 v[4:5], v[2:3], off
	global_wb scope:SCOPE_SYS
	s_wait_storecnt 0x0
	global_atomic_cmpswap_b64 v[0:1], v10, v[0:3], s[2:3] offset:32 th:TH_ATOMIC_RETURN scope:SCOPE_SYS
	s_wait_loadcnt 0x0
	v_cmp_eq_u64_e32 vcc_lo, v[0:1], v[2:3]
	v_dual_mov_b32 v3, v1 :: v_dual_mov_b32 v2, v0
	s_wait_alu 0xfffe
	s_or_b32 s7, vcc_lo, s7
	s_wait_alu 0xfffe
	s_and_not1_b32 exec_lo, exec_lo, s7
	s_cbranch_execnz .LBB5_99
.LBB5_100:
	s_wait_alu 0xfffe
	s_or_b32 exec_lo, exec_lo, s6
	v_mov_b32_e32 v3, 0
	s_mov_b32 s7, exec_lo
	s_mov_b32 s6, exec_lo
	s_wait_alu 0xfffe
	v_mbcnt_lo_u32_b32 v2, s7, 0
	global_load_b64 v[0:1], v3, s[2:3] offset:16
	v_cmpx_eq_u32_e32 0, v2
	s_cbranch_execz .LBB5_102
; %bb.101:
	s_bcnt1_i32_b32 s7, s7
	s_wait_alu 0xfffe
	v_mov_b32_e32 v2, s7
	global_wb scope:SCOPE_SYS
	s_wait_loadcnt 0x0
	s_wait_storecnt 0x0
	global_atomic_add_u64 v[0:1], v[2:3], off offset:8 scope:SCOPE_SYS
.LBB5_102:
	s_or_b32 exec_lo, exec_lo, s6
	s_wait_loadcnt 0x0
	global_load_b64 v[2:3], v[0:1], off offset:16
	s_wait_loadcnt 0x0
	v_cmp_eq_u64_e32 vcc_lo, 0, v[2:3]
	s_cbranch_vccnz .LBB5_104
; %bb.103:
	global_load_b32 v0, v[0:1], off offset:24
	v_mov_b32_e32 v1, 0
	s_wait_loadcnt 0x0
	v_readfirstlane_b32 s6, v0
	global_wb scope:SCOPE_SYS
	s_wait_storecnt 0x0
	global_store_b64 v[2:3], v[0:1], off scope:SCOPE_SYS
	s_and_b32 m0, s6, 0xffffff
	s_sendmsg sendmsg(MSG_INTERRUPT)
.LBB5_104:
	s_wait_alu 0xfffe
	s_or_b32 exec_lo, exec_lo, s1
	s_branch .LBB5_108
.LBB5_105:                              ;   in Loop: Header=BB5_108 Depth=1
	s_wait_alu 0xfffe
	s_or_b32 exec_lo, exec_lo, s1
	s_delay_alu instid0(VALU_DEP_1)
	v_readfirstlane_b32 s1, v0
	s_cmp_eq_u32 s1, 0
	s_cbranch_scc1 .LBB5_107
; %bb.106:                              ;   in Loop: Header=BB5_108 Depth=1
	s_sleep 1
	s_cbranch_execnz .LBB5_108
	s_branch .LBB5_110
.LBB5_107:
	s_branch .LBB5_110
.LBB5_108:                              ; =>This Inner Loop Header: Depth=1
	v_mov_b32_e32 v0, 1
	s_and_saveexec_b32 s1, s0
	s_cbranch_execz .LBB5_105
; %bb.109:                              ;   in Loop: Header=BB5_108 Depth=1
	global_load_b32 v0, v[8:9], off offset:20 scope:SCOPE_SYS
	s_wait_loadcnt 0x0
	global_inv scope:SCOPE_SYS
	v_and_b32_e32 v0, 1, v0
	s_branch .LBB5_105
.LBB5_110:
	global_load_b64 v[6:7], v[6:7], off
	s_and_saveexec_b32 s6, s0
	s_cbranch_execz .LBB5_114
; %bb.111:
	v_mov_b32_e32 v8, 0
	s_clause 0x2
	global_load_b64 v[0:1], v8, s[2:3] offset:40
	global_load_b64 v[11:12], v8, s[2:3] offset:24 scope:SCOPE_SYS
	global_load_b64 v[2:3], v8, s[2:3]
	s_wait_loadcnt 0x2
	v_readfirstlane_b32 s8, v0
	v_readfirstlane_b32 s9, v1
	s_add_nc_u64 s[0:1], s[8:9], 1
	s_wait_alu 0xfffe
	s_add_nc_u64 s[4:5], s[0:1], s[4:5]
	s_wait_alu 0xfffe
	s_cmp_eq_u64 s[4:5], 0
	s_cselect_b32 s1, s1, s5
	s_cselect_b32 s0, s0, s4
	s_wait_alu 0xfffe
	v_mov_b32_e32 v10, s1
	s_and_b64 s[4:5], s[0:1], s[8:9]
	v_mov_b32_e32 v9, s0
	s_wait_alu 0xfffe
	s_mul_u64 s[4:5], s[4:5], 24
	s_wait_loadcnt 0x0
	s_wait_alu 0xfffe
	v_add_co_u32 v4, vcc_lo, v2, s4
	s_wait_alu 0xfffd
	v_add_co_ci_u32_e64 v5, null, s5, v3, vcc_lo
	global_store_b64 v[4:5], v[11:12], off
	global_wb scope:SCOPE_SYS
	s_wait_storecnt 0x0
	global_atomic_cmpswap_b64 v[2:3], v8, v[9:12], s[2:3] offset:24 th:TH_ATOMIC_RETURN scope:SCOPE_SYS
	s_wait_loadcnt 0x0
	v_cmp_ne_u64_e32 vcc_lo, v[2:3], v[11:12]
	s_and_b32 exec_lo, exec_lo, vcc_lo
	s_cbranch_execz .LBB5_114
; %bb.112:
	s_mov_b32 s4, 0
.LBB5_113:                              ; =>This Inner Loop Header: Depth=1
	v_dual_mov_b32 v0, s0 :: v_dual_mov_b32 v1, s1
	s_sleep 1
	global_store_b64 v[4:5], v[2:3], off
	global_wb scope:SCOPE_SYS
	s_wait_storecnt 0x0
	global_atomic_cmpswap_b64 v[0:1], v8, v[0:3], s[2:3] offset:24 th:TH_ATOMIC_RETURN scope:SCOPE_SYS
	s_wait_loadcnt 0x0
	v_cmp_eq_u64_e32 vcc_lo, v[0:1], v[2:3]
	v_dual_mov_b32 v3, v1 :: v_dual_mov_b32 v2, v0
	s_wait_alu 0xfffe
	s_or_b32 s4, vcc_lo, s4
	s_wait_alu 0xfffe
	s_and_not1_b32 exec_lo, exec_lo, s4
	s_cbranch_execnz .LBB5_113
.LBB5_114:
	s_wait_alu 0xfffe
	s_or_b32 exec_lo, exec_lo, s6
	s_wait_loadcnt 0x0
	v_dual_mov_b32 v0, v6 :: v_dual_mov_b32 v1, v7
	s_wait_kmcnt 0x0
	s_setpc_b64 s[30:31]
.Lfunc_end5:
	.size	__ockl_printf_append_string_n, .Lfunc_end5-__ockl_printf_append_string_n
                                        ; -- End function
	.set .L__ockl_printf_append_string_n.num_vgpr, 39
	.set .L__ockl_printf_append_string_n.num_agpr, 0
	.set .L__ockl_printf_append_string_n.numbered_sgpr, 32
	.set .L__ockl_printf_append_string_n.num_named_barrier, 0
	.set .L__ockl_printf_append_string_n.private_seg_size, 0
	.set .L__ockl_printf_append_string_n.uses_vcc, 1
	.set .L__ockl_printf_append_string_n.uses_flat_scratch, 0
	.set .L__ockl_printf_append_string_n.has_dyn_sized_stack, 0
	.set .L__ockl_printf_append_string_n.has_recursion, 0
	.set .L__ockl_printf_append_string_n.has_indirect_call, 0
	.section	.AMDGPU.csdata,"",@progbits
; Function info:
; codeLenInByte = 5328
; TotalNumSgprs: 34
; NumVgprs: 39
; ScratchSize: 0
; MemoryBound: 0
	.text
	.p2align	2                               ; -- Begin function __ockl_printf_append_args
	.type	__ockl_printf_append_args,@function
__ockl_printf_append_args:              ; @__ockl_printf_append_args
; %bb.0:
	s_wait_loadcnt_dscnt 0x0
	s_wait_expcnt 0x0
	s_wait_samplecnt 0x0
	s_wait_bvhcnt 0x0
	s_wait_kmcnt 0x0
	s_load_b64 s[2:3], s[8:9], 0x50
	v_mbcnt_lo_u32_b32 v17, -1, 0
	v_mov_b32_e32 v11, 0
	v_mov_b32_e32 v12, 0
	s_delay_alu instid0(VALU_DEP_3) | instskip(SKIP_1) | instid1(VALU_DEP_1)
	v_readfirstlane_b32 s0, v17
	s_wait_alu 0xf1ff
	v_cmp_eq_u32_e64 s0, s0, v17
	s_and_saveexec_b32 s1, s0
	s_cbranch_execz .LBB6_6
; %bb.1:
	v_mov_b32_e32 v5, 0
	s_mov_b32 s4, exec_lo
	s_wait_kmcnt 0x0
	global_load_b64 v[8:9], v5, s[2:3] offset:24 scope:SCOPE_SYS
	s_wait_loadcnt 0x0
	global_inv scope:SCOPE_SYS
	s_clause 0x1
	global_load_b64 v[6:7], v5, s[2:3] offset:40
	global_load_b64 v[10:11], v5, s[2:3]
	s_wait_loadcnt 0x1
	v_and_b32_e32 v7, v7, v9
	v_and_b32_e32 v6, v6, v8
	s_delay_alu instid0(VALU_DEP_2) | instskip(NEXT) | instid1(VALU_DEP_2)
	v_mul_lo_u32 v7, 24, v7
	v_mul_lo_u32 v12, 0, v6
	v_mul_hi_u32 v13, 24, v6
	v_mul_lo_u32 v6, 24, v6
	s_delay_alu instid0(VALU_DEP_3) | instskip(SKIP_1) | instid1(VALU_DEP_2)
	v_add_nc_u32_e32 v7, v7, v12
	s_wait_loadcnt 0x0
	v_add_co_u32 v6, vcc_lo, v10, v6
	s_delay_alu instid0(VALU_DEP_2) | instskip(SKIP_1) | instid1(VALU_DEP_1)
	v_add_nc_u32_e32 v7, v7, v13
	s_wait_alu 0xfffd
	v_add_co_ci_u32_e64 v7, null, v11, v7, vcc_lo
	global_load_b64 v[6:7], v[6:7], off scope:SCOPE_SYS
	s_wait_loadcnt 0x0
	global_atomic_cmpswap_b64 v[11:12], v5, v[6:9], s[2:3] offset:24 th:TH_ATOMIC_RETURN scope:SCOPE_SYS
	s_wait_loadcnt 0x0
	global_inv scope:SCOPE_SYS
	v_cmpx_ne_u64_e64 v[11:12], v[8:9]
	s_cbranch_execz .LBB6_5
; %bb.2:
	s_mov_b32 s5, 0
.LBB6_3:                                ; =>This Inner Loop Header: Depth=1
	s_sleep 1
	s_clause 0x1
	global_load_b64 v[6:7], v5, s[2:3] offset:40
	global_load_b64 v[13:14], v5, s[2:3]
	v_dual_mov_b32 v8, v11 :: v_dual_mov_b32 v9, v12
	s_wait_loadcnt 0x1
	s_delay_alu instid0(VALU_DEP_1) | instskip(NEXT) | instid1(VALU_DEP_2)
	v_and_b32_e32 v6, v6, v8
	v_and_b32_e32 v7, v7, v9
	s_wait_loadcnt 0x0
	s_delay_alu instid0(VALU_DEP_2) | instskip(NEXT) | instid1(VALU_DEP_1)
	v_mad_co_u64_u32 v[10:11], null, v6, 24, v[13:14]
	v_mov_b32_e32 v6, v11
	s_delay_alu instid0(VALU_DEP_1) | instskip(NEXT) | instid1(VALU_DEP_1)
	v_mad_co_u64_u32 v[6:7], null, v7, 24, v[6:7]
	v_mov_b32_e32 v11, v6
	global_load_b64 v[6:7], v[10:11], off scope:SCOPE_SYS
	s_wait_loadcnt 0x0
	global_atomic_cmpswap_b64 v[11:12], v5, v[6:9], s[2:3] offset:24 th:TH_ATOMIC_RETURN scope:SCOPE_SYS
	s_wait_loadcnt 0x0
	global_inv scope:SCOPE_SYS
	v_cmp_eq_u64_e32 vcc_lo, v[11:12], v[8:9]
	s_wait_alu 0xfffe
	s_or_b32 s5, vcc_lo, s5
	s_wait_alu 0xfffe
	s_and_not1_b32 exec_lo, exec_lo, s5
	s_cbranch_execnz .LBB6_3
; %bb.4:
	s_or_b32 exec_lo, exec_lo, s5
.LBB6_5:
	s_wait_alu 0xfffe
	s_or_b32 exec_lo, exec_lo, s4
.LBB6_6:
	s_wait_alu 0xfffe
	s_or_b32 exec_lo, exec_lo, s1
	v_readfirstlane_b32 s4, v11
	v_mov_b32_e32 v10, 0
	v_readfirstlane_b32 s5, v12
	s_mov_b32 s1, exec_lo
	s_wait_kmcnt 0x0
	s_clause 0x1
	global_load_b64 v[13:14], v10, s[2:3] offset:40
	global_load_b128 v[5:8], v10, s[2:3]
	s_wait_loadcnt 0x1
	s_wait_alu 0xf1ff
	v_and_b32_e32 v16, s5, v14
	v_and_b32_e32 v15, s4, v13
	s_delay_alu instid0(VALU_DEP_2) | instskip(NEXT) | instid1(VALU_DEP_2)
	v_mul_lo_u32 v9, 24, v16
	v_mul_lo_u32 v11, 0, v15
	v_mul_hi_u32 v12, 24, v15
	v_mul_lo_u32 v13, 24, v15
	s_delay_alu instid0(VALU_DEP_3) | instskip(SKIP_1) | instid1(VALU_DEP_2)
	v_add_nc_u32_e32 v9, v9, v11
	s_wait_loadcnt 0x0
	v_add_co_u32 v13, vcc_lo, v5, v13
	s_delay_alu instid0(VALU_DEP_2) | instskip(SKIP_1) | instid1(VALU_DEP_1)
	v_add_nc_u32_e32 v9, v9, v12
	s_wait_alu 0xfffd
	v_add_co_ci_u32_e64 v14, null, v6, v9, vcc_lo
	s_and_saveexec_b32 s6, s0
	s_cbranch_execz .LBB6_8
; %bb.7:
	s_wait_alu 0xfffe
	v_dual_mov_b32 v9, s1 :: v_dual_mov_b32 v12, 1
	v_mov_b32_e32 v11, 2
	global_store_b128 v[13:14], v[9:12], off offset:8
.LBB6_8:
	s_wait_alu 0xfffe
	s_or_b32 exec_lo, exec_lo, s6
	v_lshlrev_b64_e32 v[9:10], 12, v[15:16]
	v_or_b32_e32 v11, 2, v0
	v_cmp_eq_u32_e32 vcc_lo, 0, v4
	s_mov_b32 s8, 0
	s_wait_alu 0xfffe
	s_mov_b32 s9, s8
	s_mov_b32 s10, s8
	s_wait_alu 0xfffd
	v_dual_cndmask_b32 v0, v11, v0 :: v_dual_lshlrev_b32 v11, 6, v17
	v_add_co_u32 v4, vcc_lo, v7, v9
	s_wait_alu 0xfffd
	v_add_co_ci_u32_e64 v7, null, v8, v10, vcc_lo
	s_mov_b32 s11, s8
	v_and_or_b32 v0, 0xffffff1f, v0, 32
	v_readfirstlane_b32 s6, v4
	v_readfirstlane_b32 s7, v7
	s_wait_alu 0xfffe
	v_dual_mov_b32 v7, s8 :: v_dual_mov_b32 v8, s9
	v_dual_mov_b32 v9, s10 :: v_dual_mov_b32 v10, s11
	s_clause 0x3
	global_store_b128 v11, v[0:3], s[6:7]
	global_store_b128 v11, v[7:10], s[6:7] offset:16
	global_store_b128 v11, v[7:10], s[6:7] offset:32
	global_store_b128 v11, v[7:10], s[6:7] offset:48
	s_and_saveexec_b32 s1, s0
	s_cbranch_execz .LBB6_16
; %bb.9:
	v_mov_b32_e32 v7, 0
	v_mov_b32_e32 v9, s5
	s_mov_b32 s6, exec_lo
	s_clause 0x1
	global_load_b64 v[10:11], v7, s[2:3] offset:32 scope:SCOPE_SYS
	global_load_b64 v[0:1], v7, s[2:3] offset:40
	s_wait_loadcnt 0x0
	v_dual_mov_b32 v8, s4 :: v_dual_and_b32 v1, s5, v1
	v_and_b32_e32 v0, s4, v0
	s_delay_alu instid0(VALU_DEP_2) | instskip(NEXT) | instid1(VALU_DEP_2)
	v_mul_lo_u32 v1, 24, v1
	v_mul_lo_u32 v2, 0, v0
	v_mul_hi_u32 v3, 24, v0
	v_mul_lo_u32 v0, 24, v0
	s_delay_alu instid0(VALU_DEP_3) | instskip(NEXT) | instid1(VALU_DEP_2)
	v_add_nc_u32_e32 v1, v1, v2
	v_add_co_u32 v4, vcc_lo, v5, v0
	s_delay_alu instid0(VALU_DEP_2) | instskip(SKIP_1) | instid1(VALU_DEP_1)
	v_add_nc_u32_e32 v1, v1, v3
	s_wait_alu 0xfffd
	v_add_co_ci_u32_e64 v5, null, v6, v1, vcc_lo
	global_store_b64 v[4:5], v[10:11], off
	global_wb scope:SCOPE_SYS
	s_wait_storecnt 0x0
	global_atomic_cmpswap_b64 v[2:3], v7, v[8:11], s[2:3] offset:32 th:TH_ATOMIC_RETURN scope:SCOPE_SYS
	s_wait_loadcnt 0x0
	v_cmpx_ne_u64_e64 v[2:3], v[10:11]
	s_cbranch_execz .LBB6_12
; %bb.10:
	s_mov_b32 s7, 0
.LBB6_11:                               ; =>This Inner Loop Header: Depth=1
	v_dual_mov_b32 v0, s4 :: v_dual_mov_b32 v1, s5
	s_sleep 1
	global_store_b64 v[4:5], v[2:3], off
	global_wb scope:SCOPE_SYS
	s_wait_storecnt 0x0
	global_atomic_cmpswap_b64 v[0:1], v7, v[0:3], s[2:3] offset:32 th:TH_ATOMIC_RETURN scope:SCOPE_SYS
	s_wait_loadcnt 0x0
	v_cmp_eq_u64_e32 vcc_lo, v[0:1], v[2:3]
	v_dual_mov_b32 v3, v1 :: v_dual_mov_b32 v2, v0
	s_wait_alu 0xfffe
	s_or_b32 s7, vcc_lo, s7
	s_wait_alu 0xfffe
	s_and_not1_b32 exec_lo, exec_lo, s7
	s_cbranch_execnz .LBB6_11
.LBB6_12:
	s_wait_alu 0xfffe
	s_or_b32 exec_lo, exec_lo, s6
	v_mov_b32_e32 v3, 0
	s_mov_b32 s7, exec_lo
	s_mov_b32 s6, exec_lo
	s_wait_alu 0xfffe
	v_mbcnt_lo_u32_b32 v2, s7, 0
	global_load_b64 v[0:1], v3, s[2:3] offset:16
	v_cmpx_eq_u32_e32 0, v2
	s_cbranch_execz .LBB6_14
; %bb.13:
	s_bcnt1_i32_b32 s7, s7
	s_wait_alu 0xfffe
	v_mov_b32_e32 v2, s7
	global_wb scope:SCOPE_SYS
	s_wait_loadcnt 0x0
	s_wait_storecnt 0x0
	global_atomic_add_u64 v[0:1], v[2:3], off offset:8 scope:SCOPE_SYS
.LBB6_14:
	s_or_b32 exec_lo, exec_lo, s6
	s_wait_loadcnt 0x0
	global_load_b64 v[2:3], v[0:1], off offset:16
	s_wait_loadcnt 0x0
	v_cmp_eq_u64_e32 vcc_lo, 0, v[2:3]
	s_cbranch_vccnz .LBB6_16
; %bb.15:
	global_load_b32 v0, v[0:1], off offset:24
	v_mov_b32_e32 v1, 0
	s_wait_loadcnt 0x0
	v_readfirstlane_b32 s6, v0
	global_wb scope:SCOPE_SYS
	s_wait_storecnt 0x0
	global_store_b64 v[2:3], v[0:1], off scope:SCOPE_SYS
	s_and_b32 m0, s6, 0xffffff
	s_sendmsg sendmsg(MSG_INTERRUPT)
.LBB6_16:
	s_wait_alu 0xfffe
	s_or_b32 exec_lo, exec_lo, s1
	s_branch .LBB6_20
.LBB6_17:                               ;   in Loop: Header=BB6_20 Depth=1
	s_wait_alu 0xfffe
	s_or_b32 exec_lo, exec_lo, s1
	s_delay_alu instid0(VALU_DEP_1)
	v_readfirstlane_b32 s1, v0
	s_cmp_eq_u32 s1, 0
	s_cbranch_scc1 .LBB6_19
; %bb.18:                               ;   in Loop: Header=BB6_20 Depth=1
	s_sleep 1
	s_cbranch_execnz .LBB6_20
	s_branch .LBB6_22
.LBB6_19:
	s_branch .LBB6_22
.LBB6_20:                               ; =>This Inner Loop Header: Depth=1
	v_mov_b32_e32 v0, 1
	s_and_saveexec_b32 s1, s0
	s_cbranch_execz .LBB6_17
; %bb.21:                               ;   in Loop: Header=BB6_20 Depth=1
	global_load_b32 v0, v[13:14], off offset:20 scope:SCOPE_SYS
	s_wait_loadcnt 0x0
	global_inv scope:SCOPE_SYS
	v_and_b32_e32 v0, 1, v0
	s_branch .LBB6_17
.LBB6_22:
	s_and_saveexec_b32 s6, s0
	s_cbranch_execz .LBB6_26
; %bb.23:
	v_mov_b32_e32 v6, 0
	s_clause 0x2
	global_load_b64 v[0:1], v6, s[2:3] offset:40
	global_load_b64 v[9:10], v6, s[2:3] offset:24 scope:SCOPE_SYS
	global_load_b64 v[2:3], v6, s[2:3]
	s_wait_loadcnt 0x2
	v_readfirstlane_b32 s8, v0
	v_readfirstlane_b32 s9, v1
	s_add_nc_u64 s[0:1], s[8:9], 1
	s_wait_alu 0xfffe
	s_add_nc_u64 s[4:5], s[0:1], s[4:5]
	s_wait_alu 0xfffe
	s_cmp_eq_u64 s[4:5], 0
	s_cselect_b32 s1, s1, s5
	s_cselect_b32 s0, s0, s4
	s_wait_alu 0xfffe
	v_mov_b32_e32 v8, s1
	s_and_b64 s[4:5], s[0:1], s[8:9]
	v_mov_b32_e32 v7, s0
	s_wait_alu 0xfffe
	s_mul_u64 s[4:5], s[4:5], 24
	s_wait_loadcnt 0x0
	s_wait_alu 0xfffe
	v_add_co_u32 v4, vcc_lo, v2, s4
	s_wait_alu 0xfffd
	v_add_co_ci_u32_e64 v5, null, s5, v3, vcc_lo
	global_store_b64 v[4:5], v[9:10], off
	global_wb scope:SCOPE_SYS
	s_wait_storecnt 0x0
	global_atomic_cmpswap_b64 v[2:3], v6, v[7:10], s[2:3] offset:24 th:TH_ATOMIC_RETURN scope:SCOPE_SYS
	s_wait_loadcnt 0x0
	v_cmp_ne_u64_e32 vcc_lo, v[2:3], v[9:10]
	s_and_b32 exec_lo, exec_lo, vcc_lo
	s_cbranch_execz .LBB6_26
; %bb.24:
	s_mov_b32 s4, 0
.LBB6_25:                               ; =>This Inner Loop Header: Depth=1
	v_dual_mov_b32 v0, s0 :: v_dual_mov_b32 v1, s1
	s_sleep 1
	global_store_b64 v[4:5], v[2:3], off
	global_wb scope:SCOPE_SYS
	s_wait_storecnt 0x0
	global_atomic_cmpswap_b64 v[0:1], v6, v[0:3], s[2:3] offset:24 th:TH_ATOMIC_RETURN scope:SCOPE_SYS
	s_wait_loadcnt 0x0
	v_cmp_eq_u64_e32 vcc_lo, v[0:1], v[2:3]
	v_dual_mov_b32 v3, v1 :: v_dual_mov_b32 v2, v0
	s_wait_alu 0xfffe
	s_or_b32 s4, vcc_lo, s4
	s_wait_alu 0xfffe
	s_and_not1_b32 exec_lo, exec_lo, s4
	s_cbranch_execnz .LBB6_25
.LBB6_26:
	s_wait_alu 0xfffe
	s_or_b32 exec_lo, exec_lo, s6
	s_wait_loadcnt 0x0
	s_wait_kmcnt 0x0
	s_setpc_b64 s[30:31]
.Lfunc_end6:
	.size	__ockl_printf_append_args, .Lfunc_end6-__ockl_printf_append_args
                                        ; -- End function
	.set .L__ockl_printf_append_args.num_vgpr, 18
	.set .L__ockl_printf_append_args.num_agpr, 0
	.set .L__ockl_printf_append_args.numbered_sgpr, 32
	.set .L__ockl_printf_append_args.num_named_barrier, 0
	.set .L__ockl_printf_append_args.private_seg_size, 0
	.set .L__ockl_printf_append_args.uses_vcc, 1
	.set .L__ockl_printf_append_args.uses_flat_scratch, 0
	.set .L__ockl_printf_append_args.has_dyn_sized_stack, 0
	.set .L__ockl_printf_append_args.has_recursion, 0
	.set .L__ockl_printf_append_args.has_indirect_call, 0
	.section	.AMDGPU.csdata,"",@progbits
; Function info:
; codeLenInByte = 1696
; TotalNumSgprs: 34
; NumVgprs: 18
; ScratchSize: 0
; MemoryBound: 0
	.text
	.p2align	2                               ; -- Begin function _ZL14no_device_codePKciS0_iS0_
	.type	_ZL14no_device_codePKciS0_iS0_,@function
_ZL14no_device_codePKciS0_iS0_:         ; @_ZL14no_device_codePKciS0_iS0_
; %bb.0:
	s_wait_loadcnt_dscnt 0x0
	s_wait_expcnt 0x0
	s_wait_samplecnt 0x0
	s_wait_bvhcnt 0x0
	s_wait_kmcnt 0x0
	s_mov_b32 s20, s33
	s_mov_b32 s33, s32
	s_xor_saveexec_b32 s0, -1
	scratch_store_b32 off, v39, s33         ; 4-byte Folded Spill
	s_wait_alu 0xfffe
	s_mov_b32 exec_lo, s0
	v_writelane_b32 v39, s30, 0
	s_add_co_i32 s32, s32, 16
	v_writelane_b32 v39, s31, 1
	s_load_b64 s[2:3], s[8:9], 0x50
	v_mbcnt_lo_u32_b32 v31, -1, 0
	v_mov_b32_e32 v6, 0
	v_mov_b32_e32 v7, 0
	s_delay_alu instid0(VALU_DEP_3) | instskip(SKIP_1) | instid1(VALU_DEP_1)
	v_readfirstlane_b32 s0, v31
	s_wait_alu 0xf1ff
	v_cmp_eq_u32_e64 s0, s0, v31
	s_and_saveexec_b32 s1, s0
	s_cbranch_execz .LBB7_6
; %bb.1:
	v_mov_b32_e32 v0, 0
	s_mov_b32 s4, exec_lo
	s_wait_kmcnt 0x0
	global_load_b64 v[3:4], v0, s[2:3] offset:24 scope:SCOPE_SYS
	s_wait_loadcnt 0x0
	global_inv scope:SCOPE_SYS
	s_clause 0x1
	global_load_b64 v[1:2], v0, s[2:3] offset:40
	global_load_b64 v[5:6], v0, s[2:3]
	s_wait_loadcnt 0x1
	v_and_b32_e32 v2, v2, v4
	v_and_b32_e32 v1, v1, v3
	s_delay_alu instid0(VALU_DEP_2) | instskip(NEXT) | instid1(VALU_DEP_2)
	v_mul_lo_u32 v2, 24, v2
	v_mul_lo_u32 v7, 0, v1
	v_mul_hi_u32 v8, 24, v1
	v_mul_lo_u32 v1, 24, v1
	s_delay_alu instid0(VALU_DEP_3) | instskip(SKIP_1) | instid1(VALU_DEP_2)
	v_add_nc_u32_e32 v2, v2, v7
	s_wait_loadcnt 0x0
	v_add_co_u32 v1, vcc_lo, v5, v1
	s_delay_alu instid0(VALU_DEP_2) | instskip(SKIP_1) | instid1(VALU_DEP_1)
	v_add_nc_u32_e32 v2, v2, v8
	s_wait_alu 0xfffd
	v_add_co_ci_u32_e64 v2, null, v6, v2, vcc_lo
	global_load_b64 v[1:2], v[1:2], off scope:SCOPE_SYS
	s_wait_loadcnt 0x0
	global_atomic_cmpswap_b64 v[6:7], v0, v[1:4], s[2:3] offset:24 th:TH_ATOMIC_RETURN scope:SCOPE_SYS
	s_wait_loadcnt 0x0
	global_inv scope:SCOPE_SYS
	v_cmpx_ne_u64_e64 v[6:7], v[3:4]
	s_cbranch_execz .LBB7_5
; %bb.2:
	s_mov_b32 s5, 0
.LBB7_3:                                ; =>This Inner Loop Header: Depth=1
	s_sleep 1
	s_clause 0x1
	global_load_b64 v[1:2], v0, s[2:3] offset:40
	global_load_b64 v[8:9], v0, s[2:3]
	v_dual_mov_b32 v3, v6 :: v_dual_mov_b32 v4, v7
	s_wait_loadcnt 0x1
	s_delay_alu instid0(VALU_DEP_1) | instskip(NEXT) | instid1(VALU_DEP_2)
	v_and_b32_e32 v1, v1, v3
	v_and_b32_e32 v2, v2, v4
	s_wait_loadcnt 0x0
	s_delay_alu instid0(VALU_DEP_2) | instskip(NEXT) | instid1(VALU_DEP_1)
	v_mad_co_u64_u32 v[5:6], null, v1, 24, v[8:9]
	v_mov_b32_e32 v1, v6
	s_delay_alu instid0(VALU_DEP_1) | instskip(NEXT) | instid1(VALU_DEP_1)
	v_mad_co_u64_u32 v[1:2], null, v2, 24, v[1:2]
	v_mov_b32_e32 v6, v1
	global_load_b64 v[1:2], v[5:6], off scope:SCOPE_SYS
	s_wait_loadcnt 0x0
	global_atomic_cmpswap_b64 v[6:7], v0, v[1:4], s[2:3] offset:24 th:TH_ATOMIC_RETURN scope:SCOPE_SYS
	s_wait_loadcnt 0x0
	global_inv scope:SCOPE_SYS
	v_cmp_eq_u64_e32 vcc_lo, v[6:7], v[3:4]
	s_wait_alu 0xfffe
	s_or_b32 s5, vcc_lo, s5
	s_wait_alu 0xfffe
	s_and_not1_b32 exec_lo, exec_lo, s5
	s_cbranch_execnz .LBB7_3
; %bb.4:
	s_or_b32 exec_lo, exec_lo, s5
.LBB7_5:
	s_wait_alu 0xfffe
	s_or_b32 exec_lo, exec_lo, s4
.LBB7_6:
	s_wait_alu 0xfffe
	s_or_b32 exec_lo, exec_lo, s1
	v_readfirstlane_b32 s4, v6
	v_mov_b32_e32 v5, 0
	v_readfirstlane_b32 s5, v7
	s_mov_b32 s1, exec_lo
	s_wait_kmcnt 0x0
	s_clause 0x1
	global_load_b64 v[8:9], v5, s[2:3] offset:40
	global_load_b128 v[0:3], v5, s[2:3]
	s_wait_loadcnt 0x1
	s_wait_alu 0xf1ff
	v_and_b32_e32 v11, s5, v9
	v_and_b32_e32 v10, s4, v8
	s_delay_alu instid0(VALU_DEP_2) | instskip(NEXT) | instid1(VALU_DEP_2)
	v_mul_lo_u32 v4, 24, v11
	v_mul_lo_u32 v6, 0, v10
	v_mul_hi_u32 v7, 24, v10
	v_mul_lo_u32 v8, 24, v10
	s_delay_alu instid0(VALU_DEP_3) | instskip(SKIP_1) | instid1(VALU_DEP_2)
	v_add_nc_u32_e32 v4, v4, v6
	s_wait_loadcnt 0x0
	v_add_co_u32 v8, vcc_lo, v0, v8
	s_delay_alu instid0(VALU_DEP_2) | instskip(SKIP_1) | instid1(VALU_DEP_1)
	v_add_nc_u32_e32 v4, v4, v7
	s_wait_alu 0xfffd
	v_add_co_ci_u32_e64 v9, null, v1, v4, vcc_lo
	s_and_saveexec_b32 s6, s0
	s_cbranch_execz .LBB7_8
; %bb.7:
	s_wait_alu 0xfffe
	v_dual_mov_b32 v4, s1 :: v_dual_mov_b32 v7, 1
	v_mov_b32_e32 v6, 2
	global_store_b128 v[8:9], v[4:7], off offset:8
.LBB7_8:
	s_wait_alu 0xfffe
	s_or_b32 exec_lo, exec_lo, s6
	v_lshlrev_b64_e32 v[10:11], 12, v[10:11]
	v_dual_mov_b32 v7, v5 :: v_dual_lshlrev_b32 v30, 6, v31
	s_mov_b32 s12, 0
	s_wait_alu 0xfffe
	s_mov_b32 s13, s12
	s_delay_alu instid0(VALU_DEP_2)
	v_add_co_u32 v2, vcc_lo, v2, v10
	s_wait_alu 0xfffd
	v_add_co_ci_u32_e64 v3, null, v3, v11, vcc_lo
	s_mov_b32 s14, s12
	v_add_co_u32 v10, vcc_lo, v2, v30
	s_mov_b32 s15, s12
	v_mov_b32_e32 v4, 33
	v_mov_b32_e32 v6, v5
	v_readfirstlane_b32 s6, v2
	v_readfirstlane_b32 s7, v3
	v_mov_b32_e32 v12, s12
	s_wait_alu 0xfffd
	v_add_co_ci_u32_e64 v11, null, 0, v3, vcc_lo
	s_wait_alu 0xfffe
	v_dual_mov_b32 v13, s13 :: v_dual_mov_b32 v14, s14
	v_mov_b32_e32 v15, s15
	s_clause 0x3
	global_store_b128 v30, v[4:7], s[6:7]
	global_store_b128 v30, v[12:15], s[6:7] offset:16
	global_store_b128 v30, v[12:15], s[6:7] offset:32
	;; [unrolled: 1-line block ×3, first 2 shown]
	s_and_saveexec_b32 s1, s0
	s_cbranch_execz .LBB7_16
; %bb.9:
	v_mov_b32_e32 v6, 0
	s_mov_b32 s6, exec_lo
	s_clause 0x1
	global_load_b64 v[14:15], v6, s[2:3] offset:32 scope:SCOPE_SYS
	global_load_b64 v[2:3], v6, s[2:3] offset:40
	v_dual_mov_b32 v13, s5 :: v_dual_mov_b32 v12, s4
	s_wait_loadcnt 0x0
	v_and_b32_e32 v3, s5, v3
	v_and_b32_e32 v2, s4, v2
	s_delay_alu instid0(VALU_DEP_2) | instskip(NEXT) | instid1(VALU_DEP_2)
	v_mul_lo_u32 v3, 24, v3
	v_mul_lo_u32 v4, 0, v2
	v_mul_hi_u32 v5, 24, v2
	v_mul_lo_u32 v2, 24, v2
	s_delay_alu instid0(VALU_DEP_3) | instskip(NEXT) | instid1(VALU_DEP_2)
	v_add_nc_u32_e32 v3, v3, v4
	v_add_co_u32 v4, vcc_lo, v0, v2
	s_delay_alu instid0(VALU_DEP_2) | instskip(SKIP_1) | instid1(VALU_DEP_1)
	v_add_nc_u32_e32 v3, v3, v5
	s_wait_alu 0xfffd
	v_add_co_ci_u32_e64 v5, null, v1, v3, vcc_lo
	global_store_b64 v[4:5], v[14:15], off
	global_wb scope:SCOPE_SYS
	s_wait_storecnt 0x0
	global_atomic_cmpswap_b64 v[2:3], v6, v[12:15], s[2:3] offset:32 th:TH_ATOMIC_RETURN scope:SCOPE_SYS
	s_wait_loadcnt 0x0
	v_cmpx_ne_u64_e64 v[2:3], v[14:15]
	s_cbranch_execz .LBB7_12
; %bb.10:
	s_mov_b32 s7, 0
.LBB7_11:                               ; =>This Inner Loop Header: Depth=1
	v_dual_mov_b32 v0, s4 :: v_dual_mov_b32 v1, s5
	s_sleep 1
	global_store_b64 v[4:5], v[2:3], off
	global_wb scope:SCOPE_SYS
	s_wait_storecnt 0x0
	global_atomic_cmpswap_b64 v[0:1], v6, v[0:3], s[2:3] offset:32 th:TH_ATOMIC_RETURN scope:SCOPE_SYS
	s_wait_loadcnt 0x0
	v_cmp_eq_u64_e32 vcc_lo, v[0:1], v[2:3]
	v_dual_mov_b32 v3, v1 :: v_dual_mov_b32 v2, v0
	s_wait_alu 0xfffe
	s_or_b32 s7, vcc_lo, s7
	s_wait_alu 0xfffe
	s_and_not1_b32 exec_lo, exec_lo, s7
	s_cbranch_execnz .LBB7_11
.LBB7_12:
	s_wait_alu 0xfffe
	s_or_b32 exec_lo, exec_lo, s6
	v_mov_b32_e32 v3, 0
	s_mov_b32 s7, exec_lo
	s_mov_b32 s6, exec_lo
	s_wait_alu 0xfffe
	v_mbcnt_lo_u32_b32 v2, s7, 0
	global_load_b64 v[0:1], v3, s[2:3] offset:16
	v_cmpx_eq_u32_e32 0, v2
	s_cbranch_execz .LBB7_14
; %bb.13:
	s_bcnt1_i32_b32 s7, s7
	s_wait_alu 0xfffe
	v_mov_b32_e32 v2, s7
	global_wb scope:SCOPE_SYS
	s_wait_loadcnt 0x0
	s_wait_storecnt 0x0
	global_atomic_add_u64 v[0:1], v[2:3], off offset:8 scope:SCOPE_SYS
.LBB7_14:
	s_or_b32 exec_lo, exec_lo, s6
	s_wait_loadcnt 0x0
	global_load_b64 v[2:3], v[0:1], off offset:16
	s_wait_loadcnt 0x0
	v_cmp_eq_u64_e32 vcc_lo, 0, v[2:3]
	s_cbranch_vccnz .LBB7_16
; %bb.15:
	global_load_b32 v0, v[0:1], off offset:24
	v_mov_b32_e32 v1, 0
	s_wait_loadcnt 0x0
	v_readfirstlane_b32 s6, v0
	global_wb scope:SCOPE_SYS
	s_wait_storecnt 0x0
	global_store_b64 v[2:3], v[0:1], off scope:SCOPE_SYS
	s_and_b32 m0, s6, 0xffffff
	s_sendmsg sendmsg(MSG_INTERRUPT)
.LBB7_16:
	s_wait_alu 0xfffe
	s_or_b32 exec_lo, exec_lo, s1
	s_branch .LBB7_20
.LBB7_17:                               ;   in Loop: Header=BB7_20 Depth=1
	s_wait_alu 0xfffe
	s_or_b32 exec_lo, exec_lo, s1
	s_delay_alu instid0(VALU_DEP_1)
	v_readfirstlane_b32 s1, v0
	s_cmp_eq_u32 s1, 0
	s_cbranch_scc1 .LBB7_19
; %bb.18:                               ;   in Loop: Header=BB7_20 Depth=1
	s_sleep 1
	s_cbranch_execnz .LBB7_20
	s_branch .LBB7_22
.LBB7_19:
	s_branch .LBB7_22
.LBB7_20:                               ; =>This Inner Loop Header: Depth=1
	v_mov_b32_e32 v0, 1
	s_and_saveexec_b32 s1, s0
	s_cbranch_execz .LBB7_17
; %bb.21:                               ;   in Loop: Header=BB7_20 Depth=1
	global_load_b32 v0, v[8:9], off offset:20 scope:SCOPE_SYS
	s_wait_loadcnt 0x0
	global_inv scope:SCOPE_SYS
	v_and_b32_e32 v0, 1, v0
	s_branch .LBB7_17
.LBB7_22:
	global_load_b64 v[4:5], v[10:11], off
	s_and_saveexec_b32 s6, s0
	s_cbranch_execz .LBB7_26
; %bb.23:
	v_mov_b32_e32 v8, 0
	s_clause 0x2
	global_load_b64 v[0:1], v8, s[2:3] offset:40
	global_load_b64 v[11:12], v8, s[2:3] offset:24 scope:SCOPE_SYS
	global_load_b64 v[2:3], v8, s[2:3]
	s_wait_loadcnt 0x2
	v_readfirstlane_b32 s10, v0
	v_readfirstlane_b32 s11, v1
	s_add_nc_u64 s[0:1], s[10:11], 1
	s_wait_alu 0xfffe
	s_add_nc_u64 s[4:5], s[0:1], s[4:5]
	s_wait_alu 0xfffe
	s_cmp_eq_u64 s[4:5], 0
	s_cselect_b32 s1, s1, s5
	s_cselect_b32 s0, s0, s4
	s_wait_alu 0xfffe
	v_mov_b32_e32 v10, s1
	s_and_b64 s[4:5], s[0:1], s[10:11]
	v_mov_b32_e32 v9, s0
	s_wait_alu 0xfffe
	s_mul_u64 s[4:5], s[4:5], 24
	s_wait_loadcnt 0x0
	s_wait_alu 0xfffe
	v_add_co_u32 v6, vcc_lo, v2, s4
	s_wait_alu 0xfffd
	v_add_co_ci_u32_e64 v7, null, s5, v3, vcc_lo
	global_store_b64 v[6:7], v[11:12], off
	global_wb scope:SCOPE_SYS
	s_wait_storecnt 0x0
	global_atomic_cmpswap_b64 v[2:3], v8, v[9:12], s[2:3] offset:24 th:TH_ATOMIC_RETURN scope:SCOPE_SYS
	s_wait_loadcnt 0x0
	v_cmp_ne_u64_e32 vcc_lo, v[2:3], v[11:12]
	s_and_b32 exec_lo, exec_lo, vcc_lo
	s_cbranch_execz .LBB7_26
; %bb.24:
	s_mov_b32 s4, 0
.LBB7_25:                               ; =>This Inner Loop Header: Depth=1
	v_dual_mov_b32 v0, s0 :: v_dual_mov_b32 v1, s1
	s_sleep 1
	global_store_b64 v[6:7], v[2:3], off
	global_wb scope:SCOPE_SYS
	s_wait_storecnt 0x0
	global_atomic_cmpswap_b64 v[0:1], v8, v[0:3], s[2:3] offset:24 th:TH_ATOMIC_RETURN scope:SCOPE_SYS
	s_wait_loadcnt 0x0
	v_cmp_eq_u64_e32 vcc_lo, v[0:1], v[2:3]
	v_dual_mov_b32 v3, v1 :: v_dual_mov_b32 v2, v0
	s_wait_alu 0xfffe
	s_or_b32 s4, vcc_lo, s4
	s_wait_alu 0xfffe
	s_and_not1_b32 exec_lo, exec_lo, s4
	s_cbranch_execnz .LBB7_25
.LBB7_26:
	s_wait_alu 0xfffe
	s_or_b32 exec_lo, exec_lo, s6
	s_getpc_b64 s[4:5]
	s_wait_alu 0xfffe
	s_sext_i32_i16 s5, s5
	s_add_co_u32 s4, s4, .str.5@rel32@lo+12
	s_wait_alu 0xfffe
	s_add_co_ci_u32 s5, s5, .str.5@rel32@hi+24
	s_wait_alu 0xfffe
	s_cmp_lg_u64 s[4:5], 0
	s_cbranch_scc0 .LBB7_104
; %bb.27:
	s_wait_loadcnt 0x0
	v_dual_mov_b32 v7, 0 :: v_dual_and_b32 v32, 2, v4
	v_dual_mov_b32 v1, v5 :: v_dual_and_b32 v0, -3, v4
	v_dual_mov_b32 v8, 2 :: v_dual_mov_b32 v9, 1
	s_mov_b64 s[6:7], 0x4d
	s_branch .LBB7_29
.LBB7_28:                               ;   in Loop: Header=BB7_29 Depth=1
	s_wait_alu 0xfffe
	s_or_b32 exec_lo, exec_lo, s14
	s_sub_nc_u64 s[6:7], s[6:7], s[10:11]
	s_add_nc_u64 s[4:5], s[4:5], s[10:11]
	s_wait_alu 0xfffe
	s_cmp_lg_u64 s[6:7], 0
	s_cbranch_scc0 .LBB7_105
.LBB7_29:                               ; =>This Loop Header: Depth=1
                                        ;     Child Loop BB7_32 Depth 2
                                        ;     Child Loop BB7_39 Depth 2
	;; [unrolled: 1-line block ×11, first 2 shown]
	s_wait_alu 0xfffe
	v_cmp_lt_u64_e64 s0, s[6:7], 56
	v_cmp_gt_u64_e64 s1, s[6:7], 7
	s_and_b32 s0, s0, exec_lo
	s_cselect_b32 s11, s7, 0
	s_cselect_b32 s10, s6, 56
	s_and_b32 vcc_lo, exec_lo, s1
	s_wait_alu 0xfffe
	s_cbranch_vccnz .LBB7_34
; %bb.30:                               ;   in Loop: Header=BB7_29 Depth=1
	v_mov_b32_e32 v2, 0
	v_mov_b32_e32 v3, 0
	s_cmp_eq_u64 s[6:7], 0
	s_cbranch_scc1 .LBB7_33
; %bb.31:                               ;   in Loop: Header=BB7_29 Depth=1
	s_mov_b64 s[0:1], 0
	s_mov_b64 s[12:13], 0
.LBB7_32:                               ;   Parent Loop BB7_29 Depth=1
                                        ; =>  This Inner Loop Header: Depth=2
	s_wait_alu 0xfffe
	s_add_nc_u64 s[14:15], s[4:5], s[12:13]
	s_add_nc_u64 s[12:13], s[12:13], 1
	global_load_u8 v6, v7, s[14:15]
	s_wait_alu 0xfffe
	s_cmp_lg_u32 s10, s12
	s_wait_loadcnt 0x0
	v_and_b32_e32 v6, 0xffff, v6
	s_delay_alu instid0(VALU_DEP_1) | instskip(SKIP_1) | instid1(VALU_DEP_1)
	v_lshlrev_b64_e32 v[10:11], s0, v[6:7]
	s_add_nc_u64 s[0:1], s[0:1], 8
	v_or_b32_e32 v2, v10, v2
	s_delay_alu instid0(VALU_DEP_2)
	v_or_b32_e32 v3, v11, v3
	s_cbranch_scc1 .LBB7_32
.LBB7_33:                               ;   in Loop: Header=BB7_29 Depth=1
	s_mov_b64 s[12:13], s[4:5]
	s_mov_b32 s16, 0
	s_cbranch_execz .LBB7_35
	s_branch .LBB7_36
.LBB7_34:                               ;   in Loop: Header=BB7_29 Depth=1
	s_add_nc_u64 s[12:13], s[4:5], 8
	s_mov_b32 s16, 0
.LBB7_35:                               ;   in Loop: Header=BB7_29 Depth=1
	global_load_b64 v[2:3], v7, s[4:5]
	s_add_co_i32 s16, s10, -8
.LBB7_36:                               ;   in Loop: Header=BB7_29 Depth=1
	s_wait_alu 0xfffe
	s_cmp_gt_u32 s16, 7
	s_cbranch_scc1 .LBB7_41
; %bb.37:                               ;   in Loop: Header=BB7_29 Depth=1
	v_mov_b32_e32 v10, 0
	v_mov_b32_e32 v11, 0
	s_cmp_eq_u32 s16, 0
	s_cbranch_scc1 .LBB7_40
; %bb.38:                               ;   in Loop: Header=BB7_29 Depth=1
	s_mov_b64 s[0:1], 0
	s_mov_b64 s[14:15], 0
.LBB7_39:                               ;   Parent Loop BB7_29 Depth=1
                                        ; =>  This Inner Loop Header: Depth=2
	s_wait_alu 0xfffe
	s_add_nc_u64 s[18:19], s[12:13], s[14:15]
	s_add_nc_u64 s[14:15], s[14:15], 1
	global_load_u8 v6, v7, s[18:19]
	s_wait_alu 0xfffe
	s_cmp_lg_u32 s16, s14
	s_wait_loadcnt 0x0
	v_and_b32_e32 v6, 0xffff, v6
	s_delay_alu instid0(VALU_DEP_1) | instskip(SKIP_1) | instid1(VALU_DEP_1)
	v_lshlrev_b64_e32 v[12:13], s0, v[6:7]
	s_add_nc_u64 s[0:1], s[0:1], 8
	v_or_b32_e32 v10, v12, v10
	s_delay_alu instid0(VALU_DEP_2)
	v_or_b32_e32 v11, v13, v11
	s_cbranch_scc1 .LBB7_39
.LBB7_40:                               ;   in Loop: Header=BB7_29 Depth=1
	s_mov_b64 s[0:1], s[12:13]
	s_mov_b32 s17, 0
	s_cbranch_execz .LBB7_42
	s_branch .LBB7_43
.LBB7_41:                               ;   in Loop: Header=BB7_29 Depth=1
	s_add_nc_u64 s[0:1], s[12:13], 8
                                        ; implicit-def: $vgpr10_vgpr11
	s_mov_b32 s17, 0
.LBB7_42:                               ;   in Loop: Header=BB7_29 Depth=1
	global_load_b64 v[10:11], v7, s[12:13]
	s_add_co_i32 s17, s16, -8
.LBB7_43:                               ;   in Loop: Header=BB7_29 Depth=1
	s_wait_alu 0xfffe
	s_cmp_gt_u32 s17, 7
	s_cbranch_scc1 .LBB7_48
; %bb.44:                               ;   in Loop: Header=BB7_29 Depth=1
	v_mov_b32_e32 v12, 0
	v_mov_b32_e32 v13, 0
	s_cmp_eq_u32 s17, 0
	s_cbranch_scc1 .LBB7_47
; %bb.45:                               ;   in Loop: Header=BB7_29 Depth=1
	s_mov_b64 s[12:13], 0
	s_mov_b64 s[14:15], 0
.LBB7_46:                               ;   Parent Loop BB7_29 Depth=1
                                        ; =>  This Inner Loop Header: Depth=2
	s_wait_alu 0xfffe
	s_add_nc_u64 s[18:19], s[0:1], s[14:15]
	s_add_nc_u64 s[14:15], s[14:15], 1
	global_load_u8 v6, v7, s[18:19]
	s_wait_alu 0xfffe
	s_cmp_lg_u32 s17, s14
	s_wait_loadcnt 0x0
	v_and_b32_e32 v6, 0xffff, v6
	s_delay_alu instid0(VALU_DEP_1) | instskip(SKIP_1) | instid1(VALU_DEP_1)
	v_lshlrev_b64_e32 v[14:15], s12, v[6:7]
	s_add_nc_u64 s[12:13], s[12:13], 8
	v_or_b32_e32 v12, v14, v12
	s_delay_alu instid0(VALU_DEP_2)
	v_or_b32_e32 v13, v15, v13
	s_cbranch_scc1 .LBB7_46
.LBB7_47:                               ;   in Loop: Header=BB7_29 Depth=1
	s_mov_b64 s[12:13], s[0:1]
	s_mov_b32 s16, 0
	s_cbranch_execz .LBB7_49
	s_branch .LBB7_50
.LBB7_48:                               ;   in Loop: Header=BB7_29 Depth=1
	s_add_nc_u64 s[12:13], s[0:1], 8
	s_mov_b32 s16, 0
.LBB7_49:                               ;   in Loop: Header=BB7_29 Depth=1
	global_load_b64 v[12:13], v7, s[0:1]
	s_add_co_i32 s16, s17, -8
.LBB7_50:                               ;   in Loop: Header=BB7_29 Depth=1
	s_wait_alu 0xfffe
	s_cmp_gt_u32 s16, 7
	s_cbranch_scc1 .LBB7_55
; %bb.51:                               ;   in Loop: Header=BB7_29 Depth=1
	v_mov_b32_e32 v14, 0
	v_mov_b32_e32 v15, 0
	s_cmp_eq_u32 s16, 0
	s_cbranch_scc1 .LBB7_54
; %bb.52:                               ;   in Loop: Header=BB7_29 Depth=1
	s_mov_b64 s[0:1], 0
	s_mov_b64 s[14:15], 0
.LBB7_53:                               ;   Parent Loop BB7_29 Depth=1
                                        ; =>  This Inner Loop Header: Depth=2
	s_wait_alu 0xfffe
	s_add_nc_u64 s[18:19], s[12:13], s[14:15]
	s_add_nc_u64 s[14:15], s[14:15], 1
	global_load_u8 v6, v7, s[18:19]
	s_wait_alu 0xfffe
	s_cmp_lg_u32 s16, s14
	s_wait_loadcnt 0x0
	v_and_b32_e32 v6, 0xffff, v6
	s_delay_alu instid0(VALU_DEP_1) | instskip(SKIP_1) | instid1(VALU_DEP_1)
	v_lshlrev_b64_e32 v[16:17], s0, v[6:7]
	s_add_nc_u64 s[0:1], s[0:1], 8
	v_or_b32_e32 v14, v16, v14
	s_delay_alu instid0(VALU_DEP_2)
	v_or_b32_e32 v15, v17, v15
	s_cbranch_scc1 .LBB7_53
.LBB7_54:                               ;   in Loop: Header=BB7_29 Depth=1
	s_mov_b64 s[0:1], s[12:13]
	s_mov_b32 s17, 0
	s_cbranch_execz .LBB7_56
	s_branch .LBB7_57
.LBB7_55:                               ;   in Loop: Header=BB7_29 Depth=1
	s_add_nc_u64 s[0:1], s[12:13], 8
                                        ; implicit-def: $vgpr14_vgpr15
	s_mov_b32 s17, 0
.LBB7_56:                               ;   in Loop: Header=BB7_29 Depth=1
	global_load_b64 v[14:15], v7, s[12:13]
	s_add_co_i32 s17, s16, -8
.LBB7_57:                               ;   in Loop: Header=BB7_29 Depth=1
	s_wait_alu 0xfffe
	s_cmp_gt_u32 s17, 7
	s_cbranch_scc1 .LBB7_62
; %bb.58:                               ;   in Loop: Header=BB7_29 Depth=1
	v_mov_b32_e32 v16, 0
	v_mov_b32_e32 v17, 0
	s_cmp_eq_u32 s17, 0
	s_cbranch_scc1 .LBB7_61
; %bb.59:                               ;   in Loop: Header=BB7_29 Depth=1
	s_mov_b64 s[12:13], 0
	s_mov_b64 s[14:15], 0
.LBB7_60:                               ;   Parent Loop BB7_29 Depth=1
                                        ; =>  This Inner Loop Header: Depth=2
	s_wait_alu 0xfffe
	s_add_nc_u64 s[18:19], s[0:1], s[14:15]
	s_add_nc_u64 s[14:15], s[14:15], 1
	global_load_u8 v6, v7, s[18:19]
	s_wait_alu 0xfffe
	s_cmp_lg_u32 s17, s14
	s_wait_loadcnt 0x0
	v_and_b32_e32 v6, 0xffff, v6
	s_delay_alu instid0(VALU_DEP_1) | instskip(SKIP_1) | instid1(VALU_DEP_1)
	v_lshlrev_b64_e32 v[18:19], s12, v[6:7]
	s_add_nc_u64 s[12:13], s[12:13], 8
	v_or_b32_e32 v16, v18, v16
	s_delay_alu instid0(VALU_DEP_2)
	v_or_b32_e32 v17, v19, v17
	s_cbranch_scc1 .LBB7_60
.LBB7_61:                               ;   in Loop: Header=BB7_29 Depth=1
	s_mov_b64 s[12:13], s[0:1]
	s_mov_b32 s16, 0
	s_cbranch_execz .LBB7_63
	s_branch .LBB7_64
.LBB7_62:                               ;   in Loop: Header=BB7_29 Depth=1
	s_add_nc_u64 s[12:13], s[0:1], 8
	s_mov_b32 s16, 0
.LBB7_63:                               ;   in Loop: Header=BB7_29 Depth=1
	global_load_b64 v[16:17], v7, s[0:1]
	s_add_co_i32 s16, s17, -8
.LBB7_64:                               ;   in Loop: Header=BB7_29 Depth=1
	s_wait_alu 0xfffe
	s_cmp_gt_u32 s16, 7
	s_cbranch_scc1 .LBB7_69
; %bb.65:                               ;   in Loop: Header=BB7_29 Depth=1
	v_mov_b32_e32 v18, 0
	v_mov_b32_e32 v19, 0
	s_cmp_eq_u32 s16, 0
	s_cbranch_scc1 .LBB7_68
; %bb.66:                               ;   in Loop: Header=BB7_29 Depth=1
	s_mov_b64 s[0:1], 0
	s_mov_b64 s[14:15], 0
.LBB7_67:                               ;   Parent Loop BB7_29 Depth=1
                                        ; =>  This Inner Loop Header: Depth=2
	s_wait_alu 0xfffe
	s_add_nc_u64 s[18:19], s[12:13], s[14:15]
	s_add_nc_u64 s[14:15], s[14:15], 1
	global_load_u8 v6, v7, s[18:19]
	s_wait_alu 0xfffe
	s_cmp_lg_u32 s16, s14
	s_wait_loadcnt 0x0
	v_and_b32_e32 v6, 0xffff, v6
	s_delay_alu instid0(VALU_DEP_1) | instskip(SKIP_1) | instid1(VALU_DEP_1)
	v_lshlrev_b64_e32 v[20:21], s0, v[6:7]
	s_add_nc_u64 s[0:1], s[0:1], 8
	v_or_b32_e32 v18, v20, v18
	s_delay_alu instid0(VALU_DEP_2)
	v_or_b32_e32 v19, v21, v19
	s_cbranch_scc1 .LBB7_67
.LBB7_68:                               ;   in Loop: Header=BB7_29 Depth=1
	s_mov_b64 s[0:1], s[12:13]
	s_mov_b32 s17, 0
	s_cbranch_execz .LBB7_70
	s_branch .LBB7_71
.LBB7_69:                               ;   in Loop: Header=BB7_29 Depth=1
	s_add_nc_u64 s[0:1], s[12:13], 8
                                        ; implicit-def: $vgpr18_vgpr19
	s_mov_b32 s17, 0
.LBB7_70:                               ;   in Loop: Header=BB7_29 Depth=1
	global_load_b64 v[18:19], v7, s[12:13]
	s_add_co_i32 s17, s16, -8
.LBB7_71:                               ;   in Loop: Header=BB7_29 Depth=1
	s_wait_alu 0xfffe
	s_cmp_gt_u32 s17, 7
	s_cbranch_scc1 .LBB7_76
; %bb.72:                               ;   in Loop: Header=BB7_29 Depth=1
	v_mov_b32_e32 v20, 0
	v_mov_b32_e32 v21, 0
	s_cmp_eq_u32 s17, 0
	s_cbranch_scc1 .LBB7_75
; %bb.73:                               ;   in Loop: Header=BB7_29 Depth=1
	s_mov_b64 s[12:13], 0
	s_mov_b64 s[14:15], s[0:1]
.LBB7_74:                               ;   Parent Loop BB7_29 Depth=1
                                        ; =>  This Inner Loop Header: Depth=2
	global_load_u8 v6, v7, s[14:15]
	s_add_co_i32 s17, s17, -1
	s_wait_alu 0xfffe
	s_add_nc_u64 s[14:15], s[14:15], 1
	s_cmp_lg_u32 s17, 0
	s_wait_loadcnt 0x0
	v_and_b32_e32 v6, 0xffff, v6
	s_delay_alu instid0(VALU_DEP_1) | instskip(SKIP_1) | instid1(VALU_DEP_1)
	v_lshlrev_b64_e32 v[22:23], s12, v[6:7]
	s_add_nc_u64 s[12:13], s[12:13], 8
	v_or_b32_e32 v20, v22, v20
	s_delay_alu instid0(VALU_DEP_2)
	v_or_b32_e32 v21, v23, v21
	s_cbranch_scc1 .LBB7_74
.LBB7_75:                               ;   in Loop: Header=BB7_29 Depth=1
	s_cbranch_execz .LBB7_77
	s_branch .LBB7_78
.LBB7_76:                               ;   in Loop: Header=BB7_29 Depth=1
.LBB7_77:                               ;   in Loop: Header=BB7_29 Depth=1
	global_load_b64 v[20:21], v7, s[0:1]
.LBB7_78:                               ;   in Loop: Header=BB7_29 Depth=1
	v_readfirstlane_b32 s0, v31
	v_mov_b32_e32 v26, 0
	v_mov_b32_e32 v27, 0
	s_wait_alu 0xf1ff
	s_delay_alu instid0(VALU_DEP_3)
	v_cmp_eq_u32_e64 s0, s0, v31
	s_and_saveexec_b32 s1, s0
	s_cbranch_execz .LBB7_84
; %bb.79:                               ;   in Loop: Header=BB7_29 Depth=1
	global_load_b64 v[24:25], v7, s[2:3] offset:24 scope:SCOPE_SYS
	s_wait_loadcnt 0x0
	global_inv scope:SCOPE_SYS
	s_clause 0x1
	global_load_b64 v[22:23], v7, s[2:3] offset:40
	global_load_b64 v[26:27], v7, s[2:3]
	s_mov_b32 s12, exec_lo
	s_wait_loadcnt 0x1
	v_and_b32_e32 v6, v23, v25
	v_and_b32_e32 v22, v22, v24
	s_delay_alu instid0(VALU_DEP_2) | instskip(NEXT) | instid1(VALU_DEP_2)
	v_mul_lo_u32 v6, 24, v6
	v_mul_lo_u32 v23, 0, v22
	v_mul_hi_u32 v28, 24, v22
	v_mul_lo_u32 v22, 24, v22
	s_delay_alu instid0(VALU_DEP_3) | instskip(SKIP_1) | instid1(VALU_DEP_2)
	v_add_nc_u32_e32 v6, v6, v23
	s_wait_loadcnt 0x0
	v_add_co_u32 v22, vcc_lo, v26, v22
	s_delay_alu instid0(VALU_DEP_2) | instskip(SKIP_1) | instid1(VALU_DEP_1)
	v_add_nc_u32_e32 v6, v6, v28
	s_wait_alu 0xfffd
	v_add_co_ci_u32_e64 v23, null, v27, v6, vcc_lo
	global_load_b64 v[22:23], v[22:23], off scope:SCOPE_SYS
	s_wait_loadcnt 0x0
	global_atomic_cmpswap_b64 v[26:27], v7, v[22:25], s[2:3] offset:24 th:TH_ATOMIC_RETURN scope:SCOPE_SYS
	s_wait_loadcnt 0x0
	global_inv scope:SCOPE_SYS
	v_cmpx_ne_u64_e64 v[26:27], v[24:25]
	s_cbranch_execz .LBB7_83
; %bb.80:                               ;   in Loop: Header=BB7_29 Depth=1
	s_mov_b32 s13, 0
.LBB7_81:                               ;   Parent Loop BB7_29 Depth=1
                                        ; =>  This Inner Loop Header: Depth=2
	s_sleep 1
	s_clause 0x1
	global_load_b64 v[22:23], v7, s[2:3] offset:40
	global_load_b64 v[28:29], v7, s[2:3]
	v_dual_mov_b32 v24, v26 :: v_dual_mov_b32 v25, v27
	s_wait_loadcnt 0x1
	s_delay_alu instid0(VALU_DEP_1) | instskip(NEXT) | instid1(VALU_DEP_2)
	v_and_b32_e32 v6, v22, v24
	v_and_b32_e32 v22, v23, v25
	s_wait_loadcnt 0x0
	s_delay_alu instid0(VALU_DEP_2) | instskip(NEXT) | instid1(VALU_DEP_1)
	v_mad_co_u64_u32 v[26:27], null, v6, 24, v[28:29]
	v_mov_b32_e32 v6, v27
	s_delay_alu instid0(VALU_DEP_1) | instskip(NEXT) | instid1(VALU_DEP_1)
	v_mad_co_u64_u32 v[22:23], null, v22, 24, v[6:7]
	v_mov_b32_e32 v27, v22
	global_load_b64 v[22:23], v[26:27], off scope:SCOPE_SYS
	s_wait_loadcnt 0x0
	global_atomic_cmpswap_b64 v[26:27], v7, v[22:25], s[2:3] offset:24 th:TH_ATOMIC_RETURN scope:SCOPE_SYS
	s_wait_loadcnt 0x0
	global_inv scope:SCOPE_SYS
	v_cmp_eq_u64_e32 vcc_lo, v[26:27], v[24:25]
	s_wait_alu 0xfffe
	s_or_b32 s13, vcc_lo, s13
	s_wait_alu 0xfffe
	s_and_not1_b32 exec_lo, exec_lo, s13
	s_cbranch_execnz .LBB7_81
; %bb.82:                               ;   in Loop: Header=BB7_29 Depth=1
	s_or_b32 exec_lo, exec_lo, s13
.LBB7_83:                               ;   in Loop: Header=BB7_29 Depth=1
	s_wait_alu 0xfffe
	s_or_b32 exec_lo, exec_lo, s12
.LBB7_84:                               ;   in Loop: Header=BB7_29 Depth=1
	s_wait_alu 0xfffe
	s_or_b32 exec_lo, exec_lo, s1
	s_clause 0x1
	global_load_b64 v[28:29], v7, s[2:3] offset:40
	global_load_b128 v[22:25], v7, s[2:3]
	v_readfirstlane_b32 s13, v27
	v_readfirstlane_b32 s12, v26
	s_mov_b32 s1, exec_lo
	s_wait_loadcnt 0x1
	s_wait_alu 0xf1ff
	v_and_b32_e32 v29, s13, v29
	v_and_b32_e32 v28, s12, v28
	s_delay_alu instid0(VALU_DEP_2) | instskip(NEXT) | instid1(VALU_DEP_2)
	v_mul_lo_u32 v6, 24, v29
	v_mul_lo_u32 v26, 0, v28
	v_mul_hi_u32 v27, 24, v28
	v_mul_lo_u32 v33, 24, v28
	s_delay_alu instid0(VALU_DEP_3) | instskip(SKIP_1) | instid1(VALU_DEP_2)
	v_add_nc_u32_e32 v6, v6, v26
	s_wait_loadcnt 0x0
	v_add_co_u32 v26, vcc_lo, v22, v33
	s_delay_alu instid0(VALU_DEP_2) | instskip(SKIP_1) | instid1(VALU_DEP_1)
	v_add_nc_u32_e32 v6, v6, v27
	s_wait_alu 0xfffd
	v_add_co_ci_u32_e64 v27, null, v23, v6, vcc_lo
	s_and_saveexec_b32 s14, s0
	s_cbranch_execz .LBB7_86
; %bb.85:                               ;   in Loop: Header=BB7_29 Depth=1
	s_wait_alu 0xfffe
	v_mov_b32_e32 v6, s1
	global_store_b128 v[26:27], v[6:9], off offset:8
.LBB7_86:                               ;   in Loop: Header=BB7_29 Depth=1
	s_wait_alu 0xfffe
	s_or_b32 exec_lo, exec_lo, s14
	v_cmp_lt_u64_e64 vcc_lo, s[6:7], 57
	v_lshlrev_b64_e32 v[28:29], 12, v[28:29]
	v_and_b32_e32 v0, 0xffffff1f, v0
	s_lshl_b32 s1, s10, 2
	s_wait_alu 0xfffe
	s_add_co_i32 s1, s1, 28
	s_wait_alu 0xfffd
	v_cndmask_b32_e32 v6, 0, v32, vcc_lo
	v_add_co_u32 v24, vcc_lo, v24, v28
	s_wait_alu 0xfffd
	v_add_co_ci_u32_e64 v25, null, v25, v29, vcc_lo
	s_delay_alu instid0(VALU_DEP_3) | instskip(NEXT) | instid1(VALU_DEP_3)
	v_or_b32_e32 v0, v0, v6
	v_readfirstlane_b32 s14, v24
	s_delay_alu instid0(VALU_DEP_3) | instskip(SKIP_1) | instid1(VALU_DEP_3)
	v_readfirstlane_b32 s15, v25
	s_wait_alu 0xfffe
	v_and_or_b32 v0, 0x1e0, s1, v0
	s_clause 0x3
	global_store_b128 v30, v[0:3], s[14:15]
	global_store_b128 v30, v[10:13], s[14:15] offset:16
	global_store_b128 v30, v[14:17], s[14:15] offset:32
	;; [unrolled: 1-line block ×3, first 2 shown]
	s_and_saveexec_b32 s1, s0
	s_cbranch_execz .LBB7_94
; %bb.87:                               ;   in Loop: Header=BB7_29 Depth=1
	s_clause 0x1
	global_load_b64 v[14:15], v7, s[2:3] offset:32 scope:SCOPE_SYS
	global_load_b64 v[0:1], v7, s[2:3] offset:40
	s_mov_b32 s14, exec_lo
	v_dual_mov_b32 v12, s12 :: v_dual_mov_b32 v13, s13
	s_wait_loadcnt 0x0
	v_and_b32_e32 v0, s12, v0
	v_and_b32_e32 v1, s13, v1
	s_delay_alu instid0(VALU_DEP_2) | instskip(NEXT) | instid1(VALU_DEP_2)
	v_mul_lo_u32 v2, 0, v0
	v_mul_lo_u32 v1, 24, v1
	v_mul_hi_u32 v3, 24, v0
	v_mul_lo_u32 v0, 24, v0
	s_delay_alu instid0(VALU_DEP_3) | instskip(NEXT) | instid1(VALU_DEP_2)
	v_add_nc_u32_e32 v1, v1, v2
	v_add_co_u32 v10, vcc_lo, v22, v0
	s_delay_alu instid0(VALU_DEP_2) | instskip(SKIP_1) | instid1(VALU_DEP_1)
	v_add_nc_u32_e32 v1, v1, v3
	s_wait_alu 0xfffd
	v_add_co_ci_u32_e64 v11, null, v23, v1, vcc_lo
	global_store_b64 v[10:11], v[14:15], off
	global_wb scope:SCOPE_SYS
	s_wait_storecnt 0x0
	global_atomic_cmpswap_b64 v[2:3], v7, v[12:15], s[2:3] offset:32 th:TH_ATOMIC_RETURN scope:SCOPE_SYS
	s_wait_loadcnt 0x0
	v_cmpx_ne_u64_e64 v[2:3], v[14:15]
	s_cbranch_execz .LBB7_90
; %bb.88:                               ;   in Loop: Header=BB7_29 Depth=1
	s_mov_b32 s15, 0
.LBB7_89:                               ;   Parent Loop BB7_29 Depth=1
                                        ; =>  This Inner Loop Header: Depth=2
	v_dual_mov_b32 v0, s12 :: v_dual_mov_b32 v1, s13
	s_sleep 1
	global_store_b64 v[10:11], v[2:3], off
	global_wb scope:SCOPE_SYS
	s_wait_storecnt 0x0
	global_atomic_cmpswap_b64 v[0:1], v7, v[0:3], s[2:3] offset:32 th:TH_ATOMIC_RETURN scope:SCOPE_SYS
	s_wait_loadcnt 0x0
	v_cmp_eq_u64_e32 vcc_lo, v[0:1], v[2:3]
	v_dual_mov_b32 v3, v1 :: v_dual_mov_b32 v2, v0
	s_wait_alu 0xfffe
	s_or_b32 s15, vcc_lo, s15
	s_wait_alu 0xfffe
	s_and_not1_b32 exec_lo, exec_lo, s15
	s_cbranch_execnz .LBB7_89
.LBB7_90:                               ;   in Loop: Header=BB7_29 Depth=1
	s_wait_alu 0xfffe
	s_or_b32 exec_lo, exec_lo, s14
	global_load_b64 v[0:1], v7, s[2:3] offset:16
	s_mov_b32 s15, exec_lo
	s_mov_b32 s14, exec_lo
	s_wait_alu 0xfffe
	v_mbcnt_lo_u32_b32 v2, s15, 0
	s_delay_alu instid0(VALU_DEP_1)
	v_cmpx_eq_u32_e32 0, v2
	s_cbranch_execz .LBB7_92
; %bb.91:                               ;   in Loop: Header=BB7_29 Depth=1
	s_bcnt1_i32_b32 s15, s15
	s_wait_alu 0xfffe
	v_mov_b32_e32 v6, s15
	global_wb scope:SCOPE_SYS
	s_wait_loadcnt 0x0
	s_wait_storecnt 0x0
	global_atomic_add_u64 v[0:1], v[6:7], off offset:8 scope:SCOPE_SYS
.LBB7_92:                               ;   in Loop: Header=BB7_29 Depth=1
	s_or_b32 exec_lo, exec_lo, s14
	s_wait_loadcnt 0x0
	global_load_b64 v[2:3], v[0:1], off offset:16
	s_wait_loadcnt 0x0
	v_cmp_eq_u64_e32 vcc_lo, 0, v[2:3]
	s_cbranch_vccnz .LBB7_94
; %bb.93:                               ;   in Loop: Header=BB7_29 Depth=1
	global_load_b32 v6, v[0:1], off offset:24
	s_wait_loadcnt 0x0
	v_readfirstlane_b32 s14, v6
	global_wb scope:SCOPE_SYS
	s_wait_storecnt 0x0
	global_store_b64 v[2:3], v[6:7], off scope:SCOPE_SYS
	s_and_b32 m0, s14, 0xffffff
	s_sendmsg sendmsg(MSG_INTERRUPT)
.LBB7_94:                               ;   in Loop: Header=BB7_29 Depth=1
	s_wait_alu 0xfffe
	s_or_b32 exec_lo, exec_lo, s1
	v_add_co_u32 v0, vcc_lo, v24, v30
	s_wait_alu 0xfffd
	v_add_co_ci_u32_e64 v1, null, 0, v25, vcc_lo
	s_branch .LBB7_98
.LBB7_95:                               ;   in Loop: Header=BB7_98 Depth=2
	s_wait_alu 0xfffe
	s_or_b32 exec_lo, exec_lo, s1
	s_delay_alu instid0(VALU_DEP_1)
	v_readfirstlane_b32 s1, v2
	s_cmp_eq_u32 s1, 0
	s_cbranch_scc1 .LBB7_97
; %bb.96:                               ;   in Loop: Header=BB7_98 Depth=2
	s_sleep 1
	s_cbranch_execnz .LBB7_98
	s_branch .LBB7_100
.LBB7_97:                               ;   in Loop: Header=BB7_29 Depth=1
	s_branch .LBB7_100
.LBB7_98:                               ;   Parent Loop BB7_29 Depth=1
                                        ; =>  This Inner Loop Header: Depth=2
	v_mov_b32_e32 v2, 1
	s_and_saveexec_b32 s1, s0
	s_cbranch_execz .LBB7_95
; %bb.99:                               ;   in Loop: Header=BB7_98 Depth=2
	global_load_b32 v2, v[26:27], off offset:20 scope:SCOPE_SYS
	s_wait_loadcnt 0x0
	global_inv scope:SCOPE_SYS
	v_and_b32_e32 v2, 1, v2
	s_branch .LBB7_95
.LBB7_100:                              ;   in Loop: Header=BB7_29 Depth=1
	global_load_b64 v[0:1], v[0:1], off
	s_and_saveexec_b32 s14, s0
	s_cbranch_execz .LBB7_28
; %bb.101:                              ;   in Loop: Header=BB7_29 Depth=1
	s_clause 0x2
	global_load_b64 v[2:3], v7, s[2:3] offset:40
	global_load_b64 v[14:15], v7, s[2:3] offset:24 scope:SCOPE_SYS
	global_load_b64 v[10:11], v7, s[2:3]
	s_wait_loadcnt 0x2
	v_readfirstlane_b32 s16, v2
	v_readfirstlane_b32 s17, v3
	s_add_nc_u64 s[0:1], s[16:17], 1
	s_wait_alu 0xfffe
	s_add_nc_u64 s[12:13], s[0:1], s[12:13]
	s_wait_alu 0xfffe
	s_cmp_eq_u64 s[12:13], 0
	s_cselect_b32 s1, s1, s13
	s_cselect_b32 s0, s0, s12
	s_wait_alu 0xfffe
	v_dual_mov_b32 v13, s1 :: v_dual_mov_b32 v12, s0
	s_and_b64 s[12:13], s[0:1], s[16:17]
	s_wait_alu 0xfffe
	s_mul_u64 s[12:13], s[12:13], 24
	s_wait_loadcnt 0x0
	s_wait_alu 0xfffe
	v_add_co_u32 v2, vcc_lo, v10, s12
	s_wait_alu 0xfffd
	v_add_co_ci_u32_e64 v3, null, s13, v11, vcc_lo
	global_store_b64 v[2:3], v[14:15], off
	global_wb scope:SCOPE_SYS
	s_wait_storecnt 0x0
	global_atomic_cmpswap_b64 v[12:13], v7, v[12:15], s[2:3] offset:24 th:TH_ATOMIC_RETURN scope:SCOPE_SYS
	s_wait_loadcnt 0x0
	v_cmp_ne_u64_e32 vcc_lo, v[12:13], v[14:15]
	s_and_b32 exec_lo, exec_lo, vcc_lo
	s_cbranch_execz .LBB7_28
; %bb.102:                              ;   in Loop: Header=BB7_29 Depth=1
	s_mov_b32 s12, 0
.LBB7_103:                              ;   Parent Loop BB7_29 Depth=1
                                        ; =>  This Inner Loop Header: Depth=2
	v_dual_mov_b32 v10, s0 :: v_dual_mov_b32 v11, s1
	s_sleep 1
	global_store_b64 v[2:3], v[12:13], off
	global_wb scope:SCOPE_SYS
	s_wait_storecnt 0x0
	global_atomic_cmpswap_b64 v[10:11], v7, v[10:13], s[2:3] offset:24 th:TH_ATOMIC_RETURN scope:SCOPE_SYS
	s_wait_loadcnt 0x0
	v_cmp_eq_u64_e32 vcc_lo, v[10:11], v[12:13]
	v_dual_mov_b32 v13, v11 :: v_dual_mov_b32 v12, v10
	s_wait_alu 0xfffe
	s_or_b32 s12, vcc_lo, s12
	s_wait_alu 0xfffe
	s_and_not1_b32 exec_lo, exec_lo, s12
	s_cbranch_execnz .LBB7_103
	s_branch .LBB7_28
.LBB7_104:
                                        ; implicit-def: $vgpr0_vgpr1
	s_cbranch_execnz .LBB7_106
	s_branch .LBB7_133
.LBB7_105:
	s_branch .LBB7_133
.LBB7_106:
	v_readfirstlane_b32 s0, v31
	v_mov_b32_e32 v7, 0
	v_mov_b32_e32 v8, 0
	s_wait_alu 0xf1ff
	s_delay_alu instid0(VALU_DEP_3)
	v_cmp_eq_u32_e64 s0, s0, v31
	s_and_saveexec_b32 s1, s0
	s_cbranch_execz .LBB7_112
; %bb.107:
	s_wait_loadcnt 0x0
	v_mov_b32_e32 v0, 0
	s_mov_b32 s4, exec_lo
	global_load_b64 v[9:10], v0, s[2:3] offset:24 scope:SCOPE_SYS
	s_wait_loadcnt 0x0
	global_inv scope:SCOPE_SYS
	s_clause 0x1
	global_load_b64 v[1:2], v0, s[2:3] offset:40
	global_load_b64 v[6:7], v0, s[2:3]
	s_wait_loadcnt 0x1
	v_and_b32_e32 v2, v2, v10
	v_and_b32_e32 v1, v1, v9
	s_delay_alu instid0(VALU_DEP_2) | instskip(NEXT) | instid1(VALU_DEP_2)
	v_mul_lo_u32 v2, 24, v2
	v_mul_lo_u32 v3, 0, v1
	v_mul_hi_u32 v8, 24, v1
	v_mul_lo_u32 v1, 24, v1
	s_delay_alu instid0(VALU_DEP_3) | instskip(SKIP_1) | instid1(VALU_DEP_2)
	v_add_nc_u32_e32 v2, v2, v3
	s_wait_loadcnt 0x0
	v_add_co_u32 v1, vcc_lo, v6, v1
	s_delay_alu instid0(VALU_DEP_2) | instskip(SKIP_1) | instid1(VALU_DEP_1)
	v_add_nc_u32_e32 v2, v2, v8
	s_wait_alu 0xfffd
	v_add_co_ci_u32_e64 v2, null, v7, v2, vcc_lo
	global_load_b64 v[7:8], v[1:2], off scope:SCOPE_SYS
	s_wait_loadcnt 0x0
	global_atomic_cmpswap_b64 v[7:8], v0, v[7:10], s[2:3] offset:24 th:TH_ATOMIC_RETURN scope:SCOPE_SYS
	s_wait_loadcnt 0x0
	global_inv scope:SCOPE_SYS
	v_cmpx_ne_u64_e64 v[7:8], v[9:10]
	s_cbranch_execz .LBB7_111
; %bb.108:
	s_mov_b32 s5, 0
.LBB7_109:                              ; =>This Inner Loop Header: Depth=1
	s_sleep 1
	s_clause 0x1
	global_load_b64 v[1:2], v0, s[2:3] offset:40
	global_load_b64 v[11:12], v0, s[2:3]
	v_dual_mov_b32 v10, v8 :: v_dual_mov_b32 v9, v7
	s_wait_loadcnt 0x1
	s_delay_alu instid0(VALU_DEP_1) | instskip(SKIP_1) | instid1(VALU_DEP_1)
	v_and_b32_e32 v1, v1, v9
	s_wait_loadcnt 0x0
	v_mad_co_u64_u32 v[6:7], null, v1, 24, v[11:12]
	s_delay_alu instid0(VALU_DEP_1) | instskip(NEXT) | instid1(VALU_DEP_1)
	v_dual_mov_b32 v1, v7 :: v_dual_and_b32 v2, v2, v10
	v_mad_co_u64_u32 v[1:2], null, v2, 24, v[1:2]
	s_delay_alu instid0(VALU_DEP_1)
	v_mov_b32_e32 v7, v1
	global_load_b64 v[7:8], v[6:7], off scope:SCOPE_SYS
	s_wait_loadcnt 0x0
	global_atomic_cmpswap_b64 v[7:8], v0, v[7:10], s[2:3] offset:24 th:TH_ATOMIC_RETURN scope:SCOPE_SYS
	s_wait_loadcnt 0x0
	global_inv scope:SCOPE_SYS
	v_cmp_eq_u64_e32 vcc_lo, v[7:8], v[9:10]
	s_wait_alu 0xfffe
	s_or_b32 s5, vcc_lo, s5
	s_wait_alu 0xfffe
	s_and_not1_b32 exec_lo, exec_lo, s5
	s_cbranch_execnz .LBB7_109
; %bb.110:
	s_or_b32 exec_lo, exec_lo, s5
.LBB7_111:
	s_wait_alu 0xfffe
	s_or_b32 exec_lo, exec_lo, s4
.LBB7_112:
	s_wait_alu 0xfffe
	s_or_b32 exec_lo, exec_lo, s1
	v_readfirstlane_b32 s5, v8
	v_mov_b32_e32 v6, 0
	v_readfirstlane_b32 s4, v7
	s_mov_b32 s1, exec_lo
	global_load_b64 v[9:10], v6, s[2:3] offset:40
	s_wait_loadcnt 0x1
	global_load_b128 v[0:3], v6, s[2:3]
	s_wait_loadcnt 0x1
	s_wait_alu 0xf1ff
	v_and_b32_e32 v11, s5, v10
	v_and_b32_e32 v10, s4, v9
	s_delay_alu instid0(VALU_DEP_2) | instskip(NEXT) | instid1(VALU_DEP_2)
	v_mul_lo_u32 v7, 24, v11
	v_mul_lo_u32 v8, 0, v10
	v_mul_hi_u32 v9, 24, v10
	v_mul_lo_u32 v12, 24, v10
	s_delay_alu instid0(VALU_DEP_3) | instskip(SKIP_1) | instid1(VALU_DEP_2)
	v_add_nc_u32_e32 v7, v7, v8
	s_wait_loadcnt 0x0
	v_add_co_u32 v8, vcc_lo, v0, v12
	s_delay_alu instid0(VALU_DEP_2) | instskip(SKIP_1) | instid1(VALU_DEP_1)
	v_add_nc_u32_e32 v7, v7, v9
	s_wait_alu 0xfffd
	v_add_co_ci_u32_e64 v9, null, v1, v7, vcc_lo
	s_and_saveexec_b32 s6, s0
	s_cbranch_execz .LBB7_114
; %bb.113:
	s_wait_alu 0xfffe
	v_dual_mov_b32 v12, s1 :: v_dual_mov_b32 v13, v6
	v_dual_mov_b32 v14, 2 :: v_dual_mov_b32 v15, 1
	global_store_b128 v[8:9], v[12:15], off offset:8
.LBB7_114:
	s_wait_alu 0xfffe
	s_or_b32 exec_lo, exec_lo, s6
	v_lshlrev_b64_e32 v[10:11], 12, v[10:11]
	s_mov_b32 s12, 0
	v_and_or_b32 v4, 0xffffff1f, v4, 32
	s_wait_alu 0xfffe
	s_mov_b32 s13, s12
	s_mov_b32 s14, s12
	s_mov_b32 s15, s12
	v_add_co_u32 v2, vcc_lo, v2, v10
	s_wait_alu 0xfffd
	v_add_co_ci_u32_e64 v3, null, v3, v11, vcc_lo
	v_dual_mov_b32 v7, v6 :: v_dual_mov_b32 v12, s12
	s_delay_alu instid0(VALU_DEP_3) | instskip(SKIP_1) | instid1(VALU_DEP_4)
	v_add_co_u32 v10, vcc_lo, v2, v30
	v_readfirstlane_b32 s6, v2
	v_readfirstlane_b32 s7, v3
	s_wait_alu 0xfffd
	v_add_co_ci_u32_e64 v11, null, 0, v3, vcc_lo
	s_wait_alu 0xfffe
	v_dual_mov_b32 v13, s13 :: v_dual_mov_b32 v14, s14
	v_mov_b32_e32 v15, s15
	s_clause 0x3
	global_store_b128 v30, v[4:7], s[6:7]
	global_store_b128 v30, v[12:15], s[6:7] offset:16
	global_store_b128 v30, v[12:15], s[6:7] offset:32
	;; [unrolled: 1-line block ×3, first 2 shown]
	s_and_saveexec_b32 s1, s0
	s_cbranch_execz .LBB7_122
; %bb.115:
	v_mov_b32_e32 v6, 0
	s_mov_b32 s6, exec_lo
	s_clause 0x1
	global_load_b64 v[14:15], v6, s[2:3] offset:32 scope:SCOPE_SYS
	global_load_b64 v[2:3], v6, s[2:3] offset:40
	v_dual_mov_b32 v13, s5 :: v_dual_mov_b32 v12, s4
	s_wait_loadcnt 0x0
	v_and_b32_e32 v3, s5, v3
	v_and_b32_e32 v2, s4, v2
	s_delay_alu instid0(VALU_DEP_2) | instskip(NEXT) | instid1(VALU_DEP_2)
	v_mul_lo_u32 v3, 24, v3
	v_mul_lo_u32 v4, 0, v2
	v_mul_hi_u32 v5, 24, v2
	v_mul_lo_u32 v2, 24, v2
	s_delay_alu instid0(VALU_DEP_3) | instskip(NEXT) | instid1(VALU_DEP_2)
	v_add_nc_u32_e32 v3, v3, v4
	v_add_co_u32 v4, vcc_lo, v0, v2
	s_delay_alu instid0(VALU_DEP_2) | instskip(SKIP_1) | instid1(VALU_DEP_1)
	v_add_nc_u32_e32 v3, v3, v5
	s_wait_alu 0xfffd
	v_add_co_ci_u32_e64 v5, null, v1, v3, vcc_lo
	global_store_b64 v[4:5], v[14:15], off
	global_wb scope:SCOPE_SYS
	s_wait_storecnt 0x0
	global_atomic_cmpswap_b64 v[2:3], v6, v[12:15], s[2:3] offset:32 th:TH_ATOMIC_RETURN scope:SCOPE_SYS
	s_wait_loadcnt 0x0
	v_cmpx_ne_u64_e64 v[2:3], v[14:15]
	s_cbranch_execz .LBB7_118
; %bb.116:
	s_mov_b32 s7, 0
.LBB7_117:                              ; =>This Inner Loop Header: Depth=1
	v_dual_mov_b32 v0, s4 :: v_dual_mov_b32 v1, s5
	s_sleep 1
	global_store_b64 v[4:5], v[2:3], off
	global_wb scope:SCOPE_SYS
	s_wait_storecnt 0x0
	global_atomic_cmpswap_b64 v[0:1], v6, v[0:3], s[2:3] offset:32 th:TH_ATOMIC_RETURN scope:SCOPE_SYS
	s_wait_loadcnt 0x0
	v_cmp_eq_u64_e32 vcc_lo, v[0:1], v[2:3]
	v_dual_mov_b32 v3, v1 :: v_dual_mov_b32 v2, v0
	s_wait_alu 0xfffe
	s_or_b32 s7, vcc_lo, s7
	s_wait_alu 0xfffe
	s_and_not1_b32 exec_lo, exec_lo, s7
	s_cbranch_execnz .LBB7_117
.LBB7_118:
	s_wait_alu 0xfffe
	s_or_b32 exec_lo, exec_lo, s6
	v_mov_b32_e32 v3, 0
	s_mov_b32 s7, exec_lo
	s_mov_b32 s6, exec_lo
	s_wait_alu 0xfffe
	v_mbcnt_lo_u32_b32 v2, s7, 0
	global_load_b64 v[0:1], v3, s[2:3] offset:16
	v_cmpx_eq_u32_e32 0, v2
	s_cbranch_execz .LBB7_120
; %bb.119:
	s_bcnt1_i32_b32 s7, s7
	s_wait_alu 0xfffe
	v_mov_b32_e32 v2, s7
	global_wb scope:SCOPE_SYS
	s_wait_loadcnt 0x0
	s_wait_storecnt 0x0
	global_atomic_add_u64 v[0:1], v[2:3], off offset:8 scope:SCOPE_SYS
.LBB7_120:
	s_or_b32 exec_lo, exec_lo, s6
	s_wait_loadcnt 0x0
	global_load_b64 v[2:3], v[0:1], off offset:16
	s_wait_loadcnt 0x0
	v_cmp_eq_u64_e32 vcc_lo, 0, v[2:3]
	s_cbranch_vccnz .LBB7_122
; %bb.121:
	global_load_b32 v0, v[0:1], off offset:24
	v_mov_b32_e32 v1, 0
	s_wait_loadcnt 0x0
	v_readfirstlane_b32 s6, v0
	global_wb scope:SCOPE_SYS
	s_wait_storecnt 0x0
	global_store_b64 v[2:3], v[0:1], off scope:SCOPE_SYS
	s_and_b32 m0, s6, 0xffffff
	s_sendmsg sendmsg(MSG_INTERRUPT)
.LBB7_122:
	s_wait_alu 0xfffe
	s_or_b32 exec_lo, exec_lo, s1
	s_branch .LBB7_126
.LBB7_123:                              ;   in Loop: Header=BB7_126 Depth=1
	s_wait_alu 0xfffe
	s_or_b32 exec_lo, exec_lo, s1
	s_delay_alu instid0(VALU_DEP_1)
	v_readfirstlane_b32 s1, v0
	s_cmp_eq_u32 s1, 0
	s_cbranch_scc1 .LBB7_125
; %bb.124:                              ;   in Loop: Header=BB7_126 Depth=1
	s_sleep 1
	s_cbranch_execnz .LBB7_126
	s_branch .LBB7_128
.LBB7_125:
	s_branch .LBB7_128
.LBB7_126:                              ; =>This Inner Loop Header: Depth=1
	v_mov_b32_e32 v0, 1
	s_and_saveexec_b32 s1, s0
	s_cbranch_execz .LBB7_123
; %bb.127:                              ;   in Loop: Header=BB7_126 Depth=1
	global_load_b32 v0, v[8:9], off offset:20 scope:SCOPE_SYS
	s_wait_loadcnt 0x0
	global_inv scope:SCOPE_SYS
	v_and_b32_e32 v0, 1, v0
	s_branch .LBB7_123
.LBB7_128:
	global_load_b64 v[0:1], v[10:11], off
	s_and_saveexec_b32 s6, s0
	s_cbranch_execz .LBB7_132
; %bb.129:
	v_mov_b32_e32 v8, 0
	s_clause 0x2
	global_load_b64 v[2:3], v8, s[2:3] offset:40
	global_load_b64 v[11:12], v8, s[2:3] offset:24 scope:SCOPE_SYS
	global_load_b64 v[4:5], v8, s[2:3]
	s_wait_loadcnt 0x2
	v_readfirstlane_b32 s10, v2
	v_readfirstlane_b32 s11, v3
	s_add_nc_u64 s[0:1], s[10:11], 1
	s_wait_alu 0xfffe
	s_add_nc_u64 s[4:5], s[0:1], s[4:5]
	s_wait_alu 0xfffe
	s_cmp_eq_u64 s[4:5], 0
	s_cselect_b32 s1, s1, s5
	s_cselect_b32 s0, s0, s4
	s_wait_alu 0xfffe
	v_mov_b32_e32 v10, s1
	s_and_b64 s[4:5], s[0:1], s[10:11]
	v_mov_b32_e32 v9, s0
	s_wait_alu 0xfffe
	s_mul_u64 s[4:5], s[4:5], 24
	s_wait_loadcnt 0x0
	s_wait_alu 0xfffe
	v_add_co_u32 v6, vcc_lo, v4, s4
	s_wait_alu 0xfffd
	v_add_co_ci_u32_e64 v7, null, s5, v5, vcc_lo
	global_store_b64 v[6:7], v[11:12], off
	global_wb scope:SCOPE_SYS
	s_wait_storecnt 0x0
	global_atomic_cmpswap_b64 v[4:5], v8, v[9:12], s[2:3] offset:24 th:TH_ATOMIC_RETURN scope:SCOPE_SYS
	s_wait_loadcnt 0x0
	v_cmp_ne_u64_e32 vcc_lo, v[4:5], v[11:12]
	s_and_b32 exec_lo, exec_lo, vcc_lo
	s_cbranch_execz .LBB7_132
; %bb.130:
	s_mov_b32 s4, 0
.LBB7_131:                              ; =>This Inner Loop Header: Depth=1
	v_dual_mov_b32 v2, s0 :: v_dual_mov_b32 v3, s1
	s_sleep 1
	global_store_b64 v[6:7], v[4:5], off
	global_wb scope:SCOPE_SYS
	s_wait_storecnt 0x0
	global_atomic_cmpswap_b64 v[2:3], v8, v[2:5], s[2:3] offset:24 th:TH_ATOMIC_RETURN scope:SCOPE_SYS
	s_wait_loadcnt 0x0
	v_cmp_eq_u64_e32 vcc_lo, v[2:3], v[4:5]
	v_dual_mov_b32 v5, v3 :: v_dual_mov_b32 v4, v2
	s_wait_alu 0xfffe
	s_or_b32 s4, vcc_lo, s4
	s_wait_alu 0xfffe
	s_and_not1_b32 exec_lo, exec_lo, s4
	s_cbranch_execnz .LBB7_131
.LBB7_132:
	s_wait_alu 0xfffe
	s_or_b32 exec_lo, exec_lo, s6
.LBB7_133:
	s_getpc_b64 s[0:1]
	s_wait_alu 0xfffe
	s_sext_i32_i16 s1, s1
	s_add_co_u32 s0, s0, .str.3@rel32@lo+12
	s_wait_alu 0xfffe
	s_add_co_ci_u32 s1, s1, .str.3@rel32@hi+24
	s_mov_b64 s[4:5], 0
	s_wait_alu 0xfffe
	s_cmp_lg_u64 s[0:1], 0
	s_cselect_b32 s6, -1, 0
	s_cmp_eq_u64 s[0:1], 0
	s_cbranch_scc1 .LBB7_137
; %bb.134:
	s_getpc_b64 s[0:1]
	s_wait_alu 0xfffe
	s_sext_i32_i16 s1, s1
	s_add_co_u32 s0, s0, .str.3@rel32@lo+11
	s_wait_alu 0xfffe
	s_add_co_ci_u32 s1, s1, .str.3@rel32@hi+23
.LBB7_135:                              ; =>This Inner Loop Header: Depth=1
	s_load_u8 s4, s[0:1], 0x1
	s_add_nc_u64 s[0:1], s[0:1], 1
	s_wait_kmcnt 0x0
	s_cmp_lg_u32 s4, 0
	s_cbranch_scc1 .LBB7_135
; %bb.136:
	s_getpc_b64 s[4:5]
	s_wait_alu 0xfffe
	s_sext_i32_i16 s5, s5
	s_add_co_u32 s4, s4, .str.3@rel32@lo+12
	s_wait_alu 0xfffe
	s_add_co_ci_u32 s5, s5, .str.3@rel32@hi+24
	s_wait_alu 0xfffe
	s_sub_nc_u64 s[0:1], s[0:1], s[4:5]
	s_wait_alu 0xfffe
	s_add_nc_u64 s[4:5], s[0:1], 1
.LBB7_137:
	s_wait_alu 0xfffe
	s_and_b32 vcc_lo, exec_lo, s6
	s_wait_alu 0xfffe
	s_cbranch_vccz .LBB7_215
; %bb.138:
	s_wait_loadcnt 0x0
	v_dual_mov_b32 v7, 0 :: v_dual_and_b32 v32, 2, v0
	v_dual_mov_b32 v3, v1 :: v_dual_and_b32 v2, -3, v0
	v_dual_mov_b32 v8, 2 :: v_dual_mov_b32 v9, 1
	s_getpc_b64 s[6:7]
	s_wait_alu 0xfffe
	s_sext_i32_i16 s7, s7
	s_add_co_u32 s6, s6, .str.3@rel32@lo+12
	s_wait_alu 0xfffe
	s_add_co_ci_u32 s7, s7, .str.3@rel32@hi+24
	s_branch .LBB7_140
.LBB7_139:                              ;   in Loop: Header=BB7_140 Depth=1
	s_wait_alu 0xfffe
	s_or_b32 exec_lo, exec_lo, s14
	s_sub_nc_u64 s[4:5], s[4:5], s[10:11]
	s_add_nc_u64 s[6:7], s[6:7], s[10:11]
	s_wait_alu 0xfffe
	s_cmp_lg_u64 s[4:5], 0
	s_cbranch_scc0 .LBB7_216
.LBB7_140:                              ; =>This Loop Header: Depth=1
                                        ;     Child Loop BB7_143 Depth 2
                                        ;     Child Loop BB7_150 Depth 2
	;; [unrolled: 1-line block ×11, first 2 shown]
	v_cmp_lt_u64_e64 s0, s[4:5], 56
	v_cmp_gt_u64_e64 s1, s[4:5], 7
	s_and_b32 s0, s0, exec_lo
	s_cselect_b32 s11, s5, 0
	s_cselect_b32 s10, s4, 56
	s_and_b32 vcc_lo, exec_lo, s1
	s_wait_alu 0xfffe
	s_cbranch_vccnz .LBB7_145
; %bb.141:                              ;   in Loop: Header=BB7_140 Depth=1
	v_mov_b32_e32 v4, 0
	v_mov_b32_e32 v5, 0
	s_cmp_eq_u64 s[4:5], 0
	s_cbranch_scc1 .LBB7_144
; %bb.142:                              ;   in Loop: Header=BB7_140 Depth=1
	s_mov_b64 s[0:1], 0
	s_mov_b64 s[12:13], 0
.LBB7_143:                              ;   Parent Loop BB7_140 Depth=1
                                        ; =>  This Inner Loop Header: Depth=2
	s_wait_alu 0xfffe
	s_add_nc_u64 s[14:15], s[6:7], s[12:13]
	s_add_nc_u64 s[12:13], s[12:13], 1
	global_load_u8 v6, v7, s[14:15]
	s_wait_alu 0xfffe
	s_cmp_lg_u32 s10, s12
	s_wait_loadcnt 0x0
	v_and_b32_e32 v6, 0xffff, v6
	s_delay_alu instid0(VALU_DEP_1) | instskip(SKIP_1) | instid1(VALU_DEP_1)
	v_lshlrev_b64_e32 v[10:11], s0, v[6:7]
	s_add_nc_u64 s[0:1], s[0:1], 8
	v_or_b32_e32 v4, v10, v4
	s_delay_alu instid0(VALU_DEP_2)
	v_or_b32_e32 v5, v11, v5
	s_cbranch_scc1 .LBB7_143
.LBB7_144:                              ;   in Loop: Header=BB7_140 Depth=1
	s_mov_b64 s[12:13], s[6:7]
	s_mov_b32 s16, 0
	s_cbranch_execz .LBB7_146
	s_branch .LBB7_147
.LBB7_145:                              ;   in Loop: Header=BB7_140 Depth=1
	s_add_nc_u64 s[12:13], s[6:7], 8
	s_mov_b32 s16, 0
.LBB7_146:                              ;   in Loop: Header=BB7_140 Depth=1
	global_load_b64 v[4:5], v7, s[6:7]
	s_add_co_i32 s16, s10, -8
.LBB7_147:                              ;   in Loop: Header=BB7_140 Depth=1
	s_wait_alu 0xfffe
	s_cmp_gt_u32 s16, 7
	s_cbranch_scc1 .LBB7_152
; %bb.148:                              ;   in Loop: Header=BB7_140 Depth=1
	v_mov_b32_e32 v10, 0
	v_mov_b32_e32 v11, 0
	s_cmp_eq_u32 s16, 0
	s_cbranch_scc1 .LBB7_151
; %bb.149:                              ;   in Loop: Header=BB7_140 Depth=1
	s_mov_b64 s[0:1], 0
	s_mov_b64 s[14:15], 0
.LBB7_150:                              ;   Parent Loop BB7_140 Depth=1
                                        ; =>  This Inner Loop Header: Depth=2
	s_wait_alu 0xfffe
	s_add_nc_u64 s[18:19], s[12:13], s[14:15]
	s_add_nc_u64 s[14:15], s[14:15], 1
	global_load_u8 v6, v7, s[18:19]
	s_wait_alu 0xfffe
	s_cmp_lg_u32 s16, s14
	s_wait_loadcnt 0x0
	v_and_b32_e32 v6, 0xffff, v6
	s_delay_alu instid0(VALU_DEP_1) | instskip(SKIP_1) | instid1(VALU_DEP_1)
	v_lshlrev_b64_e32 v[12:13], s0, v[6:7]
	s_add_nc_u64 s[0:1], s[0:1], 8
	v_or_b32_e32 v10, v12, v10
	s_delay_alu instid0(VALU_DEP_2)
	v_or_b32_e32 v11, v13, v11
	s_cbranch_scc1 .LBB7_150
.LBB7_151:                              ;   in Loop: Header=BB7_140 Depth=1
	s_mov_b64 s[0:1], s[12:13]
	s_mov_b32 s17, 0
	s_cbranch_execz .LBB7_153
	s_branch .LBB7_154
.LBB7_152:                              ;   in Loop: Header=BB7_140 Depth=1
	s_add_nc_u64 s[0:1], s[12:13], 8
                                        ; implicit-def: $vgpr10_vgpr11
	s_mov_b32 s17, 0
.LBB7_153:                              ;   in Loop: Header=BB7_140 Depth=1
	global_load_b64 v[10:11], v7, s[12:13]
	s_add_co_i32 s17, s16, -8
.LBB7_154:                              ;   in Loop: Header=BB7_140 Depth=1
	s_wait_alu 0xfffe
	s_cmp_gt_u32 s17, 7
	s_cbranch_scc1 .LBB7_159
; %bb.155:                              ;   in Loop: Header=BB7_140 Depth=1
	v_mov_b32_e32 v12, 0
	v_mov_b32_e32 v13, 0
	s_cmp_eq_u32 s17, 0
	s_cbranch_scc1 .LBB7_158
; %bb.156:                              ;   in Loop: Header=BB7_140 Depth=1
	s_mov_b64 s[12:13], 0
	s_mov_b64 s[14:15], 0
.LBB7_157:                              ;   Parent Loop BB7_140 Depth=1
                                        ; =>  This Inner Loop Header: Depth=2
	s_wait_alu 0xfffe
	s_add_nc_u64 s[18:19], s[0:1], s[14:15]
	s_add_nc_u64 s[14:15], s[14:15], 1
	global_load_u8 v6, v7, s[18:19]
	s_wait_alu 0xfffe
	s_cmp_lg_u32 s17, s14
	s_wait_loadcnt 0x0
	v_and_b32_e32 v6, 0xffff, v6
	s_delay_alu instid0(VALU_DEP_1) | instskip(SKIP_1) | instid1(VALU_DEP_1)
	v_lshlrev_b64_e32 v[14:15], s12, v[6:7]
	s_add_nc_u64 s[12:13], s[12:13], 8
	v_or_b32_e32 v12, v14, v12
	s_delay_alu instid0(VALU_DEP_2)
	v_or_b32_e32 v13, v15, v13
	s_cbranch_scc1 .LBB7_157
.LBB7_158:                              ;   in Loop: Header=BB7_140 Depth=1
	s_mov_b64 s[12:13], s[0:1]
	s_mov_b32 s16, 0
	s_cbranch_execz .LBB7_160
	s_branch .LBB7_161
.LBB7_159:                              ;   in Loop: Header=BB7_140 Depth=1
	s_add_nc_u64 s[12:13], s[0:1], 8
	s_mov_b32 s16, 0
.LBB7_160:                              ;   in Loop: Header=BB7_140 Depth=1
	global_load_b64 v[12:13], v7, s[0:1]
	s_add_co_i32 s16, s17, -8
.LBB7_161:                              ;   in Loop: Header=BB7_140 Depth=1
	s_wait_alu 0xfffe
	s_cmp_gt_u32 s16, 7
	s_cbranch_scc1 .LBB7_166
; %bb.162:                              ;   in Loop: Header=BB7_140 Depth=1
	v_mov_b32_e32 v14, 0
	v_mov_b32_e32 v15, 0
	s_cmp_eq_u32 s16, 0
	s_cbranch_scc1 .LBB7_165
; %bb.163:                              ;   in Loop: Header=BB7_140 Depth=1
	s_mov_b64 s[0:1], 0
	s_mov_b64 s[14:15], 0
.LBB7_164:                              ;   Parent Loop BB7_140 Depth=1
                                        ; =>  This Inner Loop Header: Depth=2
	s_wait_alu 0xfffe
	s_add_nc_u64 s[18:19], s[12:13], s[14:15]
	s_add_nc_u64 s[14:15], s[14:15], 1
	global_load_u8 v6, v7, s[18:19]
	s_wait_alu 0xfffe
	s_cmp_lg_u32 s16, s14
	s_wait_loadcnt 0x0
	v_and_b32_e32 v6, 0xffff, v6
	s_delay_alu instid0(VALU_DEP_1) | instskip(SKIP_1) | instid1(VALU_DEP_1)
	v_lshlrev_b64_e32 v[16:17], s0, v[6:7]
	s_add_nc_u64 s[0:1], s[0:1], 8
	v_or_b32_e32 v14, v16, v14
	s_delay_alu instid0(VALU_DEP_2)
	v_or_b32_e32 v15, v17, v15
	s_cbranch_scc1 .LBB7_164
.LBB7_165:                              ;   in Loop: Header=BB7_140 Depth=1
	s_mov_b64 s[0:1], s[12:13]
	s_mov_b32 s17, 0
	s_cbranch_execz .LBB7_167
	s_branch .LBB7_168
.LBB7_166:                              ;   in Loop: Header=BB7_140 Depth=1
	s_add_nc_u64 s[0:1], s[12:13], 8
                                        ; implicit-def: $vgpr14_vgpr15
	s_mov_b32 s17, 0
.LBB7_167:                              ;   in Loop: Header=BB7_140 Depth=1
	global_load_b64 v[14:15], v7, s[12:13]
	s_add_co_i32 s17, s16, -8
.LBB7_168:                              ;   in Loop: Header=BB7_140 Depth=1
	s_wait_alu 0xfffe
	s_cmp_gt_u32 s17, 7
	s_cbranch_scc1 .LBB7_173
; %bb.169:                              ;   in Loop: Header=BB7_140 Depth=1
	v_mov_b32_e32 v16, 0
	v_mov_b32_e32 v17, 0
	s_cmp_eq_u32 s17, 0
	s_cbranch_scc1 .LBB7_172
; %bb.170:                              ;   in Loop: Header=BB7_140 Depth=1
	s_mov_b64 s[12:13], 0
	s_mov_b64 s[14:15], 0
.LBB7_171:                              ;   Parent Loop BB7_140 Depth=1
                                        ; =>  This Inner Loop Header: Depth=2
	s_wait_alu 0xfffe
	s_add_nc_u64 s[18:19], s[0:1], s[14:15]
	s_add_nc_u64 s[14:15], s[14:15], 1
	global_load_u8 v6, v7, s[18:19]
	s_wait_alu 0xfffe
	s_cmp_lg_u32 s17, s14
	s_wait_loadcnt 0x0
	v_and_b32_e32 v6, 0xffff, v6
	s_delay_alu instid0(VALU_DEP_1) | instskip(SKIP_1) | instid1(VALU_DEP_1)
	v_lshlrev_b64_e32 v[18:19], s12, v[6:7]
	s_add_nc_u64 s[12:13], s[12:13], 8
	v_or_b32_e32 v16, v18, v16
	s_delay_alu instid0(VALU_DEP_2)
	v_or_b32_e32 v17, v19, v17
	s_cbranch_scc1 .LBB7_171
.LBB7_172:                              ;   in Loop: Header=BB7_140 Depth=1
	s_mov_b64 s[12:13], s[0:1]
	s_mov_b32 s16, 0
	s_cbranch_execz .LBB7_174
	s_branch .LBB7_175
.LBB7_173:                              ;   in Loop: Header=BB7_140 Depth=1
	s_add_nc_u64 s[12:13], s[0:1], 8
	s_mov_b32 s16, 0
.LBB7_174:                              ;   in Loop: Header=BB7_140 Depth=1
	global_load_b64 v[16:17], v7, s[0:1]
	s_add_co_i32 s16, s17, -8
.LBB7_175:                              ;   in Loop: Header=BB7_140 Depth=1
	s_wait_alu 0xfffe
	s_cmp_gt_u32 s16, 7
	s_cbranch_scc1 .LBB7_180
; %bb.176:                              ;   in Loop: Header=BB7_140 Depth=1
	v_mov_b32_e32 v18, 0
	v_mov_b32_e32 v19, 0
	s_cmp_eq_u32 s16, 0
	s_cbranch_scc1 .LBB7_179
; %bb.177:                              ;   in Loop: Header=BB7_140 Depth=1
	s_mov_b64 s[0:1], 0
	s_mov_b64 s[14:15], 0
.LBB7_178:                              ;   Parent Loop BB7_140 Depth=1
                                        ; =>  This Inner Loop Header: Depth=2
	s_wait_alu 0xfffe
	s_add_nc_u64 s[18:19], s[12:13], s[14:15]
	s_add_nc_u64 s[14:15], s[14:15], 1
	global_load_u8 v6, v7, s[18:19]
	s_wait_alu 0xfffe
	s_cmp_lg_u32 s16, s14
	s_wait_loadcnt 0x0
	v_and_b32_e32 v6, 0xffff, v6
	s_delay_alu instid0(VALU_DEP_1) | instskip(SKIP_1) | instid1(VALU_DEP_1)
	v_lshlrev_b64_e32 v[20:21], s0, v[6:7]
	s_add_nc_u64 s[0:1], s[0:1], 8
	v_or_b32_e32 v18, v20, v18
	s_delay_alu instid0(VALU_DEP_2)
	v_or_b32_e32 v19, v21, v19
	s_cbranch_scc1 .LBB7_178
.LBB7_179:                              ;   in Loop: Header=BB7_140 Depth=1
	s_mov_b64 s[0:1], s[12:13]
	s_mov_b32 s17, 0
	s_cbranch_execz .LBB7_181
	s_branch .LBB7_182
.LBB7_180:                              ;   in Loop: Header=BB7_140 Depth=1
	s_add_nc_u64 s[0:1], s[12:13], 8
                                        ; implicit-def: $vgpr18_vgpr19
	s_mov_b32 s17, 0
.LBB7_181:                              ;   in Loop: Header=BB7_140 Depth=1
	global_load_b64 v[18:19], v7, s[12:13]
	s_add_co_i32 s17, s16, -8
.LBB7_182:                              ;   in Loop: Header=BB7_140 Depth=1
	s_wait_alu 0xfffe
	s_cmp_gt_u32 s17, 7
	s_cbranch_scc1 .LBB7_187
; %bb.183:                              ;   in Loop: Header=BB7_140 Depth=1
	v_mov_b32_e32 v20, 0
	v_mov_b32_e32 v21, 0
	s_cmp_eq_u32 s17, 0
	s_cbranch_scc1 .LBB7_186
; %bb.184:                              ;   in Loop: Header=BB7_140 Depth=1
	s_mov_b64 s[12:13], 0
	s_mov_b64 s[14:15], s[0:1]
.LBB7_185:                              ;   Parent Loop BB7_140 Depth=1
                                        ; =>  This Inner Loop Header: Depth=2
	global_load_u8 v6, v7, s[14:15]
	s_add_co_i32 s17, s17, -1
	s_wait_alu 0xfffe
	s_add_nc_u64 s[14:15], s[14:15], 1
	s_cmp_lg_u32 s17, 0
	s_wait_loadcnt 0x0
	v_and_b32_e32 v6, 0xffff, v6
	s_delay_alu instid0(VALU_DEP_1) | instskip(SKIP_1) | instid1(VALU_DEP_1)
	v_lshlrev_b64_e32 v[22:23], s12, v[6:7]
	s_add_nc_u64 s[12:13], s[12:13], 8
	v_or_b32_e32 v20, v22, v20
	s_delay_alu instid0(VALU_DEP_2)
	v_or_b32_e32 v21, v23, v21
	s_cbranch_scc1 .LBB7_185
.LBB7_186:                              ;   in Loop: Header=BB7_140 Depth=1
	s_cbranch_execz .LBB7_188
	s_branch .LBB7_189
.LBB7_187:                              ;   in Loop: Header=BB7_140 Depth=1
.LBB7_188:                              ;   in Loop: Header=BB7_140 Depth=1
	global_load_b64 v[20:21], v7, s[0:1]
.LBB7_189:                              ;   in Loop: Header=BB7_140 Depth=1
	v_readfirstlane_b32 s0, v31
	v_mov_b32_e32 v26, 0
	v_mov_b32_e32 v27, 0
	s_wait_alu 0xf1ff
	s_delay_alu instid0(VALU_DEP_3)
	v_cmp_eq_u32_e64 s0, s0, v31
	s_and_saveexec_b32 s1, s0
	s_cbranch_execz .LBB7_195
; %bb.190:                              ;   in Loop: Header=BB7_140 Depth=1
	global_load_b64 v[24:25], v7, s[2:3] offset:24 scope:SCOPE_SYS
	s_wait_loadcnt 0x0
	global_inv scope:SCOPE_SYS
	s_clause 0x1
	global_load_b64 v[22:23], v7, s[2:3] offset:40
	global_load_b64 v[26:27], v7, s[2:3]
	s_mov_b32 s12, exec_lo
	s_wait_loadcnt 0x1
	v_and_b32_e32 v6, v23, v25
	v_and_b32_e32 v22, v22, v24
	s_delay_alu instid0(VALU_DEP_2) | instskip(NEXT) | instid1(VALU_DEP_2)
	v_mul_lo_u32 v6, 24, v6
	v_mul_lo_u32 v23, 0, v22
	v_mul_hi_u32 v28, 24, v22
	v_mul_lo_u32 v22, 24, v22
	s_delay_alu instid0(VALU_DEP_3) | instskip(SKIP_1) | instid1(VALU_DEP_2)
	v_add_nc_u32_e32 v6, v6, v23
	s_wait_loadcnt 0x0
	v_add_co_u32 v22, vcc_lo, v26, v22
	s_delay_alu instid0(VALU_DEP_2) | instskip(SKIP_1) | instid1(VALU_DEP_1)
	v_add_nc_u32_e32 v6, v6, v28
	s_wait_alu 0xfffd
	v_add_co_ci_u32_e64 v23, null, v27, v6, vcc_lo
	global_load_b64 v[22:23], v[22:23], off scope:SCOPE_SYS
	s_wait_loadcnt 0x0
	global_atomic_cmpswap_b64 v[26:27], v7, v[22:25], s[2:3] offset:24 th:TH_ATOMIC_RETURN scope:SCOPE_SYS
	s_wait_loadcnt 0x0
	global_inv scope:SCOPE_SYS
	v_cmpx_ne_u64_e64 v[26:27], v[24:25]
	s_cbranch_execz .LBB7_194
; %bb.191:                              ;   in Loop: Header=BB7_140 Depth=1
	s_mov_b32 s13, 0
.LBB7_192:                              ;   Parent Loop BB7_140 Depth=1
                                        ; =>  This Inner Loop Header: Depth=2
	s_sleep 1
	s_clause 0x1
	global_load_b64 v[22:23], v7, s[2:3] offset:40
	global_load_b64 v[28:29], v7, s[2:3]
	v_dual_mov_b32 v24, v26 :: v_dual_mov_b32 v25, v27
	s_wait_loadcnt 0x1
	s_delay_alu instid0(VALU_DEP_1) | instskip(NEXT) | instid1(VALU_DEP_2)
	v_and_b32_e32 v6, v22, v24
	v_and_b32_e32 v22, v23, v25
	s_wait_loadcnt 0x0
	s_delay_alu instid0(VALU_DEP_2) | instskip(NEXT) | instid1(VALU_DEP_1)
	v_mad_co_u64_u32 v[26:27], null, v6, 24, v[28:29]
	v_mov_b32_e32 v6, v27
	s_delay_alu instid0(VALU_DEP_1) | instskip(NEXT) | instid1(VALU_DEP_1)
	v_mad_co_u64_u32 v[22:23], null, v22, 24, v[6:7]
	v_mov_b32_e32 v27, v22
	global_load_b64 v[22:23], v[26:27], off scope:SCOPE_SYS
	s_wait_loadcnt 0x0
	global_atomic_cmpswap_b64 v[26:27], v7, v[22:25], s[2:3] offset:24 th:TH_ATOMIC_RETURN scope:SCOPE_SYS
	s_wait_loadcnt 0x0
	global_inv scope:SCOPE_SYS
	v_cmp_eq_u64_e32 vcc_lo, v[26:27], v[24:25]
	s_wait_alu 0xfffe
	s_or_b32 s13, vcc_lo, s13
	s_wait_alu 0xfffe
	s_and_not1_b32 exec_lo, exec_lo, s13
	s_cbranch_execnz .LBB7_192
; %bb.193:                              ;   in Loop: Header=BB7_140 Depth=1
	s_or_b32 exec_lo, exec_lo, s13
.LBB7_194:                              ;   in Loop: Header=BB7_140 Depth=1
	s_wait_alu 0xfffe
	s_or_b32 exec_lo, exec_lo, s12
.LBB7_195:                              ;   in Loop: Header=BB7_140 Depth=1
	s_wait_alu 0xfffe
	s_or_b32 exec_lo, exec_lo, s1
	s_clause 0x1
	global_load_b64 v[28:29], v7, s[2:3] offset:40
	global_load_b128 v[22:25], v7, s[2:3]
	v_readfirstlane_b32 s13, v27
	v_readfirstlane_b32 s12, v26
	s_mov_b32 s1, exec_lo
	s_wait_loadcnt 0x1
	s_wait_alu 0xf1ff
	v_and_b32_e32 v29, s13, v29
	v_and_b32_e32 v28, s12, v28
	s_delay_alu instid0(VALU_DEP_2) | instskip(NEXT) | instid1(VALU_DEP_2)
	v_mul_lo_u32 v6, 24, v29
	v_mul_lo_u32 v26, 0, v28
	v_mul_hi_u32 v27, 24, v28
	v_mul_lo_u32 v33, 24, v28
	s_delay_alu instid0(VALU_DEP_3) | instskip(SKIP_1) | instid1(VALU_DEP_2)
	v_add_nc_u32_e32 v6, v6, v26
	s_wait_loadcnt 0x0
	v_add_co_u32 v26, vcc_lo, v22, v33
	s_delay_alu instid0(VALU_DEP_2) | instskip(SKIP_1) | instid1(VALU_DEP_1)
	v_add_nc_u32_e32 v6, v6, v27
	s_wait_alu 0xfffd
	v_add_co_ci_u32_e64 v27, null, v23, v6, vcc_lo
	s_and_saveexec_b32 s14, s0
	s_cbranch_execz .LBB7_197
; %bb.196:                              ;   in Loop: Header=BB7_140 Depth=1
	s_wait_alu 0xfffe
	v_mov_b32_e32 v6, s1
	global_store_b128 v[26:27], v[6:9], off offset:8
.LBB7_197:                              ;   in Loop: Header=BB7_140 Depth=1
	s_wait_alu 0xfffe
	s_or_b32 exec_lo, exec_lo, s14
	v_cmp_lt_u64_e64 vcc_lo, s[4:5], 57
	v_lshlrev_b64_e32 v[28:29], 12, v[28:29]
	v_and_b32_e32 v2, 0xffffff1f, v2
	s_lshl_b32 s1, s10, 2
	s_wait_alu 0xfffe
	s_add_co_i32 s1, s1, 28
	s_wait_alu 0xfffd
	v_cndmask_b32_e32 v6, 0, v32, vcc_lo
	v_add_co_u32 v24, vcc_lo, v24, v28
	s_wait_alu 0xfffd
	v_add_co_ci_u32_e64 v25, null, v25, v29, vcc_lo
	s_delay_alu instid0(VALU_DEP_3) | instskip(NEXT) | instid1(VALU_DEP_3)
	v_or_b32_e32 v2, v2, v6
	v_readfirstlane_b32 s14, v24
	s_delay_alu instid0(VALU_DEP_3) | instskip(SKIP_1) | instid1(VALU_DEP_3)
	v_readfirstlane_b32 s15, v25
	s_wait_alu 0xfffe
	v_and_or_b32 v2, 0x1e0, s1, v2
	s_clause 0x3
	global_store_b128 v30, v[2:5], s[14:15]
	global_store_b128 v30, v[10:13], s[14:15] offset:16
	global_store_b128 v30, v[14:17], s[14:15] offset:32
	;; [unrolled: 1-line block ×3, first 2 shown]
	s_and_saveexec_b32 s1, s0
	s_cbranch_execz .LBB7_205
; %bb.198:                              ;   in Loop: Header=BB7_140 Depth=1
	s_clause 0x1
	global_load_b64 v[14:15], v7, s[2:3] offset:32 scope:SCOPE_SYS
	global_load_b64 v[2:3], v7, s[2:3] offset:40
	s_mov_b32 s14, exec_lo
	v_dual_mov_b32 v12, s12 :: v_dual_mov_b32 v13, s13
	s_wait_loadcnt 0x0
	v_and_b32_e32 v2, s12, v2
	v_and_b32_e32 v3, s13, v3
	s_delay_alu instid0(VALU_DEP_2) | instskip(NEXT) | instid1(VALU_DEP_2)
	v_mul_lo_u32 v4, 0, v2
	v_mul_lo_u32 v3, 24, v3
	v_mul_hi_u32 v5, 24, v2
	v_mul_lo_u32 v2, 24, v2
	s_delay_alu instid0(VALU_DEP_3) | instskip(NEXT) | instid1(VALU_DEP_2)
	v_add_nc_u32_e32 v3, v3, v4
	v_add_co_u32 v10, vcc_lo, v22, v2
	s_delay_alu instid0(VALU_DEP_2) | instskip(SKIP_1) | instid1(VALU_DEP_1)
	v_add_nc_u32_e32 v3, v3, v5
	s_wait_alu 0xfffd
	v_add_co_ci_u32_e64 v11, null, v23, v3, vcc_lo
	global_store_b64 v[10:11], v[14:15], off
	global_wb scope:SCOPE_SYS
	s_wait_storecnt 0x0
	global_atomic_cmpswap_b64 v[4:5], v7, v[12:15], s[2:3] offset:32 th:TH_ATOMIC_RETURN scope:SCOPE_SYS
	s_wait_loadcnt 0x0
	v_cmpx_ne_u64_e64 v[4:5], v[14:15]
	s_cbranch_execz .LBB7_201
; %bb.199:                              ;   in Loop: Header=BB7_140 Depth=1
	s_mov_b32 s15, 0
.LBB7_200:                              ;   Parent Loop BB7_140 Depth=1
                                        ; =>  This Inner Loop Header: Depth=2
	v_dual_mov_b32 v2, s12 :: v_dual_mov_b32 v3, s13
	s_sleep 1
	global_store_b64 v[10:11], v[4:5], off
	global_wb scope:SCOPE_SYS
	s_wait_storecnt 0x0
	global_atomic_cmpswap_b64 v[2:3], v7, v[2:5], s[2:3] offset:32 th:TH_ATOMIC_RETURN scope:SCOPE_SYS
	s_wait_loadcnt 0x0
	v_cmp_eq_u64_e32 vcc_lo, v[2:3], v[4:5]
	v_dual_mov_b32 v5, v3 :: v_dual_mov_b32 v4, v2
	s_wait_alu 0xfffe
	s_or_b32 s15, vcc_lo, s15
	s_wait_alu 0xfffe
	s_and_not1_b32 exec_lo, exec_lo, s15
	s_cbranch_execnz .LBB7_200
.LBB7_201:                              ;   in Loop: Header=BB7_140 Depth=1
	s_wait_alu 0xfffe
	s_or_b32 exec_lo, exec_lo, s14
	global_load_b64 v[2:3], v7, s[2:3] offset:16
	s_mov_b32 s15, exec_lo
	s_mov_b32 s14, exec_lo
	s_wait_alu 0xfffe
	v_mbcnt_lo_u32_b32 v4, s15, 0
	s_delay_alu instid0(VALU_DEP_1)
	v_cmpx_eq_u32_e32 0, v4
	s_cbranch_execz .LBB7_203
; %bb.202:                              ;   in Loop: Header=BB7_140 Depth=1
	s_bcnt1_i32_b32 s15, s15
	s_wait_alu 0xfffe
	v_mov_b32_e32 v6, s15
	global_wb scope:SCOPE_SYS
	s_wait_loadcnt 0x0
	s_wait_storecnt 0x0
	global_atomic_add_u64 v[2:3], v[6:7], off offset:8 scope:SCOPE_SYS
.LBB7_203:                              ;   in Loop: Header=BB7_140 Depth=1
	s_or_b32 exec_lo, exec_lo, s14
	s_wait_loadcnt 0x0
	global_load_b64 v[4:5], v[2:3], off offset:16
	s_wait_loadcnt 0x0
	v_cmp_eq_u64_e32 vcc_lo, 0, v[4:5]
	s_cbranch_vccnz .LBB7_205
; %bb.204:                              ;   in Loop: Header=BB7_140 Depth=1
	global_load_b32 v6, v[2:3], off offset:24
	s_wait_loadcnt 0x0
	v_readfirstlane_b32 s14, v6
	global_wb scope:SCOPE_SYS
	s_wait_storecnt 0x0
	global_store_b64 v[4:5], v[6:7], off scope:SCOPE_SYS
	s_and_b32 m0, s14, 0xffffff
	s_sendmsg sendmsg(MSG_INTERRUPT)
.LBB7_205:                              ;   in Loop: Header=BB7_140 Depth=1
	s_wait_alu 0xfffe
	s_or_b32 exec_lo, exec_lo, s1
	v_add_co_u32 v2, vcc_lo, v24, v30
	s_wait_alu 0xfffd
	v_add_co_ci_u32_e64 v3, null, 0, v25, vcc_lo
	s_branch .LBB7_209
.LBB7_206:                              ;   in Loop: Header=BB7_209 Depth=2
	s_wait_alu 0xfffe
	s_or_b32 exec_lo, exec_lo, s1
	s_delay_alu instid0(VALU_DEP_1)
	v_readfirstlane_b32 s1, v4
	s_cmp_eq_u32 s1, 0
	s_cbranch_scc1 .LBB7_208
; %bb.207:                              ;   in Loop: Header=BB7_209 Depth=2
	s_sleep 1
	s_cbranch_execnz .LBB7_209
	s_branch .LBB7_211
.LBB7_208:                              ;   in Loop: Header=BB7_140 Depth=1
	s_branch .LBB7_211
.LBB7_209:                              ;   Parent Loop BB7_140 Depth=1
                                        ; =>  This Inner Loop Header: Depth=2
	v_mov_b32_e32 v4, 1
	s_and_saveexec_b32 s1, s0
	s_cbranch_execz .LBB7_206
; %bb.210:                              ;   in Loop: Header=BB7_209 Depth=2
	global_load_b32 v4, v[26:27], off offset:20 scope:SCOPE_SYS
	s_wait_loadcnt 0x0
	global_inv scope:SCOPE_SYS
	v_and_b32_e32 v4, 1, v4
	s_branch .LBB7_206
.LBB7_211:                              ;   in Loop: Header=BB7_140 Depth=1
	global_load_b64 v[2:3], v[2:3], off
	s_and_saveexec_b32 s14, s0
	s_cbranch_execz .LBB7_139
; %bb.212:                              ;   in Loop: Header=BB7_140 Depth=1
	s_clause 0x2
	global_load_b64 v[4:5], v7, s[2:3] offset:40
	global_load_b64 v[14:15], v7, s[2:3] offset:24 scope:SCOPE_SYS
	global_load_b64 v[10:11], v7, s[2:3]
	s_wait_loadcnt 0x2
	v_readfirstlane_b32 s16, v4
	v_readfirstlane_b32 s17, v5
	s_add_nc_u64 s[0:1], s[16:17], 1
	s_wait_alu 0xfffe
	s_add_nc_u64 s[12:13], s[0:1], s[12:13]
	s_wait_alu 0xfffe
	s_cmp_eq_u64 s[12:13], 0
	s_cselect_b32 s1, s1, s13
	s_cselect_b32 s0, s0, s12
	s_wait_alu 0xfffe
	v_dual_mov_b32 v13, s1 :: v_dual_mov_b32 v12, s0
	s_and_b64 s[12:13], s[0:1], s[16:17]
	s_wait_alu 0xfffe
	s_mul_u64 s[12:13], s[12:13], 24
	s_wait_loadcnt 0x0
	s_wait_alu 0xfffe
	v_add_co_u32 v4, vcc_lo, v10, s12
	s_wait_alu 0xfffd
	v_add_co_ci_u32_e64 v5, null, s13, v11, vcc_lo
	global_store_b64 v[4:5], v[14:15], off
	global_wb scope:SCOPE_SYS
	s_wait_storecnt 0x0
	global_atomic_cmpswap_b64 v[12:13], v7, v[12:15], s[2:3] offset:24 th:TH_ATOMIC_RETURN scope:SCOPE_SYS
	s_wait_loadcnt 0x0
	v_cmp_ne_u64_e32 vcc_lo, v[12:13], v[14:15]
	s_and_b32 exec_lo, exec_lo, vcc_lo
	s_cbranch_execz .LBB7_139
; %bb.213:                              ;   in Loop: Header=BB7_140 Depth=1
	s_mov_b32 s12, 0
.LBB7_214:                              ;   Parent Loop BB7_140 Depth=1
                                        ; =>  This Inner Loop Header: Depth=2
	v_dual_mov_b32 v10, s0 :: v_dual_mov_b32 v11, s1
	s_sleep 1
	global_store_b64 v[4:5], v[12:13], off
	global_wb scope:SCOPE_SYS
	s_wait_storecnt 0x0
	global_atomic_cmpswap_b64 v[10:11], v7, v[10:13], s[2:3] offset:24 th:TH_ATOMIC_RETURN scope:SCOPE_SYS
	s_wait_loadcnt 0x0
	v_cmp_eq_u64_e32 vcc_lo, v[10:11], v[12:13]
	v_dual_mov_b32 v13, v11 :: v_dual_mov_b32 v12, v10
	s_wait_alu 0xfffe
	s_or_b32 s12, vcc_lo, s12
	s_wait_alu 0xfffe
	s_and_not1_b32 exec_lo, exec_lo, s12
	s_cbranch_execnz .LBB7_214
	s_branch .LBB7_139
.LBB7_215:
                                        ; implicit-def: $vgpr2_vgpr3
	s_cbranch_execnz .LBB7_217
	s_branch .LBB7_244
.LBB7_216:
	s_branch .LBB7_244
.LBB7_217:
	v_readfirstlane_b32 s0, v31
	v_mov_b32_e32 v8, 0
	v_mov_b32_e32 v9, 0
	s_wait_alu 0xf1ff
	s_delay_alu instid0(VALU_DEP_3)
	v_cmp_eq_u32_e64 s0, s0, v31
	s_and_saveexec_b32 s1, s0
	s_cbranch_execz .LBB7_223
; %bb.218:
	s_wait_loadcnt 0x0
	v_mov_b32_e32 v2, 0
	s_mov_b32 s4, exec_lo
	global_load_b64 v[5:6], v2, s[2:3] offset:24 scope:SCOPE_SYS
	s_wait_loadcnt 0x0
	global_inv scope:SCOPE_SYS
	s_clause 0x1
	global_load_b64 v[3:4], v2, s[2:3] offset:40
	global_load_b64 v[7:8], v2, s[2:3]
	s_wait_loadcnt 0x1
	v_and_b32_e32 v4, v4, v6
	v_and_b32_e32 v3, v3, v5
	s_delay_alu instid0(VALU_DEP_2) | instskip(NEXT) | instid1(VALU_DEP_2)
	v_mul_lo_u32 v4, 24, v4
	v_mul_lo_u32 v9, 0, v3
	v_mul_hi_u32 v10, 24, v3
	v_mul_lo_u32 v3, 24, v3
	s_delay_alu instid0(VALU_DEP_3) | instskip(SKIP_1) | instid1(VALU_DEP_2)
	v_add_nc_u32_e32 v4, v4, v9
	s_wait_loadcnt 0x0
	v_add_co_u32 v3, vcc_lo, v7, v3
	s_delay_alu instid0(VALU_DEP_2) | instskip(SKIP_1) | instid1(VALU_DEP_1)
	v_add_nc_u32_e32 v4, v4, v10
	s_wait_alu 0xfffd
	v_add_co_ci_u32_e64 v4, null, v8, v4, vcc_lo
	global_load_b64 v[3:4], v[3:4], off scope:SCOPE_SYS
	s_wait_loadcnt 0x0
	global_atomic_cmpswap_b64 v[8:9], v2, v[3:6], s[2:3] offset:24 th:TH_ATOMIC_RETURN scope:SCOPE_SYS
	s_wait_loadcnt 0x0
	global_inv scope:SCOPE_SYS
	v_cmpx_ne_u64_e64 v[8:9], v[5:6]
	s_cbranch_execz .LBB7_222
; %bb.219:
	s_mov_b32 s5, 0
.LBB7_220:                              ; =>This Inner Loop Header: Depth=1
	s_sleep 1
	s_clause 0x1
	global_load_b64 v[3:4], v2, s[2:3] offset:40
	global_load_b64 v[10:11], v2, s[2:3]
	v_dual_mov_b32 v5, v8 :: v_dual_mov_b32 v6, v9
	s_wait_loadcnt 0x1
	s_delay_alu instid0(VALU_DEP_1) | instskip(NEXT) | instid1(VALU_DEP_2)
	v_and_b32_e32 v3, v3, v5
	v_and_b32_e32 v4, v4, v6
	s_wait_loadcnt 0x0
	s_delay_alu instid0(VALU_DEP_2) | instskip(NEXT) | instid1(VALU_DEP_1)
	v_mad_co_u64_u32 v[7:8], null, v3, 24, v[10:11]
	v_mov_b32_e32 v3, v8
	s_delay_alu instid0(VALU_DEP_1) | instskip(NEXT) | instid1(VALU_DEP_1)
	v_mad_co_u64_u32 v[3:4], null, v4, 24, v[3:4]
	v_mov_b32_e32 v8, v3
	global_load_b64 v[3:4], v[7:8], off scope:SCOPE_SYS
	s_wait_loadcnt 0x0
	global_atomic_cmpswap_b64 v[8:9], v2, v[3:6], s[2:3] offset:24 th:TH_ATOMIC_RETURN scope:SCOPE_SYS
	s_wait_loadcnt 0x0
	global_inv scope:SCOPE_SYS
	v_cmp_eq_u64_e32 vcc_lo, v[8:9], v[5:6]
	s_wait_alu 0xfffe
	s_or_b32 s5, vcc_lo, s5
	s_wait_alu 0xfffe
	s_and_not1_b32 exec_lo, exec_lo, s5
	s_cbranch_execnz .LBB7_220
; %bb.221:
	s_or_b32 exec_lo, exec_lo, s5
.LBB7_222:
	s_wait_alu 0xfffe
	s_or_b32 exec_lo, exec_lo, s4
.LBB7_223:
	s_wait_alu 0xfffe
	s_or_b32 exec_lo, exec_lo, s1
	v_readfirstlane_b32 s5, v9
	s_wait_loadcnt 0x0
	v_mov_b32_e32 v2, 0
	v_readfirstlane_b32 s4, v8
	s_mov_b32 s1, exec_lo
	s_clause 0x1
	global_load_b64 v[10:11], v2, s[2:3] offset:40
	global_load_b128 v[4:7], v2, s[2:3]
	s_wait_loadcnt 0x1
	s_wait_alu 0xf1ff
	v_and_b32_e32 v11, s5, v11
	v_and_b32_e32 v10, s4, v10
	s_delay_alu instid0(VALU_DEP_2) | instskip(NEXT) | instid1(VALU_DEP_2)
	v_mul_lo_u32 v3, 24, v11
	v_mul_lo_u32 v8, 0, v10
	v_mul_hi_u32 v9, 24, v10
	v_mul_lo_u32 v12, 24, v10
	s_delay_alu instid0(VALU_DEP_3) | instskip(SKIP_1) | instid1(VALU_DEP_2)
	v_add_nc_u32_e32 v3, v3, v8
	s_wait_loadcnt 0x0
	v_add_co_u32 v8, vcc_lo, v4, v12
	s_delay_alu instid0(VALU_DEP_2) | instskip(SKIP_1) | instid1(VALU_DEP_1)
	v_add_nc_u32_e32 v3, v3, v9
	s_wait_alu 0xfffd
	v_add_co_ci_u32_e64 v9, null, v5, v3, vcc_lo
	s_and_saveexec_b32 s6, s0
	s_cbranch_execz .LBB7_225
; %bb.224:
	s_wait_alu 0xfffe
	v_dual_mov_b32 v12, s1 :: v_dual_mov_b32 v13, v2
	v_dual_mov_b32 v14, 2 :: v_dual_mov_b32 v15, 1
	global_store_b128 v[8:9], v[12:15], off offset:8
.LBB7_225:
	s_wait_alu 0xfffe
	s_or_b32 exec_lo, exec_lo, s6
	v_lshlrev_b64_e32 v[10:11], 12, v[10:11]
	s_mov_b32 s12, 0
	v_and_or_b32 v0, 0xffffff1f, v0, 32
	s_wait_alu 0xfffe
	s_mov_b32 s13, s12
	s_mov_b32 s14, s12
	;; [unrolled: 1-line block ×3, first 2 shown]
	v_add_co_u32 v6, vcc_lo, v6, v10
	s_wait_alu 0xfffd
	v_add_co_ci_u32_e64 v7, null, v7, v11, vcc_lo
	v_dual_mov_b32 v3, v2 :: v_dual_mov_b32 v10, s12
	s_delay_alu instid0(VALU_DEP_3) | instskip(SKIP_1) | instid1(VALU_DEP_4)
	v_readfirstlane_b32 s6, v6
	v_add_co_u32 v6, vcc_lo, v6, v30
	v_readfirstlane_b32 s7, v7
	s_wait_alu 0xfffd
	v_add_co_ci_u32_e64 v7, null, 0, v7, vcc_lo
	s_wait_alu 0xfffe
	v_dual_mov_b32 v11, s13 :: v_dual_mov_b32 v12, s14
	v_mov_b32_e32 v13, s15
	s_clause 0x3
	global_store_b128 v30, v[0:3], s[6:7]
	global_store_b128 v30, v[10:13], s[6:7] offset:16
	global_store_b128 v30, v[10:13], s[6:7] offset:32
	;; [unrolled: 1-line block ×3, first 2 shown]
	s_and_saveexec_b32 s1, s0
	s_cbranch_execz .LBB7_233
; %bb.226:
	v_mov_b32_e32 v10, 0
	s_mov_b32 s6, exec_lo
	s_clause 0x1
	global_load_b64 v[13:14], v10, s[2:3] offset:32 scope:SCOPE_SYS
	global_load_b64 v[0:1], v10, s[2:3] offset:40
	v_dual_mov_b32 v11, s4 :: v_dual_mov_b32 v12, s5
	s_wait_loadcnt 0x0
	v_and_b32_e32 v1, s5, v1
	v_and_b32_e32 v0, s4, v0
	s_delay_alu instid0(VALU_DEP_2) | instskip(NEXT) | instid1(VALU_DEP_2)
	v_mul_lo_u32 v1, 24, v1
	v_mul_lo_u32 v2, 0, v0
	v_mul_hi_u32 v3, 24, v0
	v_mul_lo_u32 v0, 24, v0
	s_delay_alu instid0(VALU_DEP_3) | instskip(NEXT) | instid1(VALU_DEP_2)
	v_add_nc_u32_e32 v1, v1, v2
	v_add_co_u32 v4, vcc_lo, v4, v0
	s_delay_alu instid0(VALU_DEP_2) | instskip(SKIP_1) | instid1(VALU_DEP_1)
	v_add_nc_u32_e32 v1, v1, v3
	s_wait_alu 0xfffd
	v_add_co_ci_u32_e64 v5, null, v5, v1, vcc_lo
	global_store_b64 v[4:5], v[13:14], off
	global_wb scope:SCOPE_SYS
	s_wait_storecnt 0x0
	global_atomic_cmpswap_b64 v[2:3], v10, v[11:14], s[2:3] offset:32 th:TH_ATOMIC_RETURN scope:SCOPE_SYS
	s_wait_loadcnt 0x0
	v_cmpx_ne_u64_e64 v[2:3], v[13:14]
	s_cbranch_execz .LBB7_229
; %bb.227:
	s_mov_b32 s7, 0
.LBB7_228:                              ; =>This Inner Loop Header: Depth=1
	v_dual_mov_b32 v0, s4 :: v_dual_mov_b32 v1, s5
	s_sleep 1
	global_store_b64 v[4:5], v[2:3], off
	global_wb scope:SCOPE_SYS
	s_wait_storecnt 0x0
	global_atomic_cmpswap_b64 v[0:1], v10, v[0:3], s[2:3] offset:32 th:TH_ATOMIC_RETURN scope:SCOPE_SYS
	s_wait_loadcnt 0x0
	v_cmp_eq_u64_e32 vcc_lo, v[0:1], v[2:3]
	v_dual_mov_b32 v3, v1 :: v_dual_mov_b32 v2, v0
	s_wait_alu 0xfffe
	s_or_b32 s7, vcc_lo, s7
	s_wait_alu 0xfffe
	s_and_not1_b32 exec_lo, exec_lo, s7
	s_cbranch_execnz .LBB7_228
.LBB7_229:
	s_wait_alu 0xfffe
	s_or_b32 exec_lo, exec_lo, s6
	v_mov_b32_e32 v3, 0
	s_mov_b32 s7, exec_lo
	s_mov_b32 s6, exec_lo
	s_wait_alu 0xfffe
	v_mbcnt_lo_u32_b32 v2, s7, 0
	global_load_b64 v[0:1], v3, s[2:3] offset:16
	v_cmpx_eq_u32_e32 0, v2
	s_cbranch_execz .LBB7_231
; %bb.230:
	s_bcnt1_i32_b32 s7, s7
	s_wait_alu 0xfffe
	v_mov_b32_e32 v2, s7
	global_wb scope:SCOPE_SYS
	s_wait_loadcnt 0x0
	s_wait_storecnt 0x0
	global_atomic_add_u64 v[0:1], v[2:3], off offset:8 scope:SCOPE_SYS
.LBB7_231:
	s_or_b32 exec_lo, exec_lo, s6
	s_wait_loadcnt 0x0
	global_load_b64 v[2:3], v[0:1], off offset:16
	s_wait_loadcnt 0x0
	v_cmp_eq_u64_e32 vcc_lo, 0, v[2:3]
	s_cbranch_vccnz .LBB7_233
; %bb.232:
	global_load_b32 v0, v[0:1], off offset:24
	v_mov_b32_e32 v1, 0
	s_wait_loadcnt 0x0
	v_readfirstlane_b32 s6, v0
	global_wb scope:SCOPE_SYS
	s_wait_storecnt 0x0
	global_store_b64 v[2:3], v[0:1], off scope:SCOPE_SYS
	s_and_b32 m0, s6, 0xffffff
	s_sendmsg sendmsg(MSG_INTERRUPT)
.LBB7_233:
	s_wait_alu 0xfffe
	s_or_b32 exec_lo, exec_lo, s1
	s_branch .LBB7_237
.LBB7_234:                              ;   in Loop: Header=BB7_237 Depth=1
	s_wait_alu 0xfffe
	s_or_b32 exec_lo, exec_lo, s1
	s_delay_alu instid0(VALU_DEP_1)
	v_readfirstlane_b32 s1, v0
	s_cmp_eq_u32 s1, 0
	s_cbranch_scc1 .LBB7_236
; %bb.235:                              ;   in Loop: Header=BB7_237 Depth=1
	s_sleep 1
	s_cbranch_execnz .LBB7_237
	s_branch .LBB7_239
.LBB7_236:
	s_branch .LBB7_239
.LBB7_237:                              ; =>This Inner Loop Header: Depth=1
	v_mov_b32_e32 v0, 1
	s_and_saveexec_b32 s1, s0
	s_cbranch_execz .LBB7_234
; %bb.238:                              ;   in Loop: Header=BB7_237 Depth=1
	global_load_b32 v0, v[8:9], off offset:20 scope:SCOPE_SYS
	s_wait_loadcnt 0x0
	global_inv scope:SCOPE_SYS
	v_and_b32_e32 v0, 1, v0
	s_branch .LBB7_234
.LBB7_239:
	global_load_b64 v[2:3], v[6:7], off
	s_and_saveexec_b32 s6, s0
	s_cbranch_execz .LBB7_243
; %bb.240:
	v_mov_b32_e32 v8, 0
	s_clause 0x2
	global_load_b64 v[0:1], v8, s[2:3] offset:40
	global_load_b64 v[11:12], v8, s[2:3] offset:24 scope:SCOPE_SYS
	global_load_b64 v[4:5], v8, s[2:3]
	s_wait_loadcnt 0x2
	v_readfirstlane_b32 s10, v0
	v_readfirstlane_b32 s11, v1
	s_add_nc_u64 s[0:1], s[10:11], 1
	s_wait_alu 0xfffe
	s_add_nc_u64 s[4:5], s[0:1], s[4:5]
	s_wait_alu 0xfffe
	s_cmp_eq_u64 s[4:5], 0
	s_cselect_b32 s1, s1, s5
	s_cselect_b32 s0, s0, s4
	s_wait_alu 0xfffe
	v_mov_b32_e32 v10, s1
	s_and_b64 s[4:5], s[0:1], s[10:11]
	v_mov_b32_e32 v9, s0
	s_wait_alu 0xfffe
	s_mul_u64 s[4:5], s[4:5], 24
	s_wait_loadcnt 0x0
	s_wait_alu 0xfffe
	v_add_co_u32 v0, vcc_lo, v4, s4
	s_wait_alu 0xfffd
	v_add_co_ci_u32_e64 v1, null, s5, v5, vcc_lo
	global_store_b64 v[0:1], v[11:12], off
	global_wb scope:SCOPE_SYS
	s_wait_storecnt 0x0
	global_atomic_cmpswap_b64 v[6:7], v8, v[9:12], s[2:3] offset:24 th:TH_ATOMIC_RETURN scope:SCOPE_SYS
	s_wait_loadcnt 0x0
	v_cmp_ne_u64_e32 vcc_lo, v[6:7], v[11:12]
	s_and_b32 exec_lo, exec_lo, vcc_lo
	s_cbranch_execz .LBB7_243
; %bb.241:
	s_mov_b32 s4, 0
.LBB7_242:                              ; =>This Inner Loop Header: Depth=1
	v_dual_mov_b32 v4, s0 :: v_dual_mov_b32 v5, s1
	s_sleep 1
	global_store_b64 v[0:1], v[6:7], off
	global_wb scope:SCOPE_SYS
	s_wait_storecnt 0x0
	global_atomic_cmpswap_b64 v[4:5], v8, v[4:7], s[2:3] offset:24 th:TH_ATOMIC_RETURN scope:SCOPE_SYS
	s_wait_loadcnt 0x0
	v_cmp_eq_u64_e32 vcc_lo, v[4:5], v[6:7]
	v_dual_mov_b32 v7, v5 :: v_dual_mov_b32 v6, v4
	s_wait_alu 0xfffe
	s_or_b32 s4, vcc_lo, s4
	s_wait_alu 0xfffe
	s_and_not1_b32 exec_lo, exec_lo, s4
	s_cbranch_execnz .LBB7_242
.LBB7_243:
	s_wait_alu 0xfffe
	s_or_b32 exec_lo, exec_lo, s6
.LBB7_244:
	v_readfirstlane_b32 s0, v31
	s_wait_loadcnt 0x0
	v_mov_b32_e32 v0, 0
	v_mov_b32_e32 v1, 0
	s_wait_alu 0xf1ff
	v_cmp_eq_u32_e64 s0, s0, v31
	s_and_saveexec_b32 s1, s0
	s_cbranch_execz .LBB7_250
; %bb.245:
	v_mov_b32_e32 v4, 0
	s_mov_b32 s4, exec_lo
	global_load_b64 v[7:8], v4, s[2:3] offset:24 scope:SCOPE_SYS
	s_wait_loadcnt 0x0
	global_inv scope:SCOPE_SYS
	s_clause 0x1
	global_load_b64 v[0:1], v4, s[2:3] offset:40
	global_load_b64 v[5:6], v4, s[2:3]
	s_wait_loadcnt 0x1
	v_and_b32_e32 v1, v1, v8
	v_and_b32_e32 v0, v0, v7
	s_delay_alu instid0(VALU_DEP_2) | instskip(NEXT) | instid1(VALU_DEP_2)
	v_mul_lo_u32 v1, 24, v1
	v_mul_lo_u32 v9, 0, v0
	v_mul_hi_u32 v10, 24, v0
	v_mul_lo_u32 v0, 24, v0
	s_delay_alu instid0(VALU_DEP_3) | instskip(SKIP_1) | instid1(VALU_DEP_2)
	v_add_nc_u32_e32 v1, v1, v9
	s_wait_loadcnt 0x0
	v_add_co_u32 v0, vcc_lo, v5, v0
	s_delay_alu instid0(VALU_DEP_2) | instskip(SKIP_1) | instid1(VALU_DEP_1)
	v_add_nc_u32_e32 v1, v1, v10
	s_wait_alu 0xfffd
	v_add_co_ci_u32_e64 v1, null, v6, v1, vcc_lo
	global_load_b64 v[5:6], v[0:1], off scope:SCOPE_SYS
	s_wait_loadcnt 0x0
	global_atomic_cmpswap_b64 v[0:1], v4, v[5:8], s[2:3] offset:24 th:TH_ATOMIC_RETURN scope:SCOPE_SYS
	s_wait_loadcnt 0x0
	global_inv scope:SCOPE_SYS
	v_cmpx_ne_u64_e64 v[0:1], v[7:8]
	s_cbranch_execz .LBB7_249
; %bb.246:
	s_mov_b32 s5, 0
.LBB7_247:                              ; =>This Inner Loop Header: Depth=1
	s_sleep 1
	s_clause 0x1
	global_load_b64 v[5:6], v4, s[2:3] offset:40
	global_load_b64 v[9:10], v4, s[2:3]
	v_dual_mov_b32 v8, v1 :: v_dual_mov_b32 v7, v0
	s_wait_loadcnt 0x1
	s_delay_alu instid0(VALU_DEP_1) | instskip(NEXT) | instid1(VALU_DEP_2)
	v_and_b32_e32 v0, v5, v7
	v_and_b32_e32 v5, v6, v8
	s_wait_loadcnt 0x0
	s_delay_alu instid0(VALU_DEP_2) | instskip(NEXT) | instid1(VALU_DEP_1)
	v_mad_co_u64_u32 v[0:1], null, v0, 24, v[9:10]
	v_mad_co_u64_u32 v[5:6], null, v5, 24, v[1:2]
	s_delay_alu instid0(VALU_DEP_1)
	v_mov_b32_e32 v1, v5
	global_load_b64 v[5:6], v[0:1], off scope:SCOPE_SYS
	s_wait_loadcnt 0x0
	global_atomic_cmpswap_b64 v[0:1], v4, v[5:8], s[2:3] offset:24 th:TH_ATOMIC_RETURN scope:SCOPE_SYS
	s_wait_loadcnt 0x0
	global_inv scope:SCOPE_SYS
	v_cmp_eq_u64_e32 vcc_lo, v[0:1], v[7:8]
	s_wait_alu 0xfffe
	s_or_b32 s5, vcc_lo, s5
	s_wait_alu 0xfffe
	s_and_not1_b32 exec_lo, exec_lo, s5
	s_cbranch_execnz .LBB7_247
; %bb.248:
	s_or_b32 exec_lo, exec_lo, s5
.LBB7_249:
	s_wait_alu 0xfffe
	s_or_b32 exec_lo, exec_lo, s4
.LBB7_250:
	s_wait_alu 0xfffe
	s_or_b32 exec_lo, exec_lo, s1
	v_readfirstlane_b32 s4, v0
	v_mov_b32_e32 v5, 0
	v_readfirstlane_b32 s5, v1
	s_mov_b32 s1, exec_lo
	s_clause 0x1
	global_load_b64 v[10:11], v5, s[2:3] offset:40
	global_load_b128 v[6:9], v5, s[2:3]
	s_wait_loadcnt 0x1
	s_wait_alu 0xf1ff
	v_and_b32_e32 v1, s5, v11
	v_and_b32_e32 v0, s4, v10
	s_delay_alu instid0(VALU_DEP_2) | instskip(NEXT) | instid1(VALU_DEP_2)
	v_mul_lo_u32 v4, 24, v1
	v_mul_lo_u32 v10, 0, v0
	v_mul_hi_u32 v11, 24, v0
	v_mul_lo_u32 v12, 24, v0
	s_delay_alu instid0(VALU_DEP_3) | instskip(SKIP_1) | instid1(VALU_DEP_2)
	v_add_nc_u32_e32 v4, v4, v10
	s_wait_loadcnt 0x0
	v_add_co_u32 v10, vcc_lo, v6, v12
	s_delay_alu instid0(VALU_DEP_2) | instskip(SKIP_1) | instid1(VALU_DEP_1)
	v_add_nc_u32_e32 v4, v4, v11
	s_wait_alu 0xfffd
	v_add_co_ci_u32_e64 v11, null, v7, v4, vcc_lo
	s_and_saveexec_b32 s6, s0
	s_cbranch_execz .LBB7_252
; %bb.251:
	s_wait_alu 0xfffe
	v_dual_mov_b32 v4, s1 :: v_dual_mov_b32 v15, 1
	v_dual_mov_b32 v14, 2 :: v_dual_mov_b32 v13, v5
	s_delay_alu instid0(VALU_DEP_2)
	v_mov_b32_e32 v12, v4
	global_store_b128 v[10:11], v[12:15], off offset:8
.LBB7_252:
	s_wait_alu 0xfffe
	s_or_b32 exec_lo, exec_lo, s6
	v_lshlrev_b64_e32 v[0:1], 12, v[0:1]
	s_mov_b32 s12, 0
	v_and_or_b32 v2, 0xffffff1f, v2, 32
	s_wait_alu 0xfffe
	s_mov_b32 s13, s12
	s_mov_b32 s14, s12
	s_mov_b32 s15, s12
	v_add_co_u32 v0, vcc_lo, v8, v0
	s_wait_alu 0xfffd
	v_add_co_ci_u32_e64 v1, null, v9, v1, vcc_lo
	v_mov_b32_e32 v4, 0x41
	s_delay_alu instid0(VALU_DEP_3) | instskip(SKIP_1) | instid1(VALU_DEP_4)
	v_add_co_u32 v8, vcc_lo, v0, v30
	v_readfirstlane_b32 s6, v0
	v_readfirstlane_b32 s7, v1
	s_wait_alu 0xfffe
	v_dual_mov_b32 v12, s12 :: v_dual_mov_b32 v15, s15
	s_wait_alu 0xfffd
	v_add_co_ci_u32_e64 v9, null, 0, v1, vcc_lo
	v_dual_mov_b32 v13, s13 :: v_dual_mov_b32 v14, s14
	s_clause 0x3
	global_store_b128 v30, v[2:5], s[6:7]
	global_store_b128 v30, v[12:15], s[6:7] offset:16
	global_store_b128 v30, v[12:15], s[6:7] offset:32
	;; [unrolled: 1-line block ×3, first 2 shown]
	s_and_saveexec_b32 s1, s0
	s_cbranch_execz .LBB7_260
; %bb.253:
	v_mov_b32_e32 v12, 0
	s_mov_b32 s6, exec_lo
	s_clause 0x1
	global_load_b64 v[15:16], v12, s[2:3] offset:32 scope:SCOPE_SYS
	global_load_b64 v[0:1], v12, s[2:3] offset:40
	v_dual_mov_b32 v13, s4 :: v_dual_mov_b32 v14, s5
	s_wait_loadcnt 0x0
	v_and_b32_e32 v1, s5, v1
	v_and_b32_e32 v0, s4, v0
	s_delay_alu instid0(VALU_DEP_2) | instskip(NEXT) | instid1(VALU_DEP_2)
	v_mul_lo_u32 v1, 24, v1
	v_mul_lo_u32 v2, 0, v0
	v_mul_hi_u32 v3, 24, v0
	v_mul_lo_u32 v0, 24, v0
	s_delay_alu instid0(VALU_DEP_3) | instskip(NEXT) | instid1(VALU_DEP_2)
	v_add_nc_u32_e32 v1, v1, v2
	v_add_co_u32 v4, vcc_lo, v6, v0
	s_delay_alu instid0(VALU_DEP_2) | instskip(SKIP_1) | instid1(VALU_DEP_1)
	v_add_nc_u32_e32 v1, v1, v3
	s_wait_alu 0xfffd
	v_add_co_ci_u32_e64 v5, null, v7, v1, vcc_lo
	global_store_b64 v[4:5], v[15:16], off
	global_wb scope:SCOPE_SYS
	s_wait_storecnt 0x0
	global_atomic_cmpswap_b64 v[2:3], v12, v[13:16], s[2:3] offset:32 th:TH_ATOMIC_RETURN scope:SCOPE_SYS
	s_wait_loadcnt 0x0
	v_cmpx_ne_u64_e64 v[2:3], v[15:16]
	s_cbranch_execz .LBB7_256
; %bb.254:
	s_mov_b32 s7, 0
.LBB7_255:                              ; =>This Inner Loop Header: Depth=1
	v_dual_mov_b32 v0, s4 :: v_dual_mov_b32 v1, s5
	s_sleep 1
	global_store_b64 v[4:5], v[2:3], off
	global_wb scope:SCOPE_SYS
	s_wait_storecnt 0x0
	global_atomic_cmpswap_b64 v[0:1], v12, v[0:3], s[2:3] offset:32 th:TH_ATOMIC_RETURN scope:SCOPE_SYS
	s_wait_loadcnt 0x0
	v_cmp_eq_u64_e32 vcc_lo, v[0:1], v[2:3]
	v_dual_mov_b32 v3, v1 :: v_dual_mov_b32 v2, v0
	s_wait_alu 0xfffe
	s_or_b32 s7, vcc_lo, s7
	s_wait_alu 0xfffe
	s_and_not1_b32 exec_lo, exec_lo, s7
	s_cbranch_execnz .LBB7_255
.LBB7_256:
	s_wait_alu 0xfffe
	s_or_b32 exec_lo, exec_lo, s6
	v_mov_b32_e32 v3, 0
	s_mov_b32 s7, exec_lo
	s_mov_b32 s6, exec_lo
	s_wait_alu 0xfffe
	v_mbcnt_lo_u32_b32 v2, s7, 0
	global_load_b64 v[0:1], v3, s[2:3] offset:16
	v_cmpx_eq_u32_e32 0, v2
	s_cbranch_execz .LBB7_258
; %bb.257:
	s_bcnt1_i32_b32 s7, s7
	s_wait_alu 0xfffe
	v_mov_b32_e32 v2, s7
	global_wb scope:SCOPE_SYS
	s_wait_loadcnt 0x0
	s_wait_storecnt 0x0
	global_atomic_add_u64 v[0:1], v[2:3], off offset:8 scope:SCOPE_SYS
.LBB7_258:
	s_or_b32 exec_lo, exec_lo, s6
	s_wait_loadcnt 0x0
	global_load_b64 v[2:3], v[0:1], off offset:16
	s_wait_loadcnt 0x0
	v_cmp_eq_u64_e32 vcc_lo, 0, v[2:3]
	s_cbranch_vccnz .LBB7_260
; %bb.259:
	global_load_b32 v0, v[0:1], off offset:24
	v_mov_b32_e32 v1, 0
	s_wait_loadcnt 0x0
	v_readfirstlane_b32 s6, v0
	global_wb scope:SCOPE_SYS
	s_wait_storecnt 0x0
	global_store_b64 v[2:3], v[0:1], off scope:SCOPE_SYS
	s_and_b32 m0, s6, 0xffffff
	s_sendmsg sendmsg(MSG_INTERRUPT)
.LBB7_260:
	s_wait_alu 0xfffe
	s_or_b32 exec_lo, exec_lo, s1
	s_branch .LBB7_264
.LBB7_261:                              ;   in Loop: Header=BB7_264 Depth=1
	s_wait_alu 0xfffe
	s_or_b32 exec_lo, exec_lo, s1
	s_delay_alu instid0(VALU_DEP_1)
	v_readfirstlane_b32 s1, v0
	s_cmp_eq_u32 s1, 0
	s_cbranch_scc1 .LBB7_263
; %bb.262:                              ;   in Loop: Header=BB7_264 Depth=1
	s_sleep 1
	s_cbranch_execnz .LBB7_264
	s_branch .LBB7_266
.LBB7_263:
	s_branch .LBB7_266
.LBB7_264:                              ; =>This Inner Loop Header: Depth=1
	v_mov_b32_e32 v0, 1
	s_and_saveexec_b32 s1, s0
	s_cbranch_execz .LBB7_261
; %bb.265:                              ;   in Loop: Header=BB7_264 Depth=1
	global_load_b32 v0, v[10:11], off offset:20 scope:SCOPE_SYS
	s_wait_loadcnt 0x0
	global_inv scope:SCOPE_SYS
	v_and_b32_e32 v0, 1, v0
	s_branch .LBB7_261
.LBB7_266:
	global_load_b64 v[0:1], v[8:9], off
	s_and_saveexec_b32 s6, s0
	s_cbranch_execz .LBB7_270
; %bb.267:
	v_mov_b32_e32 v8, 0
	s_clause 0x2
	global_load_b64 v[2:3], v8, s[2:3] offset:40
	global_load_b64 v[11:12], v8, s[2:3] offset:24 scope:SCOPE_SYS
	global_load_b64 v[4:5], v8, s[2:3]
	s_wait_loadcnt 0x2
	v_readfirstlane_b32 s10, v2
	v_readfirstlane_b32 s11, v3
	s_add_nc_u64 s[0:1], s[10:11], 1
	s_wait_alu 0xfffe
	s_add_nc_u64 s[4:5], s[0:1], s[4:5]
	s_wait_alu 0xfffe
	s_cmp_eq_u64 s[4:5], 0
	s_cselect_b32 s1, s1, s5
	s_cselect_b32 s0, s0, s4
	s_wait_alu 0xfffe
	v_mov_b32_e32 v10, s1
	s_and_b64 s[4:5], s[0:1], s[10:11]
	v_mov_b32_e32 v9, s0
	s_wait_alu 0xfffe
	s_mul_u64 s[4:5], s[4:5], 24
	s_wait_loadcnt 0x0
	s_wait_alu 0xfffe
	v_add_co_u32 v6, vcc_lo, v4, s4
	s_wait_alu 0xfffd
	v_add_co_ci_u32_e64 v7, null, s5, v5, vcc_lo
	global_store_b64 v[6:7], v[11:12], off
	global_wb scope:SCOPE_SYS
	s_wait_storecnt 0x0
	global_atomic_cmpswap_b64 v[4:5], v8, v[9:12], s[2:3] offset:24 th:TH_ATOMIC_RETURN scope:SCOPE_SYS
	s_wait_loadcnt 0x0
	v_cmp_ne_u64_e32 vcc_lo, v[4:5], v[11:12]
	s_and_b32 exec_lo, exec_lo, vcc_lo
	s_cbranch_execz .LBB7_270
; %bb.268:
	s_mov_b32 s4, 0
.LBB7_269:                              ; =>This Inner Loop Header: Depth=1
	v_dual_mov_b32 v2, s0 :: v_dual_mov_b32 v3, s1
	s_sleep 1
	global_store_b64 v[6:7], v[4:5], off
	global_wb scope:SCOPE_SYS
	s_wait_storecnt 0x0
	global_atomic_cmpswap_b64 v[2:3], v8, v[2:5], s[2:3] offset:24 th:TH_ATOMIC_RETURN scope:SCOPE_SYS
	s_wait_loadcnt 0x0
	v_cmp_eq_u64_e32 vcc_lo, v[2:3], v[4:5]
	v_dual_mov_b32 v5, v3 :: v_dual_mov_b32 v4, v2
	s_wait_alu 0xfffe
	s_or_b32 s4, vcc_lo, s4
	s_wait_alu 0xfffe
	s_and_not1_b32 exec_lo, exec_lo, s4
	s_cbranch_execnz .LBB7_269
.LBB7_270:
	s_wait_alu 0xfffe
	s_or_b32 exec_lo, exec_lo, s6
	s_getpc_b64 s[0:1]
	s_wait_alu 0xfffe
	s_sext_i32_i16 s1, s1
	s_add_co_u32 s0, s0, __FUNCTION__._ZL18flash_attn_ext_vecILi64ELi1EL9ggml_type3ELS0_2ELb1EEvPKcS2_S2_S2_S2_PKiPfP15HIP_vector_typeIfLj2EEffffjfiS6_IjLj3EEiiiiiiiiiiiliiliiiiil@rel32@lo+12
	s_wait_alu 0xfffe
	s_add_co_ci_u32 s1, s1, __FUNCTION__._ZL18flash_attn_ext_vecILi64ELi1EL9ggml_type3ELS0_2ELb1EEvPKcS2_S2_S2_S2_PKiPfP15HIP_vector_typeIfLj2EEffffjfiS6_IjLj3EEiiiiiiiiiiiliiliiiiil@rel32@hi+24
	s_wait_alu 0xfffe
	v_dual_mov_b32 v2, s0 :: v_dual_mov_b32 v3, s1
	s_cmp_lg_u64 s[0:1], 0
	s_mov_b64 s[14:15], s[8:9]
	s_cselect_b32 s4, 19, 0
	s_wait_alu 0xfffe
	v_dual_mov_b32 v5, 0 :: v_dual_mov_b32 v4, s4
	s_getpc_b64 s[2:3]
	s_wait_alu 0xfffe
	s_sext_i32_i16 s3, s3
	s_add_co_u32 s2, s2, __ockl_printf_append_string_n@rel32@lo+12
	s_wait_alu 0xfffe
	s_add_co_ci_u32 s3, s3, __ockl_printf_append_string_n@rel32@hi+24
	s_wait_alu 0xfffe
	s_swappc_b64 s[30:31], s[2:3]
	v_dual_mov_b32 v2, 0x514 :: v_dual_mov_b32 v3, 0
	v_mov_b32_e32 v4, 1
	s_getpc_b64 s[0:1]
	s_wait_alu 0xfffe
	s_sext_i32_i16 s1, s1
	s_add_co_u32 s0, s0, __ockl_printf_append_args@rel32@lo+12
	s_wait_alu 0xfffe
	s_add_co_ci_u32 s1, s1, __ockl_printf_append_args@rel32@hi+24
	s_mov_b64 s[8:9], s[14:15]
	s_wait_alu 0xfffe
	s_swappc_b64 s[30:31], s[0:1]
	s_trap 2
.Lfunc_end7:
	.size	_ZL14no_device_codePKciS0_iS0_, .Lfunc_end7-_ZL14no_device_codePKciS0_iS0_
                                        ; -- End function
	.set .L_ZL14no_device_codePKciS0_iS0_.num_vgpr, max(40, .L__ockl_printf_append_string_n.num_vgpr, .L__ockl_printf_append_args.num_vgpr)
	.set .L_ZL14no_device_codePKciS0_iS0_.num_agpr, max(0, .L__ockl_printf_append_string_n.num_agpr, .L__ockl_printf_append_args.num_agpr)
	.set .L_ZL14no_device_codePKciS0_iS0_.numbered_sgpr, max(34, .L__ockl_printf_append_string_n.numbered_sgpr, .L__ockl_printf_append_args.numbered_sgpr)
	.set .L_ZL14no_device_codePKciS0_iS0_.num_named_barrier, max(0, .L__ockl_printf_append_string_n.num_named_barrier, .L__ockl_printf_append_args.num_named_barrier)
	.set .L_ZL14no_device_codePKciS0_iS0_.private_seg_size, 16+max(.L__ockl_printf_append_string_n.private_seg_size, .L__ockl_printf_append_args.private_seg_size)
	.set .L_ZL14no_device_codePKciS0_iS0_.uses_vcc, or(1, .L__ockl_printf_append_string_n.uses_vcc, .L__ockl_printf_append_args.uses_vcc)
	.set .L_ZL14no_device_codePKciS0_iS0_.uses_flat_scratch, or(0, .L__ockl_printf_append_string_n.uses_flat_scratch, .L__ockl_printf_append_args.uses_flat_scratch)
	.set .L_ZL14no_device_codePKciS0_iS0_.has_dyn_sized_stack, or(0, .L__ockl_printf_append_string_n.has_dyn_sized_stack, .L__ockl_printf_append_args.has_dyn_sized_stack)
	.set .L_ZL14no_device_codePKciS0_iS0_.has_recursion, or(0, .L__ockl_printf_append_string_n.has_recursion, .L__ockl_printf_append_args.has_recursion)
	.set .L_ZL14no_device_codePKciS0_iS0_.has_indirect_call, or(0, .L__ockl_printf_append_string_n.has_indirect_call, .L__ockl_printf_append_args.has_indirect_call)
	.section	.AMDGPU.csdata,"",@progbits
; Function info:
; codeLenInByte = 12692
; TotalNumSgprs: 36
; NumVgprs: 40
; ScratchSize: 16
; MemoryBound: 0
	.section	.text._ZL18flash_attn_ext_vecILi64ELi1EL9ggml_type3ELS0_2ELb1EEvPKcS2_S2_S2_S2_PKiPfP15HIP_vector_typeIfLj2EEffffjfiS6_IjLj3EEiiiiiiiiiiiliiliiiiil,"axG",@progbits,_ZL18flash_attn_ext_vecILi64ELi1EL9ggml_type3ELS0_2ELb1EEvPKcS2_S2_S2_S2_PKiPfP15HIP_vector_typeIfLj2EEffffjfiS6_IjLj3EEiiiiiiiiiiiliiliiiiil,comdat
	.globl	_ZL18flash_attn_ext_vecILi64ELi1EL9ggml_type3ELS0_2ELb1EEvPKcS2_S2_S2_S2_PKiPfP15HIP_vector_typeIfLj2EEffffjfiS6_IjLj3EEiiiiiiiiiiiliiliiiiil ; -- Begin function _ZL18flash_attn_ext_vecILi64ELi1EL9ggml_type3ELS0_2ELb1EEvPKcS2_S2_S2_S2_PKiPfP15HIP_vector_typeIfLj2EEffffjfiS6_IjLj3EEiiiiiiiiiiiliiliiiiil
	.p2align	8
	.type	_ZL18flash_attn_ext_vecILi64ELi1EL9ggml_type3ELS0_2ELb1EEvPKcS2_S2_S2_S2_PKiPfP15HIP_vector_typeIfLj2EEffffjfiS6_IjLj3EEiiiiiiiiiiiliiliiiiil,@function
_ZL18flash_attn_ext_vecILi64ELi1EL9ggml_type3ELS0_2ELb1EEvPKcS2_S2_S2_S2_PKiPfP15HIP_vector_typeIfLj2EEffffjfiS6_IjLj3EEiiiiiiiiiiiliiliiiiil: ; @_ZL18flash_attn_ext_vecILi64ELi1EL9ggml_type3ELS0_2ELb1EEvPKcS2_S2_S2_S2_PKiPfP15HIP_vector_typeIfLj2EEffffjfiS6_IjLj3EEiiiiiiiiiiiliiliiiiil
; %bb.0:
	s_getpc_b64 s[2:3]
	s_sext_i32_i16 s3, s3
	s_add_co_u32 s2, s2, _ZL14no_device_codePKciS0_iS0_@rel32@lo+8
	s_add_co_ci_u32 s3, s3, _ZL14no_device_codePKciS0_iS0_@rel32@hi+16
	s_add_nc_u64 s[8:9], s[0:1], 0xd0
	s_mov_b32 s32, 0
	s_swappc_b64 s[30:31], s[2:3]
	.section	.rodata,"a",@progbits
	.p2align	6, 0x0
	.amdhsa_kernel _ZL18flash_attn_ext_vecILi64ELi1EL9ggml_type3ELS0_2ELb1EEvPKcS2_S2_S2_S2_PKiPfP15HIP_vector_typeIfLj2EEffffjfiS6_IjLj3EEiiiiiiiiiiiliiliiiiil
		.amdhsa_group_segment_fixed_size 0
		.amdhsa_private_segment_fixed_size 16
		.amdhsa_kernarg_size 464
		.amdhsa_user_sgpr_count 2
		.amdhsa_user_sgpr_dispatch_ptr 0
		.amdhsa_user_sgpr_queue_ptr 0
		.amdhsa_user_sgpr_kernarg_segment_ptr 1
		.amdhsa_user_sgpr_dispatch_id 0
		.amdhsa_user_sgpr_private_segment_size 0
		.amdhsa_wavefront_size32 1
		.amdhsa_uses_dynamic_stack 0
		.amdhsa_enable_private_segment 1
		.amdhsa_system_sgpr_workgroup_id_x 1
		.amdhsa_system_sgpr_workgroup_id_y 0
		.amdhsa_system_sgpr_workgroup_id_z 0
		.amdhsa_system_sgpr_workgroup_info 0
		.amdhsa_system_vgpr_workitem_id 0
		.amdhsa_next_free_vgpr 40
		.amdhsa_next_free_sgpr 34
		.amdhsa_reserve_vcc 1
		.amdhsa_float_round_mode_32 0
		.amdhsa_float_round_mode_16_64 0
		.amdhsa_float_denorm_mode_32 3
		.amdhsa_float_denorm_mode_16_64 3
		.amdhsa_fp16_overflow 0
		.amdhsa_workgroup_processor_mode 1
		.amdhsa_memory_ordered 1
		.amdhsa_forward_progress 1
		.amdhsa_inst_pref_size 1
		.amdhsa_round_robin_scheduling 0
		.amdhsa_exception_fp_ieee_invalid_op 0
		.amdhsa_exception_fp_denorm_src 0
		.amdhsa_exception_fp_ieee_div_zero 0
		.amdhsa_exception_fp_ieee_overflow 0
		.amdhsa_exception_fp_ieee_underflow 0
		.amdhsa_exception_fp_ieee_inexact 0
		.amdhsa_exception_int_div_zero 0
	.end_amdhsa_kernel
	.section	.text._ZL18flash_attn_ext_vecILi64ELi1EL9ggml_type3ELS0_2ELb1EEvPKcS2_S2_S2_S2_PKiPfP15HIP_vector_typeIfLj2EEffffjfiS6_IjLj3EEiiiiiiiiiiiliiliiiiil,"axG",@progbits,_ZL18flash_attn_ext_vecILi64ELi1EL9ggml_type3ELS0_2ELb1EEvPKcS2_S2_S2_S2_PKiPfP15HIP_vector_typeIfLj2EEffffjfiS6_IjLj3EEiiiiiiiiiiiliiliiiiil,comdat
.Lfunc_end8:
	.size	_ZL18flash_attn_ext_vecILi64ELi1EL9ggml_type3ELS0_2ELb1EEvPKcS2_S2_S2_S2_PKiPfP15HIP_vector_typeIfLj2EEffffjfiS6_IjLj3EEiiiiiiiiiiiliiliiiiil, .Lfunc_end8-_ZL18flash_attn_ext_vecILi64ELi1EL9ggml_type3ELS0_2ELb1EEvPKcS2_S2_S2_S2_PKiPfP15HIP_vector_typeIfLj2EEffffjfiS6_IjLj3EEiiiiiiiiiiiliiliiiiil
                                        ; -- End function
	.set _ZL18flash_attn_ext_vecILi64ELi1EL9ggml_type3ELS0_2ELb1EEvPKcS2_S2_S2_S2_PKiPfP15HIP_vector_typeIfLj2EEffffjfiS6_IjLj3EEiiiiiiiiiiiliiliiiiil.num_vgpr, max(0, .L_ZL14no_device_codePKciS0_iS0_.num_vgpr)
	.set _ZL18flash_attn_ext_vecILi64ELi1EL9ggml_type3ELS0_2ELb1EEvPKcS2_S2_S2_S2_PKiPfP15HIP_vector_typeIfLj2EEffffjfiS6_IjLj3EEiiiiiiiiiiiliiliiiiil.num_agpr, max(0, .L_ZL14no_device_codePKciS0_iS0_.num_agpr)
	.set _ZL18flash_attn_ext_vecILi64ELi1EL9ggml_type3ELS0_2ELb1EEvPKcS2_S2_S2_S2_PKiPfP15HIP_vector_typeIfLj2EEffffjfiS6_IjLj3EEiiiiiiiiiiiliiliiiiil.numbered_sgpr, max(33, .L_ZL14no_device_codePKciS0_iS0_.numbered_sgpr)
	.set _ZL18flash_attn_ext_vecILi64ELi1EL9ggml_type3ELS0_2ELb1EEvPKcS2_S2_S2_S2_PKiPfP15HIP_vector_typeIfLj2EEffffjfiS6_IjLj3EEiiiiiiiiiiiliiliiiiil.num_named_barrier, max(0, .L_ZL14no_device_codePKciS0_iS0_.num_named_barrier)
	.set _ZL18flash_attn_ext_vecILi64ELi1EL9ggml_type3ELS0_2ELb1EEvPKcS2_S2_S2_S2_PKiPfP15HIP_vector_typeIfLj2EEffffjfiS6_IjLj3EEiiiiiiiiiiiliiliiiiil.private_seg_size, 0+max(.L_ZL14no_device_codePKciS0_iS0_.private_seg_size)
	.set _ZL18flash_attn_ext_vecILi64ELi1EL9ggml_type3ELS0_2ELb1EEvPKcS2_S2_S2_S2_PKiPfP15HIP_vector_typeIfLj2EEffffjfiS6_IjLj3EEiiiiiiiiiiiliiliiiiil.uses_vcc, or(1, .L_ZL14no_device_codePKciS0_iS0_.uses_vcc)
	.set _ZL18flash_attn_ext_vecILi64ELi1EL9ggml_type3ELS0_2ELb1EEvPKcS2_S2_S2_S2_PKiPfP15HIP_vector_typeIfLj2EEffffjfiS6_IjLj3EEiiiiiiiiiiiliiliiiiil.uses_flat_scratch, or(0, .L_ZL14no_device_codePKciS0_iS0_.uses_flat_scratch)
	.set _ZL18flash_attn_ext_vecILi64ELi1EL9ggml_type3ELS0_2ELb1EEvPKcS2_S2_S2_S2_PKiPfP15HIP_vector_typeIfLj2EEffffjfiS6_IjLj3EEiiiiiiiiiiiliiliiiiil.has_dyn_sized_stack, or(0, .L_ZL14no_device_codePKciS0_iS0_.has_dyn_sized_stack)
	.set _ZL18flash_attn_ext_vecILi64ELi1EL9ggml_type3ELS0_2ELb1EEvPKcS2_S2_S2_S2_PKiPfP15HIP_vector_typeIfLj2EEffffjfiS6_IjLj3EEiiiiiiiiiiiliiliiiiil.has_recursion, or(0, .L_ZL14no_device_codePKciS0_iS0_.has_recursion)
	.set _ZL18flash_attn_ext_vecILi64ELi1EL9ggml_type3ELS0_2ELb1EEvPKcS2_S2_S2_S2_PKiPfP15HIP_vector_typeIfLj2EEffffjfiS6_IjLj3EEiiiiiiiiiiiliiliiiiil.has_indirect_call, or(0, .L_ZL14no_device_codePKciS0_iS0_.has_indirect_call)
	.section	.AMDGPU.csdata,"",@progbits
; Kernel info:
; codeLenInByte = 40
; TotalNumSgprs: 36
; NumVgprs: 40
; ScratchSize: 16
; MemoryBound: 0
; FloatMode: 240
; IeeeMode: 1
; LDSByteSize: 0 bytes/workgroup (compile time only)
; SGPRBlocks: 0
; VGPRBlocks: 4
; NumSGPRsForWavesPerEU: 36
; NumVGPRsForWavesPerEU: 40
; Occupancy: 16
; WaveLimiterHint : 1
; COMPUTE_PGM_RSRC2:SCRATCH_EN: 1
; COMPUTE_PGM_RSRC2:USER_SGPR: 2
; COMPUTE_PGM_RSRC2:TRAP_HANDLER: 0
; COMPUTE_PGM_RSRC2:TGID_X_EN: 1
; COMPUTE_PGM_RSRC2:TGID_Y_EN: 0
; COMPUTE_PGM_RSRC2:TGID_Z_EN: 0
; COMPUTE_PGM_RSRC2:TIDIG_COMP_CNT: 0
	.section	.text._ZL18flash_attn_ext_vecILi64ELi2EL9ggml_type3ELS0_2ELb0EEvPKcS2_S2_S2_S2_PKiPfP15HIP_vector_typeIfLj2EEffffjfiS6_IjLj3EEiiiiiiiiiiiliiliiiiil,"axG",@progbits,_ZL18flash_attn_ext_vecILi64ELi2EL9ggml_type3ELS0_2ELb0EEvPKcS2_S2_S2_S2_PKiPfP15HIP_vector_typeIfLj2EEffffjfiS6_IjLj3EEiiiiiiiiiiiliiliiiiil,comdat
	.globl	_ZL18flash_attn_ext_vecILi64ELi2EL9ggml_type3ELS0_2ELb0EEvPKcS2_S2_S2_S2_PKiPfP15HIP_vector_typeIfLj2EEffffjfiS6_IjLj3EEiiiiiiiiiiiliiliiiiil ; -- Begin function _ZL18flash_attn_ext_vecILi64ELi2EL9ggml_type3ELS0_2ELb0EEvPKcS2_S2_S2_S2_PKiPfP15HIP_vector_typeIfLj2EEffffjfiS6_IjLj3EEiiiiiiiiiiiliiliiiiil
	.p2align	8
	.type	_ZL18flash_attn_ext_vecILi64ELi2EL9ggml_type3ELS0_2ELb0EEvPKcS2_S2_S2_S2_PKiPfP15HIP_vector_typeIfLj2EEffffjfiS6_IjLj3EEiiiiiiiiiiiliiliiiiil,@function
_ZL18flash_attn_ext_vecILi64ELi2EL9ggml_type3ELS0_2ELb0EEvPKcS2_S2_S2_S2_PKiPfP15HIP_vector_typeIfLj2EEffffjfiS6_IjLj3EEiiiiiiiiiiiliiliiiiil: ; @_ZL18flash_attn_ext_vecILi64ELi2EL9ggml_type3ELS0_2ELb0EEvPKcS2_S2_S2_S2_PKiPfP15HIP_vector_typeIfLj2EEffffjfiS6_IjLj3EEiiiiiiiiiiiliiliiiiil
; %bb.0:
	s_clause 0x2
	s_load_b64 s[24:25], s[2:3], 0x64
	s_load_b64 s[30:31], s[2:3], 0x80
	;; [unrolled: 1-line block ×3, first 2 shown]
	s_lshr_b32 s6, ttmp7, 16
	s_load_b128 s[20:23], s[2:3], 0x40
	v_mov_b32_e32 v37, 1.0
	s_mov_b32 s37, 0
	s_wait_kmcnt 0x0
	s_cvt_f32_u32 s4, s25
	s_sub_co_i32 s5, 0, s25
	s_delay_alu instid0(SALU_CYCLE_2) | instskip(NEXT) | instid1(TRANS32_DEP_1)
	v_rcp_iflag_f32_e32 v1, s4
	v_readfirstlane_b32 s4, v1
	s_mul_f32 s4, s4, 0x4f7ffffe
	s_wait_alu 0xfffe
	s_delay_alu instid0(SALU_CYCLE_2) | instskip(SKIP_1) | instid1(SALU_CYCLE_2)
	s_cvt_u32_f32 s4, s4
	s_wait_alu 0xfffe
	s_mul_i32 s5, s5, s4
	s_wait_alu 0xfffe
	s_mul_hi_u32 s5, s4, s5
	s_wait_alu 0xfffe
	s_add_co_i32 s4, s4, s5
	s_wait_alu 0xfffe
	s_mul_hi_u32 s4, s6, s4
	s_wait_alu 0xfffe
	s_mul_i32 s5, s4, s25
	s_add_co_i32 s7, s4, 1
	s_wait_alu 0xfffe
	s_sub_co_i32 s5, s6, s5
	s_wait_alu 0xfffe
	s_sub_co_i32 s8, s5, s25
	s_cmp_ge_u32 s5, s25
	s_cselect_b32 s4, s7, s4
	s_cselect_b32 s5, s8, s5
	s_wait_alu 0xfffe
	s_add_co_i32 s7, s4, 1
	s_cmp_ge_u32 s5, s25
	s_cselect_b32 s26, s7, s4
	s_abs_i32 s4, s31
	s_abs_i32 s9, s25
	s_wait_alu 0xfffe
	s_cvt_f32_u32 s5, s4
	s_sub_co_i32 s7, 0, s4
	s_xor_b32 s8, s25, s31
	s_wait_alu 0xfffe
	v_rcp_iflag_f32_e32 v1, s5
	s_ashr_i32 s8, s8, 31
	s_delay_alu instid0(TRANS32_DEP_1) | instskip(SKIP_2) | instid1(SALU_CYCLE_2)
	v_readfirstlane_b32 s5, v1
	s_mul_f32 s5, s5, 0x4f7ffffe
	s_wait_alu 0xfffe
	s_cvt_u32_f32 s5, s5
	s_wait_alu 0xfffe
	s_delay_alu instid0(SALU_CYCLE_2) | instskip(NEXT) | instid1(SALU_CYCLE_1)
	s_mul_i32 s7, s7, s5
	s_mul_hi_u32 s7, s5, s7
	s_delay_alu instid0(SALU_CYCLE_1)
	s_add_co_i32 s5, s5, s7
	s_mul_i32 s7, s26, s25
	s_wait_alu 0xfffe
	s_mul_hi_u32 s5, s9, s5
	s_sub_co_i32 s28, s6, s7
	s_wait_alu 0xfffe
	s_mul_i32 s10, s5, s4
	s_add_co_i32 s7, s5, 1
	s_sub_co_i32 s6, s9, s10
	s_delay_alu instid0(SALU_CYCLE_1)
	s_sub_co_i32 s9, s6, s4
	s_cmp_ge_u32 s6, s4
	s_cselect_b32 s5, s7, s5
	s_cselect_b32 s6, s9, s6
	s_wait_alu 0xfffe
	s_add_co_i32 s7, s5, 1
	s_cmp_ge_u32 s6, s4
	s_cselect_b32 s4, s7, s5
	s_abs_i32 s31, s34
	s_wait_alu 0xfffe
	s_xor_b32 s5, s4, s8
	s_load_b32 s4, s[2:3], 0x50
	s_sub_co_i32 s27, s5, s8
	s_cvt_f32_u32 s5, s31
	s_abs_i32 s34, s27
	s_cmp_le_f32 s21, 0
	s_cvt_f32_u32 s6, s34
	s_wait_alu 0xfffe
	v_rcp_iflag_f32_e32 v1, s5
	s_delay_alu instid0(SALU_CYCLE_1) | instskip(NEXT) | instid1(TRANS32_DEP_2)
	v_rcp_iflag_f32_e32 v2, s6
	v_readfirstlane_b32 s21, v1
	s_delay_alu instid0(TRANS32_DEP_1)
	v_readfirstlane_b32 s36, v2
	s_cbranch_scc1 .LBB9_2
; %bb.1:
	s_wait_kmcnt 0x0
	v_sub_co_u32 v1, s4, s28, s4
	s_and_b32 s6, s4, exec_lo
	s_cselect_b32 s6, s22, s23
	s_add_co_i32 s7, s28, 1
	v_readfirstlane_b32 s5, v1
	s_lshl_b32 s5, s5, 1
	s_wait_alu 0xfffe
	s_or_b32 s5, s5, 1
	s_and_b32 s4, s4, exec_lo
	s_wait_alu 0xfffe
	s_cselect_b32 s4, s7, s5
	s_cmp_neq_f32 s6, 1.0
	s_wait_alu 0xfffe
	s_cvt_f32_i32 s4, s4
	s_wait_alu 0xfffe
	s_delay_alu instid0(SALU_CYCLE_2)
	s_cselect_b32 s5, s4, 1.0
	s_wait_alu 0xfffe
	s_cmp_neq_f32 s5, 0
	s_cselect_b32 s4, s6, 1.0
	s_wait_alu 0xfffe
	v_frexp_mant_f32_e64 v1, |s4|
	s_delay_alu instid0(VALU_DEP_1)
	v_readfirstlane_b32 s6, v1
	v_cvt_f64_f32_e64 v[1:2], |s4|
	s_cmp_lt_f32 s6, 0x3f2aaaab
	s_cselect_b32 s7, -1, 0
	s_wait_alu 0xfffe
	s_and_b32 s8, s7, exec_lo
	s_cselect_b32 s8, 2.0, 1.0
	s_delay_alu instid0(SALU_CYCLE_1) | instskip(SKIP_1) | instid1(SALU_CYCLE_2)
	s_mul_f32 s6, s6, s8
	s_wait_alu 0xfffe
	s_add_f32 s8, s6, 1.0
	s_add_f32 s10, s6, -1.0
	s_delay_alu instid0(SALU_CYCLE_2) | instskip(SKIP_1) | instid1(SALU_CYCLE_3)
	v_s_rcp_f32 s9, s8
	s_add_f32 s13, s8, -1.0
	s_sub_f32 s6, s6, s13
	s_delay_alu instid0(TRANS32_DEP_1) | instskip(NEXT) | instid1(SALU_CYCLE_3)
	s_mul_f32 s11, s10, s9
	s_mul_f32 s12, s8, s11
	s_delay_alu instid0(SALU_CYCLE_3) | instskip(NEXT) | instid1(VALU_DEP_1)
	s_xor_b32 s14, s12, 0x80000000
	v_frexp_exp_i32_f64_e32 v1, v[1:2]
	s_fmac_f32 s14, s11, s8
	s_wait_alu 0xfffe
	s_delay_alu instid0(SALU_CYCLE_2) | instskip(NEXT) | instid1(SALU_CYCLE_3)
	s_fmac_f32 s14, s11, s6
	s_add_f32 s6, s12, s14
	s_wait_alu 0xfffe
	s_delay_alu instid0(SALU_CYCLE_2) | instskip(SKIP_2) | instid1(SALU_CYCLE_1)
	s_sub_f32 s8, s10, s6
	s_sub_f32 s12, s6, s12
	s_wait_alu 0xfffe
	s_sub_f32 s10, s10, s8
	s_delay_alu instid0(SALU_CYCLE_1) | instskip(NEXT) | instid1(SALU_CYCLE_2)
	s_sub_f32 s12, s12, s14
	s_sub_f32 s6, s10, s6
	s_wait_alu 0xfffe
	s_delay_alu instid0(SALU_CYCLE_2) | instskip(SKIP_2) | instid1(SALU_CYCLE_1)
	s_add_f32 s6, s12, s6
	s_mov_b32 s12, 0x3e76c4e1
	s_wait_alu 0xfffe
	s_add_f32 s6, s8, s6
	s_wait_alu 0xfffe
	s_delay_alu instid0(SALU_CYCLE_2) | instskip(SKIP_1) | instid1(SALU_CYCLE_2)
	s_mul_f32 s6, s9, s6
	s_wait_alu 0xfffe
	s_add_f32 s8, s11, s6
	s_wait_alu 0xfffe
	s_delay_alu instid0(SALU_CYCLE_2) | instskip(SKIP_2) | instid1(SALU_CYCLE_1)
	s_sub_f32 s9, s8, s11
	s_mul_f32 s10, s8, s8
	s_wait_alu 0xfffe
	s_sub_f32 s6, s6, s9
	s_delay_alu instid0(SALU_CYCLE_1) | instskip(SKIP_4) | instid1(SALU_CYCLE_2)
	s_xor_b32 s9, s10, 0x80000000
	s_wait_alu 0xfffe
	s_fmac_f32 s9, s8, s8
	s_add_f32 s11, s6, s6
	s_wait_alu 0xfffe
	s_fmac_f32 s9, s8, s11
	s_wait_alu 0xfffe
	s_delay_alu instid0(SALU_CYCLE_2) | instskip(NEXT) | instid1(SALU_CYCLE_3)
	s_add_f32 s11, s10, s9
	s_fmaak_f32 s12, s11, s12, 0x3e91f4c4
	s_sub_f32 s10, s11, s10
	s_delay_alu instid0(SALU_CYCLE_2) | instskip(NEXT) | instid1(SALU_CYCLE_2)
	s_fmaak_f32 s12, s11, s12, 0x3ecccdef
	s_sub_f32 s9, s9, s10
	s_mul_f32 s10, s8, s11
	s_delay_alu instid0(SALU_CYCLE_1) | instskip(NEXT) | instid1(SALU_CYCLE_2)
	s_mul_f32 s13, s11, s12
	s_xor_b32 s15, s10, 0x80000000
	s_delay_alu instid0(SALU_CYCLE_2) | instskip(SKIP_2) | instid1(SALU_CYCLE_2)
	s_xor_b32 s14, s13, 0x80000000
	s_fmac_f32 s15, s11, s8
	s_fmac_f32 s14, s11, s12
	s_fmac_f32 s15, s11, s6
	s_wait_alu 0xfffe
	s_delay_alu instid0(SALU_CYCLE_1) | instskip(NEXT) | instid1(SALU_CYCLE_1)
	s_fmac_f32 s14, s9, s12
	s_fmac_f32 s15, s9, s8
	s_delay_alu instid0(SALU_CYCLE_2) | instskip(NEXT) | instid1(SALU_CYCLE_3)
	s_add_f32 s12, s13, s14
	s_sub_f32 s13, s12, s13
	s_add_f32 s16, s12, 0x3f2aaaaa
	s_delay_alu instid0(SALU_CYCLE_2) | instskip(NEXT) | instid1(SALU_CYCLE_2)
	s_sub_f32 s13, s14, s13
	s_add_f32 s14, s16, 0xbf2aaaaa
	s_delay_alu instid0(SALU_CYCLE_2) | instskip(NEXT) | instid1(SALU_CYCLE_2)
	s_add_f32 s11, s13, 0x31739010
	s_sub_f32 s12, s12, s14
	s_delay_alu instid0(SALU_CYCLE_3) | instskip(SKIP_2) | instid1(SALU_CYCLE_1)
	s_add_f32 s9, s11, s12
	s_add_f32 s11, s10, s15
	s_wait_alu 0xfffe
	s_add_f32 s12, s16, s9
	s_delay_alu instid0(SALU_CYCLE_1) | instskip(NEXT) | instid1(SALU_CYCLE_2)
	s_sub_f32 s10, s11, s10
	s_mul_f32 s13, s11, s12
	s_sub_f32 s14, s16, s12
	s_delay_alu instid0(SALU_CYCLE_1) | instskip(NEXT) | instid1(SALU_CYCLE_1)
	s_sub_f32 s10, s15, s10
	s_xor_b32 s16, s13, 0x80000000
	s_delay_alu instid0(SALU_CYCLE_1)
	s_add_f32 s9, s9, s14
	s_fmac_f32 s16, s11, s12
	v_readfirstlane_b32 s14, v1
	v_ldexp_f32 v1, s8, 1
	s_cmp_lg_u32 s7, 0
	s_wait_alu 0xfffe
	s_fmac_f32 s16, s11, s9
	s_sub_co_ci_u32 s7, s14, 0
	v_readfirstlane_b32 s8, v1
	s_delay_alu instid0(SALU_CYCLE_1)
	s_fmac_f32 s16, s10, s12
	s_wait_alu 0xfffe
	s_cvt_f32_i32 s7, s7
	v_ldexp_f32 v1, s6, 1
	s_add_f32 s9, s13, s16
	s_wait_alu 0xfffe
	s_mul_f32 s6, s7, 0x3f317218
	s_delay_alu instid0(VALU_DEP_1)
	v_readfirstlane_b32 s12, v1
	s_add_f32 s10, s8, s9
	s_sub_f32 s11, s9, s13
	s_wait_alu 0xfffe
	s_xor_b32 s13, s6, 0x80000000
	s_sub_f32 s8, s10, s8
	s_sub_f32 s11, s16, s11
	s_fmamk_f32 s13, s7, 0x3f317218, s13
	s_wait_alu 0xfffe
	s_sub_f32 s8, s9, s8
	s_add_f32 s9, s12, s11
	s_fmamk_f32 s7, s7, 0xb102e308, s13
	s_wait_alu 0xfffe
	s_delay_alu instid0(SALU_CYCLE_1) | instskip(NEXT) | instid1(SALU_CYCLE_1)
	s_add_f32 s8, s9, s8
	s_add_f32 s9, s6, s7
	s_wait_alu 0xfffe
	s_delay_alu instid0(SALU_CYCLE_1) | instskip(NEXT) | instid1(SALU_CYCLE_1)
	s_add_f32 s11, s10, s8
	s_sub_f32 s6, s9, s6
	s_delay_alu instid0(SALU_CYCLE_2)
	s_add_f32 s12, s9, s11
	s_sub_f32 s10, s11, s10
	s_wait_alu 0xfffe
	s_sub_f32 s6, s7, s6
	s_sub_f32 s13, s12, s9
	;; [unrolled: 1-line block ×3, first 2 shown]
	s_delay_alu instid0(SALU_CYCLE_2)
	s_sub_f32 s14, s12, s13
	s_sub_f32 s8, s11, s13
	s_wait_alu 0xfffe
	s_add_f32 s10, s6, s7
	s_sub_f32 s9, s9, s14
	s_wait_alu 0xfffe
	s_delay_alu instid0(SALU_CYCLE_2) | instskip(SKIP_2) | instid1(SALU_CYCLE_1)
	s_add_f32 s8, s8, s9
	s_sub_f32 s9, s10, s6
	s_wait_alu 0xfffe
	s_add_f32 s8, s10, s8
	s_delay_alu instid0(SALU_CYCLE_1) | instskip(SKIP_4) | instid1(SALU_CYCLE_2)
	s_sub_f32 s10, s10, s9
	s_sub_f32 s7, s7, s9
	s_wait_alu 0xfffe
	s_add_f32 s11, s12, s8
	s_sub_f32 s6, s6, s10
	s_sub_f32 s9, s11, s12
	s_wait_alu 0xfffe
	s_delay_alu instid0(SALU_CYCLE_1) | instskip(NEXT) | instid1(SALU_CYCLE_1)
	s_add_f32 s6, s7, s6
	s_sub_f32 s7, s8, s9
	s_wait_alu 0xfffe
	s_delay_alu instid0(SALU_CYCLE_2) | instskip(SKIP_1) | instid1(SALU_CYCLE_2)
	s_add_f32 s6, s6, s7
	s_wait_alu 0xfffe
	s_add_f32 s7, s11, s6
	s_wait_alu 0xfffe
	s_delay_alu instid0(SALU_CYCLE_2) | instskip(SKIP_2) | instid1(SALU_CYCLE_1)
	s_mul_f32 s8, s5, s7
	s_sub_f32 s9, s7, s11
	s_wait_alu 0xfffe
	s_xor_b32 s10, s8, 0x80000000
	s_delay_alu instid0(SALU_CYCLE_1) | instskip(SKIP_2) | instid1(SALU_CYCLE_2)
	s_sub_f32 s6, s6, s9
	s_fmac_f32 s10, s5, s7
	s_wait_alu 0xfffe
	s_fmac_f32 s10, s5, s6
	v_cmp_class_f32_e64 s6, s8, 0x204
	s_delay_alu instid0(SALU_CYCLE_2) | instskip(SKIP_2) | instid1(SALU_CYCLE_1)
	s_add_f32 s7, s8, s10
	s_and_b32 s6, s6, exec_lo
	s_wait_alu 0xfffe
	s_sub_f32 s6, s7, s8
	s_cselect_b32 s7, s8, s7
	s_wait_alu 0xfffe
	s_and_b32 s8, s7, 0x7fffffff
	s_sub_f32 s6, s10, s6
	s_wait_alu 0xfffe
	s_cmp_neq_f32 s8, 0x7f800000
	s_delay_alu instid0(SALU_CYCLE_1)
	s_cselect_b32 s6, s6, 0
	s_cmp_eq_f32 s7, 0x42b17218
	s_cselect_b32 s8, 0x37000000, 0
	s_wait_alu 0xfffe
	s_sub_f32 s7, s7, s8
	s_add_f32 s6, s8, s6
	s_wait_alu 0xfffe
	s_delay_alu instid0(SALU_CYCLE_1) | instskip(SKIP_1) | instid1(SALU_CYCLE_2)
	s_mul_f32 s9, s7, 0x3fb8aa3b
	s_wait_alu 0xfffe
	s_xor_b32 s10, s9, 0x80000000
	s_rndne_f32 s11, s9
	s_fmamk_f32 s10, s7, 0x3fb8aa3b, s10
	s_cmp_nlt_f32 s7, 0xc2ce8ed0
	s_delay_alu instid0(SALU_CYCLE_1) | instskip(NEXT) | instid1(SALU_CYCLE_1)
	s_sub_f32 s9, s9, s11
	s_fmamk_f32 s10, s7, 0x32a5705f, s10
	s_cselect_b32 vcc_lo, -1, 0
	s_cmp_ngt_f32 s7, 0x42b17218
	s_trunc_f32 s7, s5
	s_wait_alu 0xfffe
	s_add_f32 s9, s9, s10
	s_cvt_i32_f32 s10, s11
	s_wait_alu 0xfffe
	s_delay_alu instid0(SALU_CYCLE_1) | instskip(SKIP_1) | instid1(TRANS32_DEP_1)
	v_s_exp_f32 s9, s9
	s_wait_alu 0xf1ff
	v_ldexp_f32 v1, s9, s10
	s_mul_f32 s9, s5, 0.5
	s_delay_alu instid0(VALU_DEP_1)
	v_cndmask_b32_e32 v1, 0, v1, vcc_lo
	s_cselect_b32 vcc_lo, -1, 0
	s_cmp_eq_f32 s7, s5
	s_wait_alu 0xfffe
	s_trunc_f32 s10, s9
	v_cndmask_b32_e32 v1, 0x7f800000, v1, vcc_lo
	s_cselect_b32 s11, -1, 0
	s_wait_alu 0xfffe
	s_cmp_neq_f32 s10, s9
	s_delay_alu instid0(VALU_DEP_1)
	v_fma_f32 v2, s6, v1, v1
	v_cmp_class_f32_e64 vcc_lo, v1, 0x204
	s_cselect_b32 s8, -1, 0
	s_wait_alu 0xfffe
	s_and_b32 s6, s11, s8
	s_wait_alu 0xfffd
	v_cndmask_b32_e32 v1, v2, v1, vcc_lo
	s_wait_alu 0xfffe
	s_and_b32 s8, s6, exec_lo
	s_cselect_b32 s8, s4, 1.0
	s_cmp_eq_f32 s7, s5
	v_cmp_class_f32_e64 s7, s4, 0x204
	s_wait_alu 0xfffe
	v_bfi_b32 v1, 0x7fffffff, v1, s8
	s_cselect_b32 vcc_lo, -1, 0
	s_cmp_lt_f32 s4, 0
	s_wait_alu 0xfffe
	s_delay_alu instid0(VALU_DEP_1) | instskip(SKIP_3) | instid1(VALU_DEP_1)
	v_cndmask_b32_e32 v2, 0x7fc00000, v1, vcc_lo
	s_cselect_b32 vcc_lo, -1, 0
	s_cmp_eq_f32 s4, 0
	s_wait_alu 0xfffe
	v_cndmask_b32_e32 v1, v1, v2, vcc_lo
	s_cselect_b32 s8, -1, 0
	s_wait_alu 0xfffe
	s_or_b32 vcc_lo, s8, s7
	s_cmp_lt_f32 s5, 0
	s_cselect_b32 s5, -1, 0
	s_wait_alu 0xfffe
	s_xor_b32 s5, s5, s8
	s_wait_alu 0xfffe
	s_and_b32 s5, s5, exec_lo
	s_cselect_b32 s5, 0, 0x7f800000
	s_and_b32 s6, s6, exec_lo
	s_cselect_b32 s6, s4, 0
	s_cmp_o_f32 s4, s4
	s_wait_alu 0xfffe
	v_mov_b32_e32 v2, s6
	s_delay_alu instid0(VALU_DEP_1) | instskip(NEXT) | instid1(VALU_DEP_1)
	v_bfi_b32 v2, 0x7fffffff, s5, v2
	v_cndmask_b32_e32 v1, v1, v2, vcc_lo
	s_cselect_b32 vcc_lo, -1, 0
	s_wait_alu 0xfffe
	s_delay_alu instid0(VALU_DEP_1)
	v_cndmask_b32_e32 v37, 0x7fc00000, v1, vcc_lo
.LBB9_2:
	s_load_b64 s[0:1], s[0:1], 0x4
	v_bfe_u32 v31, v0, 10, 10
	v_and_b32_e32 v30, 0x3ff, v0
	s_wait_kmcnt 0x0
	s_load_b512 s[4:19], s[2:3], 0x0
	v_bfe_u32 v0, v0, 20, 10
	s_lshl_b32 s33, ttmp9, 1
	s_mov_b32 s22, exec_lo
	v_lshlrev_b32_e32 v33, 2, v30
	v_mul_u32_u24_e32 v1, s1, v31
	s_lshr_b32 s0, s0, 16
	s_wait_alu 0xfffe
	s_mul_i32 s0, s0, s1
	s_wait_alu 0xfffe
	v_mad_u32_u24 v1, s0, v30, v1
	v_cmp_lt_u32_e64 s0, 1, v31
	s_delay_alu instid0(VALU_DEP_2) | instskip(NEXT) | instid1(VALU_DEP_1)
	v_add_lshl_u32 v8, v1, v0, 4
	v_dual_mov_b32 v4, 0 :: v_dual_add_nc_u32 v1, 0x400, v8
	v_add_nc_u32_e32 v0, 0x604, v8
	ds_store_2addr_b32 v0, v4, v4 offset1:1
	ds_store_2addr_b32 v1, v4, v4 offset0:128 offset1:131
	v_cmpx_gt_u32_e32 2, v31
	s_cbranch_execz .LBB9_23
; %bb.3:
	v_lshlrev_b32_e32 v3, 7, v31
	v_or_b32_e32 v0, s33, v31
	s_mov_b32 s23, exec_lo
	v_cmp_gt_u32_e32 vcc_lo, 16, v30
	s_delay_alu instid0(VALU_DEP_3) | instskip(NEXT) | instid1(VALU_DEP_3)
	v_add_nc_u32_e32 v2, v3, v33
	v_cmpx_le_i32_e64 s24, v0
	s_xor_b32 s23, exec_lo, s23
	s_cbranch_execz .LBB9_9
; %bb.4:
	s_and_saveexec_b32 s1, vcc_lo
; %bb.5:
	v_mov_b32_e32 v0, 0
	ds_store_b32 v2, v0
; %bb.6:
	s_wait_alu 0xfffe
	s_or_b32 exec_lo, exec_lo, s1
	s_delay_alu instid0(SALU_CYCLE_1)
	s_mov_b32 s29, exec_lo
	v_cmpx_gt_u32_e32 2, v30
; %bb.7:
	v_mov_b32_e32 v0, 0
	s_delay_alu instid0(VALU_DEP_1)
	v_dual_mov_b32 v1, v0 :: v_dual_add_nc_u32 v2, v2, v33
	ds_store_b64 v2, v[0:1] offset:64
; %bb.8:
	s_wait_alu 0xfffe
	s_or_b32 exec_lo, exec_lo, s29
                                        ; implicit-def: $vgpr2
                                        ; implicit-def: $vgpr3
.LBB9_9:
	s_and_not1_saveexec_b32 s1, s23
	s_cbranch_execz .LBB9_23
; %bb.10:
	s_load_b96 s[40:42], s[2:3], 0x70
	v_dual_mov_b32 v6, 0 :: v_dual_lshlrev_b32 v1, 2, v33
	s_wait_kmcnt 0x0
	v_mul_lo_u32 v0, s40, v31
	s_mul_i32 s1, s26, s42
	s_mul_i32 s23, s40, s33
	;; [unrolled: 1-line block ×3, first 2 shown]
	s_wait_alu 0xfffe
	s_add_co_i32 s1, s1, s23
	s_wait_alu 0xfffe
	s_add_co_i32 s38, s1, s29
	s_delay_alu instid0(SALU_CYCLE_1)
	s_ashr_i32 s39, s38, 31
	v_ashrrev_i32_e32 v5, 31, v0
	s_add_nc_u64 s[4:5], s[4:5], s[38:39]
	s_wait_alu 0xfffe
	v_add_co_u32 v0, s1, s4, v0
	s_wait_alu 0xf1ff
	v_add_co_ci_u32_e64 v5, null, s5, v5, s1
	s_delay_alu instid0(VALU_DEP_2) | instskip(SKIP_1) | instid1(VALU_DEP_2)
	v_add_co_u32 v0, s1, v0, v1
	s_wait_alu 0xf1ff
	v_add_co_ci_u32_e64 v1, null, 0, v5, s1
	v_mov_b32_e32 v5, 0
	s_and_saveexec_b32 s1, vcc_lo
	s_cbranch_execz .LBB9_12
; %bb.11:
	global_load_b32 v5, v[0:1], off
	s_wait_loadcnt 0x0
	v_mul_f32_e32 v5, s20, v5
.LBB9_12:
	s_wait_alu 0xfffe
	s_or_b32 exec_lo, exec_lo, s1
	s_and_saveexec_b32 s1, vcc_lo
	s_cbranch_execz .LBB9_14
; %bb.13:
	global_load_b32 v6, v[0:1], off offset:4
	s_wait_loadcnt 0x0
	v_mul_f32_e32 v6, s20, v6
.LBB9_14:
	s_wait_alu 0xfffe
	s_or_b32 exec_lo, exec_lo, s1
	v_mov_b32_e32 v7, 0
	v_mov_b32_e32 v9, 0
	s_and_saveexec_b32 s1, vcc_lo
	s_cbranch_execz .LBB9_16
; %bb.15:
	global_load_b32 v9, v[0:1], off offset:8
	s_wait_loadcnt 0x0
	v_mul_f32_e32 v9, s20, v9
.LBB9_16:
	s_wait_alu 0xfffe
	s_or_b32 exec_lo, exec_lo, s1
	s_and_saveexec_b32 s1, vcc_lo
	s_cbranch_execz .LBB9_18
; %bb.17:
	global_load_b32 v0, v[0:1], off offset:12
	s_wait_loadcnt 0x0
	v_mul_f32_e32 v7, s20, v0
.LBB9_18:
	s_wait_alu 0xfffe
	s_or_b32 exec_lo, exec_lo, s1
	v_mbcnt_lo_u32_b32 v0, -1, 0
	v_max_num_f32_e64 v1, |v6|, |v6|
	v_max_num_f32_e64 v10, |v5|, |v5|
	s_mov_b32 s20, exec_lo
	s_delay_alu instid0(VALU_DEP_3) | instskip(SKIP_2) | instid1(VALU_DEP_3)
	v_xor_b32_e32 v11, 4, v0
	v_xor_b32_e32 v12, 2, v0
	;; [unrolled: 1-line block ×3, first 2 shown]
	v_cmp_gt_i32_e32 vcc_lo, 32, v11
	s_wait_alu 0xfffd
	v_dual_max_num_f32 v1, v10, v1 :: v_dual_cndmask_b32 v10, v0, v11
	s_delay_alu instid0(VALU_DEP_1) | instskip(SKIP_1) | instid1(VALU_DEP_3)
	v_max3_num_f32 v1, v1, |v9|, |v7|
	v_cmp_gt_i32_e32 vcc_lo, 32, v12
	v_lshlrev_b32_e32 v10, 2, v10
	ds_bpermute_b32 v11, v10, v1
	s_wait_dscnt 0x0
	s_wait_alu 0xfffd
	v_dual_max_num_f32 v11, v11, v11 :: v_dual_cndmask_b32 v12, v0, v12
	v_cmp_gt_i32_e32 vcc_lo, 32, v13
	s_delay_alu instid0(VALU_DEP_2)
	v_dual_max_num_f32 v1, v1, v11 :: v_dual_lshlrev_b32 v12, 2, v12
	ds_bpermute_b32 v11, v12, v1
	s_wait_dscnt 0x0
	s_wait_alu 0xfffd
	v_dual_max_num_f32 v11, v11, v11 :: v_dual_cndmask_b32 v0, v0, v13
	v_add_f32_e32 v13, v5, v6
	s_delay_alu instid0(VALU_DEP_2) | instskip(NEXT) | instid1(VALU_DEP_2)
	v_dual_max_num_f32 v1, v1, v11 :: v_dual_lshlrev_b32 v0, 2, v0
	v_add_f32_e32 v13, v13, v9
	ds_bpermute_b32 v11, v0, v1
	v_add_f32_e32 v13, v13, v7
	ds_bpermute_b32 v10, v10, v13
	s_wait_dscnt 0x1
	v_max_num_f32_e32 v11, v11, v11
	s_delay_alu instid0(VALU_DEP_1) | instskip(SKIP_2) | instid1(VALU_DEP_2)
	v_max_num_f32_e32 v11, v1, v11
	s_wait_dscnt 0x0
	v_add_f32_e32 v1, v13, v10
	v_div_scale_f32 v14, null, 0x42fe0000, 0x42fe0000, v11
	v_div_scale_f32 v13, vcc_lo, v11, 0x42fe0000, v11
	ds_bpermute_b32 v12, v12, v1
	v_rcp_f32_e32 v15, v14
	s_delay_alu instid0(TRANS32_DEP_1) | instskip(NEXT) | instid1(VALU_DEP_1)
	v_fma_f32 v10, -v14, v15, 1.0
	v_fmac_f32_e32 v15, v10, v15
	s_wait_dscnt 0x0
	v_add_f32_e32 v1, v1, v12
	s_delay_alu instid0(VALU_DEP_2) | instskip(NEXT) | instid1(VALU_DEP_1)
	v_mul_f32_e32 v16, v13, v15
	v_fma_f32 v10, -v14, v16, v13
	s_delay_alu instid0(VALU_DEP_1) | instskip(SKIP_3) | instid1(VALU_DEP_1)
	v_fmac_f32_e32 v16, v10, v15
	ds_bpermute_b32 v10, v0, v1
	v_fma_f32 v0, -v14, v16, v13
	s_wait_alu 0xfffd
	v_div_fmas_f32 v0, v0, v15, v16
	s_delay_alu instid0(VALU_DEP_1) | instskip(SKIP_1) | instid1(VALU_DEP_2)
	v_div_fixup_f32 v0, v0, 0x42fe0000, v11
	v_mov_b32_e32 v11, 0
	v_cmpx_neq_f32_e32 0, v0
	s_cbranch_execz .LBB9_20
; %bb.19:
	v_div_scale_f32 v11, null, v0, v0, v5
	v_div_scale_f32 v12, null, v0, v0, v6
	;; [unrolled: 1-line block ×3, first 2 shown]
	s_delay_alu instid0(VALU_DEP_3) | instskip(SKIP_1) | instid1(VALU_DEP_3)
	v_rcp_f32_e32 v13, v11
	v_div_scale_f32 v15, null, v0, v0, v7
	v_rcp_f32_e32 v16, v12
	s_delay_alu instid0(VALU_DEP_2) | instskip(SKIP_1) | instid1(VALU_DEP_2)
	v_rcp_f32_e32 v17, v14
	v_div_scale_f32 v21, vcc_lo, v5, v0, v5
	v_rcp_f32_e32 v18, v15
	v_fma_f32 v19, -v11, v13, 1.0
	s_delay_alu instid0(TRANS32_DEP_3) | instskip(NEXT) | instid1(TRANS32_DEP_2)
	v_fma_f32 v20, -v12, v16, 1.0
	v_fma_f32 v22, -v14, v17, 1.0
	s_delay_alu instid0(VALU_DEP_3) | instskip(SKIP_1) | instid1(TRANS32_DEP_1)
	v_fmac_f32_e32 v13, v19, v13
	v_div_scale_f32 v19, s1, v6, v0, v6
	v_fma_f32 v23, -v15, v18, 1.0
	s_delay_alu instid0(VALU_DEP_4) | instskip(SKIP_1) | instid1(VALU_DEP_3)
	v_dual_fmac_f32 v16, v20, v16 :: v_dual_fmac_f32 v17, v22, v17
	v_div_scale_f32 v20, s4, v9, v0, v9
	v_dual_fmac_f32 v18, v23, v18 :: v_dual_mul_f32 v23, v21, v13
	s_delay_alu instid0(VALU_DEP_3) | instskip(SKIP_1) | instid1(VALU_DEP_4)
	v_mul_f32_e32 v24, v19, v16
	v_div_scale_f32 v22, s5, v7, v0, v7
	v_mul_f32_e32 v25, v20, v17
	s_delay_alu instid0(VALU_DEP_4) | instskip(NEXT) | instid1(VALU_DEP_4)
	v_fma_f32 v27, -v11, v23, v21
	v_fma_f32 v28, -v12, v24, v19
	s_delay_alu instid0(VALU_DEP_4) | instskip(NEXT) | instid1(VALU_DEP_4)
	v_mul_f32_e32 v26, v22, v18
	v_fma_f32 v29, -v14, v25, v20
	s_delay_alu instid0(VALU_DEP_3) | instskip(NEXT) | instid1(VALU_DEP_3)
	v_dual_fmac_f32 v23, v27, v13 :: v_dual_fmac_f32 v24, v28, v16
	v_fma_f32 v32, -v15, v26, v22
	s_delay_alu instid0(VALU_DEP_3) | instskip(NEXT) | instid1(VALU_DEP_3)
	v_fmac_f32_e32 v25, v29, v17
	v_fma_f32 v11, -v11, v23, v21
	s_delay_alu instid0(VALU_DEP_4) | instskip(NEXT) | instid1(VALU_DEP_4)
	v_fma_f32 v12, -v12, v24, v19
	v_fmac_f32_e32 v26, v32, v18
	s_delay_alu instid0(VALU_DEP_4)
	v_fma_f32 v14, -v14, v25, v20
	s_wait_alu 0xfffd
	v_div_fmas_f32 v11, v11, v13, v23
	s_mov_b32 vcc_lo, s1
	s_wait_alu 0xfffe
	v_div_fmas_f32 v12, v12, v16, v24
	s_mov_b32 vcc_lo, s4
	v_div_fixup_f32 v5, v11, v0, v5
	s_wait_alu 0xfffe
	v_div_fmas_f32 v13, v14, v17, v25
	v_fma_f32 v14, -v15, v26, v22
	s_mov_b32 vcc_lo, s5
	v_div_fixup_f32 v6, v12, v0, v6
	v_trunc_f32_e32 v16, v5
	v_div_fixup_f32 v9, v13, v0, v9
	s_wait_alu 0xfffe
	v_div_fmas_f32 v13, v14, v18, v26
	s_delay_alu instid0(VALU_DEP_2) | instskip(NEXT) | instid1(VALU_DEP_2)
	v_trunc_f32_e32 v12, v9
	v_div_fixup_f32 v7, v13, v0, v7
	v_trunc_f32_e32 v13, v6
	s_delay_alu instid0(VALU_DEP_3) | instskip(NEXT) | instid1(VALU_DEP_3)
	v_sub_f32_e32 v14, v9, v12
	v_trunc_f32_e32 v11, v7
	s_delay_alu instid0(VALU_DEP_3) | instskip(NEXT) | instid1(VALU_DEP_3)
	v_sub_f32_e32 v15, v6, v13
	v_cmp_ge_f32_e64 s1, |v14|, 0.5
	s_delay_alu instid0(VALU_DEP_3) | instskip(SKIP_1) | instid1(VALU_DEP_2)
	v_sub_f32_e32 v17, v7, v11
	s_wait_alu 0xf1ff
	v_cndmask_b32_e64 v14, 0, 1.0, s1
	v_cmp_ge_f32_e64 s1, |v15|, 0.5
	s_delay_alu instid0(VALU_DEP_2) | instskip(SKIP_1) | instid1(VALU_DEP_2)
	v_bfi_b32 v9, 0x7fffffff, v14, v9
	s_wait_alu 0xf1ff
	v_cndmask_b32_e64 v15, 0, 1.0, s1
	v_sub_f32_e32 v14, v5, v16
	v_cmp_ge_f32_e64 s1, |v17|, 0.5
	s_delay_alu instid0(VALU_DEP_3) | instskip(SKIP_2) | instid1(VALU_DEP_3)
	v_bfi_b32 v6, 0x7fffffff, v15, v6
	v_add_f32_e32 v9, v12, v9
	s_wait_alu 0xf1ff
	v_cndmask_b32_e64 v17, 0, 1.0, s1
	v_cmp_ge_f32_e64 s1, |v14|, 0.5
	v_add_f32_e32 v6, v13, v6
	v_cvt_i32_f32_e32 v9, v9
	s_delay_alu instid0(VALU_DEP_4)
	v_bfi_b32 v7, 0x7fffffff, v17, v7
	s_wait_alu 0xf1ff
	v_cndmask_b32_e64 v12, 0, 1.0, s1
	v_cvt_i32_f32_e32 v6, v6
	v_and_b32_e32 v9, 0xff, v9
	v_add_f32_e32 v7, v11, v7
	s_delay_alu instid0(VALU_DEP_4) | instskip(NEXT) | instid1(VALU_DEP_4)
	v_bfi_b32 v5, 0x7fffffff, v12, v5
	v_and_b32_e32 v6, 0xff, v6
	s_delay_alu instid0(VALU_DEP_4) | instskip(NEXT) | instid1(VALU_DEP_4)
	v_lshlrev_b32_e32 v9, 16, v9
	v_cvt_i32_f32_e32 v7, v7
	s_delay_alu instid0(VALU_DEP_3) | instskip(NEXT) | instid1(VALU_DEP_2)
	v_dual_add_f32 v5, v16, v5 :: v_dual_lshlrev_b32 v6, 8, v6
	v_lshl_or_b32 v7, v7, 24, v9
	s_delay_alu instid0(VALU_DEP_2) | instskip(NEXT) | instid1(VALU_DEP_1)
	v_cvt_i32_f32_e32 v5, v5
	v_and_b32_e32 v5, 0xff, v5
	s_delay_alu instid0(VALU_DEP_1)
	v_or3_b32 v11, v7, v6, v5
.LBB9_20:
	s_wait_alu 0xfffe
	s_or_b32 exec_lo, exec_lo, s20
	v_and_b32_e32 v5, 0x77, v30
	s_mov_b32 s1, exec_lo
	ds_store_b32 v2, v11
	v_cmpx_eq_u32_e32 0, v5
	s_cbranch_execz .LBB9_22
; %bb.21:
	s_wait_dscnt 0x1
	v_add_f32_e32 v1, v1, v10
	v_add_nc_u32_e32 v2, v3, v30
	ds_store_b64 v2, v[0:1] offset:64
.LBB9_22:
	s_wait_alu 0xfffe
	s_or_b32 exec_lo, exec_lo, s1
.LBB9_23:
	s_delay_alu instid0(SALU_CYCLE_1)
	s_or_b32 exec_lo, exec_lo, s22
	v_and_b32_e32 v11, 1, v30
	s_wait_dscnt 0x0
	s_barrier_signal -1
	s_barrier_wait -1
	global_inv scope:SCOPE_SE
	v_lshlrev_b32_e32 v9, 2, v11
	s_wait_kmcnt 0x0
	s_cmp_eq_u64 s[14:15], 0
	s_mov_b32 s5, s30
	ds_load_2addr_b32 v[12:13], v9 offset1:2
	ds_load_2addr_b32 v[14:15], v9 offset0:4 offset1:6
	ds_load_2addr_b32 v[16:17], v9 offset0:8 offset1:10
	;; [unrolled: 1-line block ×4, first 2 shown]
	ds_load_b128 v[0:3], v4 offset:64
	ds_load_b128 v[4:7], v4 offset:192
	ds_load_2addr_b32 v[22:23], v9 offset0:36 offset1:38
	ds_load_2addr_b32 v[24:25], v9 offset0:40 offset1:42
	;; [unrolled: 1-line block ×3, first 2 shown]
	s_wait_loadcnt_dscnt 0x0
	s_barrier_signal -1
	s_barrier_wait -1
	global_inv scope:SCOPE_SE
	s_cbranch_scc1 .LBB9_25
; %bb.24:
	s_load_b32 s1, s[2:3], 0xd0
	s_mov_b32 s5, 0
	s_wait_kmcnt 0x0
	s_mul_i32 s1, s1, s26
	s_wait_alu 0xfffe
	s_add_co_i32 s4, s1, ttmp9
	s_wait_alu 0xfffe
	s_lshl_b64 s[4:5], s[4:5], 2
	s_wait_alu 0xfffe
	s_add_nc_u64 s[4:5], s[14:15], s[4:5]
	s_load_b32 s5, s[4:5], 0x0
.LBB9_25:
	v_lshlrev_b32_e32 v10, 5, v31
	s_and_b32 s4, ttmp7, 0xffff
	v_add_nc_u32_e32 v35, 0x600, v8
	v_mbcnt_lo_u32_b32 v38, -1, 0
	s_wait_alu 0xfffe
	s_lshl_b32 s29, s4, 7
	v_add_nc_u32_e32 v32, v10, v30
	s_wait_kmcnt 0x0
	s_wait_alu 0xfffe
	s_cmp_ge_i32 s29, s5
	s_mov_b32 s15, 0
	v_lshlrev_b32_e32 v34, 1, v32
	s_cbranch_scc1 .LBB9_37
; %bb.26:
	s_mul_f32 s1, s36, 0x4f7ffffe
	s_mul_f32 s14, s21, 0x4f7ffffe
	s_sub_co_i32 s20, 0, s34
	s_sub_co_i32 s21, 0, s31
	s_wait_alu 0xfffe
	s_cvt_u32_f32 s1, s1
	s_cvt_u32_f32 s14, s14
	s_abs_i32 s36, s28
	s_abs_i32 s40, s26
	s_wait_alu 0xfffe
	s_mul_i32 s20, s20, s1
	s_mul_i32 s21, s21, s14
	s_wait_alu 0xfffe
	s_mul_hi_u32 s20, s1, s20
	s_mul_hi_u32 s21, s14, s21
	s_wait_alu 0xfffe
	s_add_co_i32 s20, s1, s20
	s_add_co_i32 s38, s14, s21
	s_mov_b32 s21, s37
	s_ashr_i32 s1, s28, 31
	s_wait_alu 0xfffe
	s_mul_u64 s[42:43], s[36:37], s[20:21]
	s_clause 0x1
	s_load_b64 s[44:45], s[2:3], 0x8c
	s_load_b128 s[20:23], s[2:3], 0x98
	s_ashr_i32 s14, s27, 31
	s_mul_i32 s39, s43, s34
	s_xor_b32 s1, s1, s14
	s_sub_co_i32 s14, s36, s39
	s_ashr_i32 s27, s26, 31
	s_add_co_i32 s36, s43, 1
	s_sub_co_i32 s39, s14, s34
	s_cmp_ge_u32 s14, s34
	s_mov_b32 s41, s37
	s_cselect_b32 s36, s36, s43
	s_cselect_b32 s14, s39, s14
	s_add_co_i32 s39, s36, 1
	s_cmp_ge_u32 s14, s34
	v_xor_b32_e32 v28, 1, v38
	s_cselect_b32 s14, s39, s36
	s_mov_b32 s39, s37
	s_wait_alu 0xfffe
	s_xor_b32 s14, s14, s1
	s_mul_u64 s[36:37], s[40:41], s[38:39]
	s_sub_co_i32 s1, s14, s1
	s_mul_i32 s14, s37, s31
	s_wait_kmcnt 0x0
	s_wait_alu 0xfffe
	s_mul_i32 s38, s1, s45
	s_mul_i32 s36, s1, s23
	s_sub_co_i32 s1, s40, s14
	s_ashr_i32 s39, s38, 31
	s_ashr_i32 s37, s36, 31
	s_wait_alu 0xfffe
	s_sub_co_i32 s14, s1, s31
	s_cmp_ge_u32 s1, s31
	s_mul_i32 s23, s35, s33
	s_cselect_b32 s1, s14, s1
	v_xor_b32_e32 v45, 8, v38
	s_wait_alu 0xfffe
	s_sub_co_i32 s14, s1, s31
	s_cmp_ge_u32 s1, s31
	v_xor_b32_e32 v44, 4, v38
	s_cselect_b32 s1, s14, s1
	s_ashr_i32 s45, s23, 31
	s_wait_alu 0xfffe
	s_xor_b32 s1, s1, s27
	s_load_b64 s[46:47], s[2:3], 0xc8
	s_sub_co_i32 s48, s1, s27
	s_clause 0x1
	s_load_b32 s1, s[2:3], 0xd4
	s_load_b64 s[42:43], s[2:3], 0xa8
	s_ashr_i32 s49, s48, 31
	s_cmp_lg_u64 s[10:11], 0
	v_lshrrev_b32_e32 v43, 4, v30
	s_cselect_b32 s50, -1, 0
	s_mul_u64 s[40:41], s[20:21], s[26:27]
	v_bfe_u32 v52, v30, 3, 1
	v_mov_b32_e32 v126, 0
	v_or_b32_e32 v46, v10, v43
	v_dual_mov_b32 v127, 0xfeffffff :: v_dual_add_nc_u32 v114, v10, v43
	s_delay_alu instid0(VALU_DEP_4) | instskip(SKIP_1) | instid1(VALU_DEP_4)
	v_mul_hi_u32_u24_e32 v55, 18, v52
	v_mul_u32_u24_e32 v54, 18, v52
	v_lshlrev_b32_e32 v46, 1, v46
	s_delay_alu instid0(VALU_DEP_4)
	v_add_nc_u32_e32 v58, 28, v114
	v_add_nc_u32_e32 v62, 26, v114
	;; [unrolled: 1-line block ×4, first 2 shown]
	s_wait_kmcnt 0x0
	s_mul_u64 s[20:21], s[46:47], s[48:49]
	s_lshl_b32 s14, s1, 7
	v_cmp_eq_u32_e64 s1, 0, v11
	v_xor_b32_e32 v11, 2, v38
	v_and_b32_e32 v8, 30, v38
	s_cmp_lt_i32 s33, s24
	v_mad_co_u64_u32 v[118:119], null, s42, s26, v[54:55]
	s_cselect_b32 s31, -1, 0
	v_add_nc_u32_e32 v8, 2, v8
	s_or_b32 s34, s33, 1
	s_and_b32 s49, s50, s31
	s_cmp_lt_i32 s34, s24
	s_mul_i32 s27, s42, s27
	v_cmp_lt_i32_e32 vcc_lo, v28, v8
	v_and_b32_e32 v29, 0x7e, v30
	s_cselect_b32 s51, -1, 0
	s_ashr_i32 s31, s30, 31
	v_mul_lo_u32 v64, s22, v58
	s_wait_alu 0xfffd
	v_cndmask_b32_e32 v28, v38, v28, vcc_lo
	v_cmp_gt_i32_e32 vcc_lo, 32, v11
	v_add_nc_u32_e32 v8, v10, v29
	v_mov_b32_e32 v36, 0
	v_mul_lo_u32 v68, s22, v62
	v_lshlrev_b32_e32 v39, 2, v28
	s_wait_alu 0xfffd
	v_cndmask_b32_e32 v11, v38, v11, vcc_lo
	v_cmp_gt_i32_e32 vcc_lo, 32, v44
	v_and_b32_e32 v41, 4, v30
	v_mul_lo_u32 v40, v8, s44
	v_add_nc_u32_e32 v28, s30, v8
	v_lshlrev_b32_e32 v42, 2, v11
	v_xor_b32_e32 v11, 16, v38
	s_wait_alu 0xfffd
	v_cndmask_b32_e32 v44, v38, v44, vcc_lo
	v_cmp_gt_i32_e32 vcc_lo, 32, v45
	v_ashrrev_i32_e32 v29, 31, v28
	v_mul_lo_u32 v72, s22, v66
	v_add_nc_u32_e32 v50, s44, v40
	v_dual_mov_b32 v128, 0xfeffffff :: v_dual_lshlrev_b32 v43, 2, v44
	s_wait_alu 0xfffd
	v_cndmask_b32_e32 v45, v38, v45, vcc_lo
	v_cmp_gt_i32_e32 vcc_lo, 32, v11
	v_and_b32_e32 v56, 12, v33
	v_ashrrev_i32_e32 v51, 31, v50
	v_ashrrev_i32_e32 v57, 31, v40
	s_wait_alu 0xfffd
	v_dual_cndmask_b32 v11, v38, v11 :: v_dual_lshlrev_b32 v44, 2, v45
	v_lshlrev_b64_e32 v[28:29], 1, v[28:29]
	v_mul_lo_u32 v76, s22, v70
	v_add_nc_u32_e32 v74, 20, v114
	v_add_nc_u32_e32 v78, 18, v114
	v_lshlrev_b32_e32 v45, 2, v11
	s_wait_alu 0xfffe
	v_add_co_u32 v11, s34, s40, v9
	s_delay_alu instid0(VALU_DEP_1) | instskip(SKIP_1) | instid1(VALU_DEP_3)
	v_add_co_ci_u32_e64 v53, null, s41, 0, s34
	v_add_co_u32 v9, s30, s30, v8
	v_add_co_u32 v48, vcc_lo, v11, v50
	s_wait_alu 0xfffd
	s_delay_alu instid0(VALU_DEP_3)
	v_add_co_ci_u32_e64 v49, null, v53, v51, vcc_lo
	s_wait_alu 0xf1ff
	v_add_co_ci_u32_e64 v10, null, s31, 0, s30
	s_add_nc_u64 s[30:31], s[6:7], s[38:39]
	v_mul_lo_u32 v80, s22, v74
	s_wait_alu 0xfffe
	v_add_co_u32 v48, vcc_lo, s30, v48
	s_wait_alu 0xfffd
	v_add_co_ci_u32_e64 v49, null, s31, v49, vcc_lo
	v_add_co_u32 v11, vcc_lo, v11, s38
	s_add_nc_u64 s[30:31], s[30:31], s[40:41]
	s_wait_alu 0xfffd
	v_add_co_ci_u32_e64 v53, null, s39, v53, vcc_lo
	s_wait_alu 0xfffe
	v_add_co_u32 v50, vcc_lo, s30, v50
	s_wait_alu 0xfffd
	v_add_co_ci_u32_e64 v51, null, s31, v51, vcc_lo
	v_add_co_u32 v11, vcc_lo, v11, v40
	s_wait_alu 0xfffd
	v_add_co_ci_u32_e64 v53, null, v53, v57, vcc_lo
	s_lshl_b32 s30, s29, 1
	v_add_co_u32 v52, vcc_lo, s6, v11
	v_add_nc_u32_e32 v11, 30, v114
	s_mov_b32 s31, s15
	s_add_nc_u64 s[38:39], s[40:41], s[38:39]
	s_wait_alu 0xfffe
	s_add_nc_u64 s[34:35], s[10:11], s[30:31]
	s_mul_i32 s40, s43, s26
	s_wait_alu 0xfffe
	s_add_nc_u64 s[34:35], s[34:35], s[20:21]
	v_mul_lo_u32 v11, s22, v11
	s_wait_alu 0xfffd
	v_add_co_ci_u32_e64 v53, null, s7, v53, vcc_lo
	s_wait_alu 0xfffe
	v_add_co_u32 v54, vcc_lo, s34, v28
	s_add_nc_u64 s[6:7], s[6:7], s[38:39]
	v_add3_u32 v28, s27, s40, v119
	s_wait_alu 0xfffd
	v_add_co_ci_u32_e64 v55, null, s35, v29, vcc_lo
	s_wait_alu 0xfffe
	v_add_co_u32 v29, vcc_lo, s6, v40
	s_wait_alu 0xfffd
	v_add_co_ci_u32_e64 v40, null, s7, v57, vcc_lo
	v_add_co_u32 v116, vcc_lo, v118, v56
	s_wait_alu 0xfffd
	v_add_co_ci_u32_e64 v117, null, 0, v28, vcc_lo
	v_ashrrev_i32_e32 v60, 31, v11
	v_add_co_u32 v56, vcc_lo, v29, 20
	s_wait_alu 0xfffd
	v_add_co_ci_u32_e64 v57, null, 0, v40, vcc_lo
	v_add_co_u32 v29, vcc_lo, v116, v11
	s_wait_alu 0xfffd
	v_add_co_ci_u32_e64 v40, null, v117, v60, vcc_lo
	s_add_nc_u64 s[6:7], s[8:9], s[36:37]
	v_mul_lo_u32 v84, s22, v78
	s_wait_alu 0xfffe
	v_add_co_u32 v29, vcc_lo, s6, v29
	s_wait_alu 0xfffd
	v_add_co_ci_u32_e64 v40, null, s7, v40, vcc_lo
	v_add_nc_u32_e32 v82, 16, v114
	s_delay_alu instid0(VALU_DEP_3) | instskip(SKIP_1) | instid1(VALU_DEP_3)
	v_add_co_u32 v58, vcc_lo, v29, 2
	s_wait_alu 0xfffd
	v_add_co_ci_u32_e64 v59, null, 0, v40, vcc_lo
	v_add_co_u32 v11, vcc_lo, v118, v11
	s_wait_alu 0xfffd
	v_add_co_ci_u32_e64 v29, null, v28, v60, vcc_lo
	v_ashrrev_i32_e32 v40, 31, v64
	s_delay_alu instid0(VALU_DEP_3) | instskip(SKIP_1) | instid1(VALU_DEP_3)
	v_add_co_u32 v60, vcc_lo, s6, v11
	s_wait_alu 0xfffd
	v_add_co_ci_u32_e64 v61, null, s7, v29, vcc_lo
	v_add_co_u32 v11, vcc_lo, v116, v64
	s_wait_alu 0xfffd
	v_add_co_ci_u32_e64 v29, null, v117, v40, vcc_lo
	v_mul_lo_u32 v88, s22, v82
	s_delay_alu instid0(VALU_DEP_3) | instskip(SKIP_1) | instid1(VALU_DEP_3)
	v_add_co_u32 v11, vcc_lo, s6, v11
	s_wait_alu 0xfffd
	v_add_co_ci_u32_e64 v29, null, s7, v29, vcc_lo
	v_add_nc_u32_e32 v86, 14, v114
	s_delay_alu instid0(VALU_DEP_3) | instskip(SKIP_1) | instid1(VALU_DEP_3)
	v_add_co_u32 v62, vcc_lo, v11, 2
	s_wait_alu 0xfffd
	v_add_co_ci_u32_e64 v63, null, 0, v29, vcc_lo
	v_add_co_u32 v11, vcc_lo, v118, v64
	s_wait_alu 0xfffd
	v_add_co_ci_u32_e64 v29, null, v28, v40, vcc_lo
	v_ashrrev_i32_e32 v40, 31, v68
	s_delay_alu instid0(VALU_DEP_3) | instskip(SKIP_1) | instid1(VALU_DEP_3)
	v_add_co_u32 v64, vcc_lo, s6, v11
	s_wait_alu 0xfffd
	v_add_co_ci_u32_e64 v65, null, s7, v29, vcc_lo
	v_add_co_u32 v11, vcc_lo, v116, v68
	s_wait_alu 0xfffd
	v_add_co_ci_u32_e64 v29, null, v117, v40, vcc_lo
	v_mul_lo_u32 v92, s22, v86
	s_delay_alu instid0(VALU_DEP_3) | instskip(SKIP_1) | instid1(VALU_DEP_3)
	;; [unrolled: 21-line block ×7, first 2 shown]
	v_add_co_u32 v11, vcc_lo, s6, v11
	s_wait_alu 0xfffd
	v_add_co_ci_u32_e64 v29, null, s7, v29, vcc_lo
	v_lshlrev_b32_e32 v47, 1, v114
	s_delay_alu instid0(VALU_DEP_3) | instskip(SKIP_1) | instid1(VALU_DEP_3)
	v_add_co_u32 v86, vcc_lo, v11, 2
	s_wait_alu 0xfffd
	v_add_co_ci_u32_e64 v87, null, 0, v29, vcc_lo
	v_add_co_u32 v11, vcc_lo, v118, v88
	s_wait_alu 0xfffd
	v_add_co_ci_u32_e64 v29, null, v28, v40, vcc_lo
	v_ashrrev_i32_e32 v40, 31, v92
	s_delay_alu instid0(VALU_DEP_3) | instskip(SKIP_1) | instid1(VALU_DEP_3)
	v_add_co_u32 v88, vcc_lo, s6, v11
	s_wait_alu 0xfffd
	v_add_co_ci_u32_e64 v89, null, s7, v29, vcc_lo
	v_add_co_u32 v11, vcc_lo, v116, v92
	s_wait_alu 0xfffd
	v_add_co_ci_u32_e64 v29, null, v117, v40, vcc_lo
	v_lshlrev_b64_e32 v[9:10], 1, v[9:10]
	s_delay_alu instid0(VALU_DEP_3) | instskip(SKIP_1) | instid1(VALU_DEP_3)
	v_add_co_u32 v11, vcc_lo, s6, v11
	s_wait_alu 0xfffd
	v_add_co_ci_u32_e64 v29, null, s7, v29, vcc_lo
	s_mul_i32 s46, s22, s29
	v_add_co_u32 v90, vcc_lo, v11, 2
	s_wait_alu 0xfffd
	v_add_co_ci_u32_e64 v91, null, 0, v29, vcc_lo
	v_add_co_u32 v11, vcc_lo, v118, v92
	s_wait_alu 0xfffd
	v_add_co_ci_u32_e64 v29, null, v28, v40, vcc_lo
	v_ashrrev_i32_e32 v40, 31, v96
	s_delay_alu instid0(VALU_DEP_3) | instskip(SKIP_1) | instid1(VALU_DEP_3)
	v_add_co_u32 v92, vcc_lo, s6, v11
	s_wait_alu 0xfffd
	v_add_co_ci_u32_e64 v93, null, s7, v29, vcc_lo
	v_add_co_u32 v11, vcc_lo, v116, v96
	s_wait_alu 0xfffd
	v_add_co_ci_u32_e64 v29, null, v117, v40, vcc_lo
	s_mul_i32 s47, s44, s29
	v_add_co_u32 v11, vcc_lo, s6, v11
	s_wait_alu 0xfffd
	v_add_co_ci_u32_e64 v29, null, s7, v29, vcc_lo
	s_mul_i32 s48, s14, s44
	v_add_co_u32 v94, vcc_lo, v11, 2
	s_wait_alu 0xfffd
	v_add_co_ci_u32_e64 v95, null, 0, v29, vcc_lo
	v_add_co_u32 v11, vcc_lo, v118, v96
	s_wait_alu 0xfffd
	v_add_co_ci_u32_e64 v29, null, v28, v40, vcc_lo
	v_ashrrev_i32_e32 v40, 31, v100
	s_delay_alu instid0(VALU_DEP_3) | instskip(SKIP_1) | instid1(VALU_DEP_3)
	v_add_co_u32 v96, vcc_lo, s6, v11
	s_wait_alu 0xfffd
	v_add_co_ci_u32_e64 v97, null, s7, v29, vcc_lo
	v_add_co_u32 v11, vcc_lo, v116, v100
	s_wait_alu 0xfffd
	v_add_co_ci_u32_e64 v29, null, v117, v40, vcc_lo
	s_delay_alu instid0(VALU_DEP_2) | instskip(SKIP_1) | instid1(VALU_DEP_2)
	v_add_co_u32 v11, vcc_lo, s6, v11
	s_wait_alu 0xfffd
	v_add_co_ci_u32_e64 v29, null, s7, v29, vcc_lo
	s_delay_alu instid0(VALU_DEP_2) | instskip(SKIP_1) | instid1(VALU_DEP_2)
	v_add_co_u32 v98, vcc_lo, v11, 2
	s_wait_alu 0xfffd
	v_add_co_ci_u32_e64 v99, null, 0, v29, vcc_lo
	v_add_co_u32 v11, vcc_lo, v118, v100
	s_wait_alu 0xfffd
	v_add_co_ci_u32_e64 v29, null, v28, v40, vcc_lo
	v_ashrrev_i32_e32 v40, 31, v104
	s_delay_alu instid0(VALU_DEP_3) | instskip(SKIP_1) | instid1(VALU_DEP_3)
	v_add_co_u32 v100, vcc_lo, s6, v11
	s_wait_alu 0xfffd
	v_add_co_ci_u32_e64 v101, null, s7, v29, vcc_lo
	v_add_co_u32 v11, vcc_lo, v116, v104
	s_wait_alu 0xfffd
	v_add_co_ci_u32_e64 v29, null, v117, v40, vcc_lo
	s_delay_alu instid0(VALU_DEP_2) | instskip(SKIP_1) | instid1(VALU_DEP_2)
	v_add_co_u32 v11, vcc_lo, s6, v11
	s_wait_alu 0xfffd
	v_add_co_ci_u32_e64 v29, null, s7, v29, vcc_lo
	s_delay_alu instid0(VALU_DEP_2) | instskip(SKIP_1) | instid1(VALU_DEP_2)
	v_add_co_u32 v102, vcc_lo, v11, 2
	s_wait_alu 0xfffd
	v_add_co_ci_u32_e64 v103, null, 0, v29, vcc_lo
	v_add_co_u32 v11, vcc_lo, v118, v104
	s_wait_alu 0xfffd
	v_add_co_ci_u32_e64 v29, null, v28, v40, vcc_lo
	v_ashrrev_i32_e32 v40, 31, v108
	s_delay_alu instid0(VALU_DEP_3) | instskip(SKIP_1) | instid1(VALU_DEP_3)
	v_add_co_u32 v104, vcc_lo, s6, v11
	s_wait_alu 0xfffd
	v_add_co_ci_u32_e64 v105, null, s7, v29, vcc_lo
	v_add_co_u32 v11, vcc_lo, v116, v108
	s_wait_alu 0xfffd
	v_add_co_ci_u32_e64 v29, null, v117, v40, vcc_lo
	s_delay_alu instid0(VALU_DEP_2) | instskip(SKIP_1) | instid1(VALU_DEP_2)
	v_add_co_u32 v11, vcc_lo, s6, v11
	s_wait_alu 0xfffd
	v_add_co_ci_u32_e64 v29, null, s7, v29, vcc_lo
	s_delay_alu instid0(VALU_DEP_2) | instskip(SKIP_1) | instid1(VALU_DEP_2)
	v_add_co_u32 v106, vcc_lo, v11, 2
	s_wait_alu 0xfffd
	v_add_co_ci_u32_e64 v107, null, 0, v29, vcc_lo
	v_add_co_u32 v11, vcc_lo, v118, v108
	v_add_nc_u32_e32 v108, 2, v114
	s_wait_alu 0xfffd
	v_add_co_ci_u32_e64 v29, null, v28, v40, vcc_lo
	v_ashrrev_i32_e32 v40, 31, v112
	v_add_co_u32 v110, vcc_lo, v116, v112
	v_mul_lo_u32 v119, s22, v108
	s_wait_alu 0xfffd
	s_delay_alu instid0(VALU_DEP_3)
	v_add_co_ci_u32_e64 v111, null, v117, v40, vcc_lo
	v_add_co_u32 v108, vcc_lo, s6, v11
	s_wait_alu 0xfffd
	v_add_co_ci_u32_e64 v109, null, s7, v29, vcc_lo
	v_add_co_u32 v11, vcc_lo, s6, v110
	s_wait_alu 0xfffd
	v_add_co_ci_u32_e64 v29, null, s7, v111, vcc_lo
	v_ashrrev_i32_e32 v120, 31, v119
	s_delay_alu instid0(VALU_DEP_3) | instskip(SKIP_1) | instid1(VALU_DEP_3)
	v_add_co_u32 v110, vcc_lo, v11, 2
	s_wait_alu 0xfffd
	v_add_co_ci_u32_e64 v111, null, 0, v29, vcc_lo
	v_add_co_u32 v11, vcc_lo, v116, v119
	s_wait_alu 0xfffd
	v_add_co_ci_u32_e64 v29, null, v117, v120, vcc_lo
	;; [unrolled: 3-line block ×5, first 2 shown]
	v_mul_lo_u32 v40, s22, v114
	v_add_co_u32 v114, vcc_lo, v11, 2
	s_wait_alu 0xfffd
	v_add_co_ci_u32_e64 v115, null, 0, v29, vcc_lo
	v_add_co_u32 v11, vcc_lo, v116, s36
	s_wait_alu 0xfffd
	v_add_co_ci_u32_e64 v29, null, s37, v117, vcc_lo
	v_ashrrev_i32_e32 v121, 31, v40
	v_add_co_u32 v116, vcc_lo, v118, v119
	s_wait_alu 0xfffd
	v_add_co_ci_u32_e64 v117, null, v28, v120, vcc_lo
	v_add_co_u32 v11, vcc_lo, v11, v40
	s_wait_alu 0xfffd
	v_add_co_ci_u32_e64 v29, null, v29, v121, vcc_lo
	;; [unrolled: 3-line block ×7, first 2 shown]
	s_add_nc_u64 s[6:7], s[20:21], s[30:31]
	v_add_co_u32 v120, vcc_lo, s8, v11
	s_wait_alu 0xfffd
	v_add_co_ci_u32_e64 v121, null, s9, v28, vcc_lo
	v_add_co_u32 v29, vcc_lo, s34, v9
	v_lshlrev_b32_e32 v28, 1, v8
	s_wait_alu 0xfffd
	v_add_co_ci_u32_e64 v40, null, s35, v10, vcc_lo
	ds_load_b128 v[8:11], v35
	s_wait_alu 0xfffe
	s_add_nc_u64 s[6:7], s[10:11], s[6:7]
	v_add_co_u32 v122, vcc_lo, v29, 2
	s_wait_alu 0xfffe
	v_add_co_u32 v28, s6, s6, v28
	s_wait_alu 0xf1ff
	v_add_co_ci_u32_e64 v125, null, s7, 0, s6
	s_wait_alu 0xfffd
	v_add_co_ci_u32_e64 v123, null, 0, v40, vcc_lo
	v_add_co_u32 v124, vcc_lo, v28, 2
	s_wait_alu 0xfffd
	v_add_co_ci_u32_e64 v125, null, 0, v125, vcc_lo
	v_mov_b32_e32 v40, 0
	s_mul_i32 s8, s14, s22
	s_and_b32 s9, s50, s51
	s_lshl_b64 s[6:7], s[14:15], 1
.LBB9_27:                               ; =>This Inner Loop Header: Depth=1
	v_add_co_u32 v28, vcc_lo, v56, s47
	s_wait_alu 0xfffd
	v_add_co_ci_u32_e64 v29, null, 0, v57, vcc_lo
	v_add_co_u32 v139, vcc_lo, v52, s47
	s_wait_alu 0xfffd
	v_add_co_ci_u32_e64 v140, null, 0, v53, vcc_lo
	s_clause 0x1
	global_load_b32 v130, v[28:29], off offset:-20
	global_load_b32 v28, v[28:29], off
	s_and_b32 vcc_lo, exec_lo, s49
	s_clause 0x1
	global_load_b32 v129, v[139:140], off offset:4
	global_load_b32 v133, v[139:140], off offset:24
	s_wait_loadcnt 0x3
	v_cvt_f32_f16_e64 v135, v130
	v_lshrrev_b32_e32 v130, 16, v130
	s_wait_loadcnt 0x0
	v_lshrrev_b32_e32 v29, 4, v133
	v_and_b32_e32 v132, 0xf0f0f0f, v133
	s_delay_alu instid0(VALU_DEP_3) | instskip(SKIP_3) | instid1(VALU_DEP_1)
	v_cvt_f32_f16_e64 v137, v130
	global_load_b32 v130, v[139:140], off offset:12
	v_and_b32_e32 v133, 0xf0f0f0f, v29
	v_mul_f32_e32 v141, v1, v137
	v_mul_f32_e32 v141, 0x3e000000, v141
	v_and_b32_e32 v136, 0xf0f0f0f, v129
	v_lshrrev_b32_e32 v129, 4, v129
	s_delay_alu instid0(VALU_DEP_1)
	v_and_b32_e32 v134, 0xf0f0f0f, v129
	s_wait_loadcnt 0x0
	v_and_b32_e32 v138, 0xf0f0f0f, v130
	v_lshrrev_b32_e32 v129, 4, v130
	v_cvt_f32_f16_e64 v130, v28
	v_lshrrev_b32_e32 v28, 16, v28
	s_delay_alu instid0(VALU_DEP_4) | instskip(NEXT) | instid1(VALU_DEP_4)
	v_dot4_i32_iu8 v142, v138, v13, 0 neg_lo:[1,1,0]
	v_and_b32_e32 v129, 0xf0f0f0f, v129
	s_delay_alu instid0(VALU_DEP_3) | instskip(SKIP_3) | instid1(VALU_DEP_1)
	v_cvt_f32_f16_e64 v131, v28
	global_load_b32 v28, v[139:140], off offset:32
	v_mul_f32_e32 v140, v0, v135
	v_cvt_f32_i32_e32 v142, v142
	v_fma_f32 v142, v140, v142, v141
	s_wait_loadcnt 0x0
	v_and_b32_e32 v139, 0xf0f0f0f, v28
	v_lshrrev_b32_e32 v28, 4, v28
	s_delay_alu instid0(VALU_DEP_1) | instskip(SKIP_1) | instid1(VALU_DEP_1)
	v_and_b32_e32 v29, 0xf0f0f0f, v28
	v_dot4_i32_iu8 v28, v136, v12, 0 neg_lo:[1,1,0]
	v_cvt_f32_i32_e32 v28, v28
	s_delay_alu instid0(VALU_DEP_1) | instskip(NEXT) | instid1(VALU_DEP_1)
	v_fma_f32 v28, v140, v28, v141
	v_add_f32_e32 v28, 0, v28
	s_delay_alu instid0(VALU_DEP_1) | instskip(SKIP_1) | instid1(VALU_DEP_1)
	v_add_f32_e32 v28, v28, v142
	v_dot4_i32_iu8 v142, v134, v14, 0 neg_lo:[1,1,0]
	v_cvt_f32_i32_e32 v142, v142
	s_delay_alu instid0(VALU_DEP_1) | instskip(NEXT) | instid1(VALU_DEP_1)
	v_fma_f32 v142, v140, v142, v141
	v_add_f32_e32 v28, v28, v142
	v_dot4_i32_iu8 v142, v129, v15, 0 neg_lo:[1,1,0]
	s_delay_alu instid0(VALU_DEP_1) | instskip(NEXT) | instid1(VALU_DEP_1)
	v_cvt_f32_i32_e32 v142, v142
	v_fmac_f32_e32 v141, v140, v142
	v_dot4_i32_iu8 v140, v132, v16, 0 neg_lo:[1,1,0]
	v_mul_f32_e32 v142, v3, v131
	s_delay_alu instid0(VALU_DEP_3) | instskip(NEXT) | instid1(VALU_DEP_3)
	v_dual_add_f32 v28, v28, v141 :: v_dual_mul_f32 v141, v2, v130
	v_cvt_f32_i32_e32 v140, v140
	s_delay_alu instid0(VALU_DEP_3) | instskip(NEXT) | instid1(VALU_DEP_1)
	v_mul_f32_e32 v142, 0x3e000000, v142
	v_fma_f32 v140, v141, v140, v142
	s_delay_alu instid0(VALU_DEP_1) | instskip(SKIP_1) | instid1(VALU_DEP_1)
	v_add_f32_e32 v28, v28, v140
	v_dot4_i32_iu8 v140, v139, v17, 0 neg_lo:[1,1,0]
	v_cvt_f32_i32_e32 v140, v140
	s_delay_alu instid0(VALU_DEP_1) | instskip(NEXT) | instid1(VALU_DEP_1)
	v_fma_f32 v140, v141, v140, v142
	v_add_f32_e32 v28, v28, v140
	v_dot4_i32_iu8 v140, v133, v18, 0 neg_lo:[1,1,0]
	s_delay_alu instid0(VALU_DEP_1) | instskip(NEXT) | instid1(VALU_DEP_1)
	v_cvt_f32_i32_e32 v140, v140
	v_fma_f32 v140, v141, v140, v142
	s_delay_alu instid0(VALU_DEP_1) | instskip(SKIP_1) | instid1(VALU_DEP_1)
	v_add_f32_e32 v28, v28, v140
	v_dot4_i32_iu8 v140, v29, v19, 0 neg_lo:[1,1,0]
	v_cvt_f32_i32_e32 v140, v140
	s_delay_alu instid0(VALU_DEP_1) | instskip(NEXT) | instid1(VALU_DEP_1)
	v_fmac_f32_e32 v142, v141, v140
	v_add_f32_e32 v28, v28, v142
	ds_bpermute_b32 v140, v39, v28
	s_wait_dscnt 0x0
	v_add_f32_e32 v28, v28, v140
	s_wait_alu 0xfffe
	s_cbranch_vccz .LBB9_29
; %bb.28:                               ;   in Loop: Header=BB9_27 Depth=1
	v_add_co_u32 v140, vcc_lo, v124, s23
	s_wait_alu 0xfffd
	v_add_co_ci_u32_e64 v141, null, s45, v125, vcc_lo
	global_load_u16 v140, v[140:141], off offset:-2
	s_wait_loadcnt 0x0
	v_fma_mix_f32 v28, v37, v140, v28 op_sel_hi:[0,1,0]
.LBB9_29:                               ;   in Loop: Header=BB9_27 Depth=1
	v_dot4_i32_iu8 v136, v136, v20, 0 neg_lo:[1,1,0]
	v_mul_f32_e32 v137, v5, v137
	v_dual_mul_f32 v135, v4, v135 :: v_dual_mul_f32 v130, v6, v130
	v_dot4_i32_iu8 v138, v138, v21, 0 neg_lo:[1,1,0]
	s_delay_alu instid0(VALU_DEP_4) | instskip(NEXT) | instid1(VALU_DEP_4)
	v_cvt_f32_i32_e32 v136, v136
	v_mul_f32_e32 v137, 0x3e000000, v137
	v_dot4_i32_iu8 v134, v134, v22, 0 neg_lo:[1,1,0]
	v_dot4_i32_iu8 v129, v129, v23, 0 neg_lo:[1,1,0]
	v_cvt_f32_i32_e32 v138, v138
	v_dot4_i32_iu8 v132, v132, v24, 0 neg_lo:[1,1,0]
	v_fma_f32 v136, v135, v136, v137
	v_cvt_f32_i32_e32 v134, v134
	v_mul_f32_e32 v131, v7, v131
	v_fma_f32 v138, v135, v138, v137
	v_cvt_f32_i32_e32 v129, v129
	v_add_f32_e32 v136, 0, v136
	v_cvt_f32_i32_e32 v132, v132
	v_mul_f32_e32 v131, 0x3e000000, v131
	v_dot4_i32_iu8 v133, v133, v26, 0 neg_lo:[1,1,0]
	v_dot4_i32_iu8 v29, v29, v27, 0 neg_lo:[1,1,0]
	v_add_f32_e32 v136, v136, v138
	v_fma_f32 v134, v135, v134, v137
	v_dot4_i32_iu8 v138, v139, v25, 0 neg_lo:[1,1,0]
	v_fmac_f32_e32 v137, v135, v129
	v_fma_f32 v132, v130, v132, v131
	v_cvt_f32_i32_e32 v133, v133
	v_add_f32_e32 v129, v136, v134
	v_cvt_f32_i32_e32 v134, v138
	v_cvt_f32_i32_e32 v29, v29
	s_and_not1_b32 vcc_lo, exec_lo, s9
	s_delay_alu instid0(VALU_DEP_3) | instskip(NEXT) | instid1(VALU_DEP_3)
	v_add_f32_e32 v129, v129, v137
	v_fma_f32 v134, v130, v134, v131
	s_delay_alu instid0(VALU_DEP_2) | instskip(SKIP_2) | instid1(VALU_DEP_3)
	v_add_f32_e32 v129, v129, v132
	v_fma_f32 v132, v130, v133, v131
	v_fmac_f32_e32 v131, v130, v29
	v_add_f32_e32 v129, v129, v134
	s_delay_alu instid0(VALU_DEP_1) | instskip(NEXT) | instid1(VALU_DEP_1)
	v_add_f32_e32 v129, v129, v132
	v_add_f32_e32 v29, v129, v131
	ds_bpermute_b32 v129, v39, v29
	s_wait_dscnt 0x0
	v_add_f32_e32 v29, v29, v129
	s_wait_alu 0xfffe
	s_cbranch_vccnz .LBB9_31
; %bb.30:                               ;   in Loop: Header=BB9_27 Depth=1
	v_add_co_u32 v129, vcc_lo, v54, s23
	s_wait_alu 0xfffd
	v_add_co_ci_u32_e64 v130, null, s45, v55, vcc_lo
	global_load_u16 v129, v[129:130], off
	s_wait_loadcnt 0x0
	v_fma_mix_f32 v29, v37, v129, v29 op_sel_hi:[0,1,0]
.LBB9_31:                               ;   in Loop: Header=BB9_27 Depth=1
	v_add_co_u32 v129, vcc_lo, v48, s47
	s_wait_alu 0xfffd
	v_add_co_ci_u32_e64 v130, null, 0, v49, vcc_lo
	v_add_co_u32 v131, vcc_lo, v50, s47
	s_wait_alu 0xfffd
	v_add_co_ci_u32_e64 v132, null, 0, v51, vcc_lo
	global_load_b32 v135, v[129:130], off offset:4
	global_load_b32 v133, v[131:132], off
	s_clause 0x1
	global_load_b32 v136, v[129:130], off offset:12
	global_load_b32 v137, v[129:130], off offset:24
	;; [unrolled: 1-line block ×4, first 2 shown]
	s_and_not1_b32 vcc_lo, exec_lo, s49
	s_wait_loadcnt 0x4
	v_lshrrev_b32_e32 v129, 16, v133
	v_cvt_f32_f16_e64 v134, v133
	v_and_b32_e32 v138, 0xf0f0f0f, v135
	v_lshrrev_b32_e32 v135, 4, v135
	s_wait_loadcnt 0x3
	v_lshrrev_b32_e32 v139, 4, v136
	v_cvt_f32_f16_e64 v140, v129
	s_wait_loadcnt 0x2
	v_and_b32_e32 v131, 0xf0f0f0f, v137
	s_wait_loadcnt 0x1
	v_cvt_f32_f16_e64 v130, v132
	v_and_b32_e32 v133, 0xf0f0f0f, v136
	v_lshrrev_b32_e32 v132, 16, v132
	v_and_b32_e32 v136, 0xf0f0f0f, v135
	v_dual_mul_f32 v142, v1, v140 :: v_dual_mul_f32 v143, v0, v134
	v_dot4_i32_iu8 v135, v138, v12, 0 neg_lo:[1,1,0]
	v_lshrrev_b32_e32 v137, 4, v137
	v_mul_f32_e32 v148, v2, v130
	v_dot4_i32_iu8 v144, v133, v13, 0 neg_lo:[1,1,0]
	v_and_b32_e32 v139, 0xf0f0f0f, v139
	v_cvt_f32_i32_e32 v145, v135
	v_cvt_f32_f16_e64 v135, v132
	v_mul_f32_e32 v142, 0x3e000000, v142
	v_and_b32_e32 v132, 0xf0f0f0f, v137
	v_cvt_f32_i32_e32 v144, v144
	v_dot4_i32_iu8 v147, v139, v15, 0 neg_lo:[1,1,0]
	v_mul_f32_e32 v149, v3, v135
	v_fma_f32 v145, v143, v145, v142
	v_dot4_i32_iu8 v146, v131, v16, 0 neg_lo:[1,1,0]
	v_fma_f32 v144, v143, v144, v142
	v_cvt_f32_i32_e32 v147, v147
	v_mul_f32_e32 v149, 0x3e000000, v149
	v_add_f32_e32 v145, 0, v145
	v_dot4_i32_iu8 v137, v136, v14, 0 neg_lo:[1,1,0]
	s_wait_loadcnt 0x0
	v_and_b32_e32 v129, 0xf0f0f0f, v141
	v_cvt_f32_i32_e32 v146, v146
	v_lshrrev_b32_e32 v141, 4, v141
	v_add_f32_e32 v144, v145, v144
	v_cvt_f32_i32_e32 v137, v137
	v_dot4_i32_iu8 v145, v129, v17, 0 neg_lo:[1,1,0]
	s_delay_alu instid0(VALU_DEP_4) | instskip(NEXT) | instid1(VALU_DEP_3)
	v_and_b32_e32 v141, 0xf0f0f0f, v141
	v_fma_f32 v137, v143, v137, v142
	v_fmac_f32_e32 v142, v143, v147
	s_delay_alu instid0(VALU_DEP_4) | instskip(SKIP_1) | instid1(VALU_DEP_4)
	v_cvt_f32_i32_e32 v143, v145
	v_fma_f32 v145, v148, v146, v149
	v_add_f32_e32 v137, v144, v137
	s_delay_alu instid0(VALU_DEP_3) | instskip(NEXT) | instid1(VALU_DEP_2)
	v_fma_f32 v143, v148, v143, v149
	v_add_f32_e32 v137, v137, v142
	v_dot4_i32_iu8 v144, v132, v18, 0 neg_lo:[1,1,0]
	s_delay_alu instid0(VALU_DEP_2) | instskip(NEXT) | instid1(VALU_DEP_2)
	v_add_f32_e32 v137, v137, v145
	v_cvt_f32_i32_e32 v142, v144
	v_dot4_i32_iu8 v144, v141, v19, 0 neg_lo:[1,1,0]
	s_delay_alu instid0(VALU_DEP_3) | instskip(NEXT) | instid1(VALU_DEP_3)
	v_add_f32_e32 v137, v137, v143
	v_fma_f32 v142, v148, v142, v149
	s_delay_alu instid0(VALU_DEP_3) | instskip(NEXT) | instid1(VALU_DEP_2)
	v_cvt_f32_i32_e32 v143, v144
	v_add_f32_e32 v137, v137, v142
	s_delay_alu instid0(VALU_DEP_2) | instskip(NEXT) | instid1(VALU_DEP_1)
	v_fmac_f32_e32 v149, v148, v143
	v_add_f32_e32 v137, v137, v149
	ds_bpermute_b32 v142, v39, v137
	s_wait_dscnt 0x0
	v_add_f32_e32 v137, v137, v142
	s_wait_alu 0xfffe
	s_cbranch_vccnz .LBB9_33
; %bb.32:                               ;   in Loop: Header=BB9_27 Depth=1
	v_add_co_u32 v142, vcc_lo, v124, s23
	s_wait_alu 0xfffd
	v_add_co_ci_u32_e64 v143, null, s45, v125, vcc_lo
	global_load_u16 v142, v[142:143], off
	s_wait_loadcnt 0x0
	v_fma_mix_f32 v137, v37, v142, v137 op_sel_hi:[0,1,0]
.LBB9_33:                               ;   in Loop: Header=BB9_27 Depth=1
	v_dot4_i32_iu8 v138, v138, v20, 0 neg_lo:[1,1,0]
	v_dual_mul_f32 v140, v5, v140 :: v_dual_mul_f32 v135, v7, v135
	v_mul_f32_e32 v134, v4, v134
	v_dot4_i32_iu8 v133, v133, v21, 0 neg_lo:[1,1,0]
	s_delay_alu instid0(VALU_DEP_4) | instskip(NEXT) | instid1(VALU_DEP_4)
	v_cvt_f32_i32_e32 v138, v138
	v_dual_mul_f32 v140, 0x3e000000, v140 :: v_dual_mul_f32 v135, 0x3e000000, v135
	v_dot4_i32_iu8 v136, v136, v22, 0 neg_lo:[1,1,0]
	s_delay_alu instid0(VALU_DEP_4) | instskip(SKIP_1) | instid1(VALU_DEP_4)
	v_cvt_f32_i32_e32 v133, v133
	v_dot4_i32_iu8 v139, v139, v23, 0 neg_lo:[1,1,0]
	v_fma_f32 v138, v134, v138, v140
	v_dot4_i32_iu8 v131, v131, v24, 0 neg_lo:[1,1,0]
	v_cvt_f32_i32_e32 v136, v136
	v_fma_f32 v133, v134, v133, v140
	v_cvt_f32_i32_e32 v139, v139
	v_add_f32_e32 v138, 0, v138
	v_dot4_i32_iu8 v129, v129, v25, 0 neg_lo:[1,1,0]
	v_cvt_f32_i32_e32 v131, v131
	v_dot4_i32_iu8 v132, v132, v26, 0 neg_lo:[1,1,0]
	s_and_not1_b32 vcc_lo, exec_lo, s9
	v_add_f32_e32 v133, v138, v133
	v_fma_f32 v136, v134, v136, v140
	v_fmac_f32_e32 v140, v134, v139
	v_cvt_f32_i32_e32 v129, v129
	v_cvt_f32_i32_e32 v132, v132
	s_delay_alu instid0(VALU_DEP_4) | instskip(NEXT) | instid1(VALU_DEP_1)
	v_dual_add_f32 v133, v133, v136 :: v_dual_mul_f32 v130, v6, v130
	v_add_f32_e32 v133, v133, v140
	s_delay_alu instid0(VALU_DEP_2) | instskip(SKIP_2) | instid1(VALU_DEP_3)
	v_fma_f32 v131, v130, v131, v135
	v_fma_f32 v129, v130, v129, v135
	;; [unrolled: 1-line block ×3, first 2 shown]
	v_add_f32_e32 v131, v133, v131
	v_dot4_i32_iu8 v133, v141, v27, 0 neg_lo:[1,1,0]
	s_delay_alu instid0(VALU_DEP_2) | instskip(NEXT) | instid1(VALU_DEP_2)
	v_add_f32_e32 v129, v131, v129
	v_cvt_f32_i32_e32 v131, v133
	s_delay_alu instid0(VALU_DEP_2) | instskip(NEXT) | instid1(VALU_DEP_2)
	v_add_f32_e32 v129, v129, v132
	v_fmac_f32_e32 v135, v130, v131
	s_delay_alu instid0(VALU_DEP_1)
	v_add_f32_e32 v129, v129, v135
	ds_bpermute_b32 v130, v39, v129
	s_wait_dscnt 0x0
	v_add_f32_e32 v129, v129, v130
	s_wait_alu 0xfffe
	s_cbranch_vccnz .LBB9_35
; %bb.34:                               ;   in Loop: Header=BB9_27 Depth=1
	v_add_co_u32 v130, vcc_lo, v122, s23
	s_wait_alu 0xfffd
	v_add_co_ci_u32_e64 v131, null, s45, v123, vcc_lo
	global_load_u16 v130, v[130:131], off
	s_wait_loadcnt 0x0
	v_fma_mix_f32 v129, v37, v130, v129 op_sel_hi:[0,1,0]
.LBB9_35:                               ;   in Loop: Header=BB9_27 Depth=1
	v_cndmask_b32_e64 v126, v126, v28, s1
	s_delay_alu instid0(VALU_DEP_2)
	v_dual_add_f32 v28, 0x40051340, v28 :: v_dual_add_f32 v131, 0x40051340, v129
	v_add_f32_e32 v130, 0x40051340, v137
	v_cndmask_b32_e64 v129, v129, v29, s1
	s_add_co_i32 s29, s29, s14
	s_wait_alu 0xfffe
	s_cmp_ge_i32 s29, s5
	v_max3_num_f32 v28, v128, v28, v130
	v_add_f32_e32 v130, 0x40051340, v29
	v_cndmask_b32_e64 v29, v137, v126, s1
	ds_bpermute_b32 v126, v42, v28
	v_max3_num_f32 v130, v127, v130, v131
	s_wait_dscnt 0x0
	v_max_num_f32_e32 v126, v126, v126
	s_delay_alu instid0(VALU_DEP_1) | instskip(SKIP_3) | instid1(VALU_DEP_1)
	v_max_num_f32_e32 v28, v28, v126
	ds_bpermute_b32 v126, v43, v28
	s_wait_dscnt 0x0
	v_max_num_f32_e32 v126, v126, v126
	v_max_num_f32_e32 v28, v28, v126
	ds_bpermute_b32 v126, v44, v28
	s_wait_dscnt 0x0
	v_max_num_f32_e32 v126, v126, v126
	s_delay_alu instid0(VALU_DEP_1) | instskip(SKIP_3) | instid1(VALU_DEP_1)
	v_max_num_f32_e32 v28, v28, v126
	ds_bpermute_b32 v126, v45, v28
	s_wait_dscnt 0x0
	v_max_num_f32_e32 v126, v126, v126
	v_max_num_f32_e32 v28, v28, v126
	s_delay_alu instid0(VALU_DEP_1) | instskip(NEXT) | instid1(VALU_DEP_1)
	v_sub_f32_e32 v126, v128, v28
	v_dual_sub_f32 v29, v29, v28 :: v_dual_mul_f32 v128, 0x3fb8aa3b, v126
	v_cmp_ngt_f32_e32 vcc_lo, 0xc2ce8ed0, v126
	s_delay_alu instid0(VALU_DEP_2) | instskip(SKIP_1) | instid1(VALU_DEP_1)
	v_fma_f32 v131, 0x3fb8aa3b, v126, -v128
	v_rndne_f32_e32 v132, v128
	v_dual_fmac_f32 v131, 0x32a5705f, v126 :: v_dual_sub_f32 v128, v128, v132
	s_delay_alu instid0(VALU_DEP_1) | instskip(SKIP_1) | instid1(VALU_DEP_2)
	v_add_f32_e32 v128, v128, v131
	v_cvt_i32_f32_e32 v131, v132
	v_exp_f32_e32 v128, v128
	s_delay_alu instid0(TRANS32_DEP_1) | instskip(SKIP_1) | instid1(VALU_DEP_1)
	v_ldexp_f32 v128, v128, v131
	s_wait_alu 0xfffd
	v_cndmask_b32_e32 v128, 0, v128, vcc_lo
	v_cmp_nlt_f32_e32 vcc_lo, 0x42b17218, v126
	v_mul_f32_e32 v126, 0x3fb8aa3b, v29
	s_wait_alu 0xfffd
	s_delay_alu instid0(VALU_DEP_3) | instskip(NEXT) | instid1(VALU_DEP_2)
	v_cndmask_b32_e32 v128, 0x7f800000, v128, vcc_lo
	v_fma_f32 v131, 0x3fb8aa3b, v29, -v126
	v_rndne_f32_e32 v132, v126
	v_cmp_ngt_f32_e32 vcc_lo, 0xc2ce8ed0, v29
	s_delay_alu instid0(VALU_DEP_2) | instskip(NEXT) | instid1(VALU_DEP_1)
	v_dual_fmac_f32 v131, 0x32a5705f, v29 :: v_dual_sub_f32 v126, v126, v132
	v_add_f32_e32 v126, v126, v131
	v_cvt_i32_f32_e32 v131, v132
	s_delay_alu instid0(VALU_DEP_2) | instskip(NEXT) | instid1(TRANS32_DEP_1)
	v_exp_f32_e32 v126, v126
	v_ldexp_f32 v126, v126, v131
	s_wait_alu 0xfffd
	s_delay_alu instid0(VALU_DEP_1) | instskip(SKIP_2) | instid1(VALU_DEP_2)
	v_cndmask_b32_e32 v126, 0, v126, vcc_lo
	v_cmp_nlt_f32_e32 vcc_lo, 0x42b17218, v29
	s_wait_alu 0xfffd
	v_cndmask_b32_e32 v126, 0x7f800000, v126, vcc_lo
	s_delay_alu instid0(VALU_DEP_1) | instskip(SKIP_3) | instid1(VALU_DEP_1)
	v_cvt_f16_f32_e32 v29, v126
	v_fma_f32 v36, v36, v128, v126
	ds_store_b16 v34, v29
	v_cvt_f16_f32_e64 v29, v128
	v_and_b32_e32 v29, 0xffff, v29
	s_delay_alu instid0(VALU_DEP_1) | instskip(NEXT) | instid1(VALU_DEP_1)
	v_mul_u32_u24_e32 v29, 0x10001, v29
	v_pk_mul_f16 v131, v8, v29
	ds_bpermute_b32 v8, v42, v130
	v_pk_mul_f16 v132, v9, v29
	s_wait_dscnt 0x0
	v_max_num_f32_e32 v8, v8, v8
	s_delay_alu instid0(VALU_DEP_1) | instskip(SKIP_3) | instid1(VALU_DEP_1)
	v_max_num_f32_e32 v8, v130, v8
	ds_bpermute_b32 v9, v43, v8
	s_wait_dscnt 0x0
	v_max_num_f32_e32 v9, v9, v9
	v_max_num_f32_e32 v8, v8, v9
	ds_bpermute_b32 v9, v44, v8
	s_wait_dscnt 0x0
	v_max_num_f32_e32 v9, v9, v9
	s_delay_alu instid0(VALU_DEP_1) | instskip(SKIP_3) | instid1(VALU_DEP_1)
	v_max_num_f32_e32 v8, v8, v9
	ds_bpermute_b32 v9, v45, v8
	s_wait_dscnt 0x0
	v_max_num_f32_e32 v9, v9, v9
	v_max_num_f32_e32 v29, v8, v9
	s_delay_alu instid0(VALU_DEP_1) | instskip(NEXT) | instid1(VALU_DEP_1)
	v_sub_f32_e32 v8, v127, v29
	v_mul_f32_e32 v9, 0x3fb8aa3b, v8
	v_cmp_ngt_f32_e32 vcc_lo, 0xc2ce8ed0, v8
	s_delay_alu instid0(VALU_DEP_2) | instskip(SKIP_1) | instid1(VALU_DEP_2)
	v_fma_f32 v127, 0x3fb8aa3b, v8, -v9
	v_rndne_f32_e32 v128, v9
	v_fmac_f32_e32 v127, 0x32a5705f, v8
	s_delay_alu instid0(VALU_DEP_2) | instskip(NEXT) | instid1(VALU_DEP_1)
	v_sub_f32_e32 v9, v9, v128
	v_add_f32_e32 v9, v9, v127
	v_cvt_i32_f32_e32 v127, v128
	s_delay_alu instid0(VALU_DEP_2) | instskip(NEXT) | instid1(TRANS32_DEP_1)
	v_exp_f32_e32 v9, v9
	v_ldexp_f32 v9, v9, v127
	s_wait_alu 0xfffd
	s_delay_alu instid0(VALU_DEP_1) | instskip(SKIP_2) | instid1(VALU_DEP_2)
	v_cndmask_b32_e32 v9, 0, v9, vcc_lo
	v_cmp_nlt_f32_e32 vcc_lo, 0x42b17218, v8
	s_wait_alu 0xfffd
	v_cndmask_b32_e32 v8, 0x7f800000, v9, vcc_lo
	v_sub_f32_e32 v9, v129, v29
	s_delay_alu instid0(VALU_DEP_1) | instskip(SKIP_1) | instid1(VALU_DEP_2)
	v_mul_f32_e32 v127, 0x3fb8aa3b, v9
	v_cmp_ngt_f32_e32 vcc_lo, 0xc2ce8ed0, v9
	v_fma_f32 v128, 0x3fb8aa3b, v9, -v127
	v_rndne_f32_e32 v129, v127
	s_delay_alu instid0(VALU_DEP_2) | instskip(NEXT) | instid1(VALU_DEP_2)
	v_fmac_f32_e32 v128, 0x32a5705f, v9
	v_sub_f32_e32 v127, v127, v129
	s_delay_alu instid0(VALU_DEP_1) | instskip(SKIP_1) | instid1(VALU_DEP_2)
	v_add_f32_e32 v127, v127, v128
	v_cvt_i32_f32_e32 v128, v129
	v_exp_f32_e32 v127, v127
	s_delay_alu instid0(TRANS32_DEP_1) | instskip(SKIP_1) | instid1(VALU_DEP_1)
	v_ldexp_f32 v127, v127, v128
	s_wait_alu 0xfffd
	v_cndmask_b32_e32 v127, 0, v127, vcc_lo
	v_cmp_nlt_f32_e32 vcc_lo, 0x42b17218, v9
	s_wait_alu 0xfffd
	s_delay_alu instid0(VALU_DEP_2) | instskip(NEXT) | instid1(VALU_DEP_1)
	v_cndmask_b32_e32 v9, 0x7f800000, v127, vcc_lo
	v_fma_f32 v40, v40, v8, v9
	v_cvt_f16_f32_e32 v8, v8
	v_cvt_f16_f32_e32 v9, v9
	s_delay_alu instid0(VALU_DEP_2) | instskip(SKIP_2) | instid1(VALU_DEP_1)
	v_and_b32_e32 v8, 0xffff, v8
	ds_store_b16 v34, v9 offset:256
	v_mul_u32_u24_e32 v8, 0x10001, v8
	v_pk_mul_f16 v127, v10, v8
	v_pk_mul_f16 v11, v11, v8
	ds_load_u16 v8, v46
	ds_load_u16 v133, v46 offset:16
	ds_load_u16 v128, v46 offset:32
	;; [unrolled: 1-line block ×3, first 2 shown]
	s_wait_dscnt 0x3
	v_mul_u32_u24_e32 v134, 0x10001, v8
	ds_load_u16 v8, v46 offset:256
	s_wait_dscnt 0x3
	v_mul_u32_u24_e32 v133, 0x10001, v133
	s_wait_dscnt 0x2
	v_mul_u32_u24_e32 v128, 0x10001, v128
	;; [unrolled: 2-line block ×3, first 2 shown]
	v_add_co_u32 v8, vcc_lo, v120, s46
	s_wait_alu 0xfffd
	v_add_co_ci_u32_e64 v9, null, 0, v121, vcc_lo
	v_add_co_u32 v129, vcc_lo, v118, s46
	s_wait_alu 0xfffd
	v_add_co_ci_u32_e64 v130, null, 0, v119, vcc_lo
	global_load_u16 v8, v[8:9], off
	global_load_b32 v129, v[129:130], off
	s_wait_loadcnt 0x1
	v_mul_u32_u24_e32 v8, 0x10001, v8
	s_wait_loadcnt 0x0
	v_ashrrev_i32_e32 v129, v41, v129
	s_delay_alu instid0(VALU_DEP_1) | instskip(NEXT) | instid1(VALU_DEP_1)
	v_and_b32_e32 v129, 0xf0f0f0f, v129
	v_lshrrev_b32_e32 v130, 16, v129
	s_delay_alu instid0(VALU_DEP_1) | instskip(SKIP_1) | instid1(VALU_DEP_1)
	v_and_b32_e32 v136, 0xf00, v130
	v_lshlrev_b16 v130, 8, v130
	v_add_nc_u16 v130, 0xf800, v130
	s_delay_alu instid0(VALU_DEP_1) | instskip(NEXT) | instid1(VALU_DEP_1)
	v_lshrrev_b16 v130, 8, v130
	v_or_b32_e32 v130, v136, v130
	v_and_b32_e32 v136, 0xf00, v129
	v_lshlrev_b16 v129, 8, v129
	s_delay_alu instid0(VALU_DEP_3) | instskip(NEXT) | instid1(VALU_DEP_2)
	v_add_nc_u16 v130, 0xf800, v130
	v_add_nc_u16 v129, 0xf800, v129
	s_delay_alu instid0(VALU_DEP_1) | instskip(NEXT) | instid1(VALU_DEP_1)
	v_lshrrev_b16 v129, 8, v129
	v_or_b32_e32 v129, v136, v129
	s_delay_alu instid0(VALU_DEP_1) | instskip(NEXT) | instid1(VALU_DEP_1)
	v_add_nc_u16 v129, 0xf800, v129
	v_lshrrev_b32_e32 v9, 8, v129
	v_bfe_i32 v129, v129, 0, 8
	s_delay_alu instid0(VALU_DEP_2) | instskip(NEXT) | instid1(VALU_DEP_2)
	v_bfe_i32 v9, v9, 0, 8
	v_cvt_f16_i16_e64 v129, v129
	s_delay_alu instid0(VALU_DEP_2) | instskip(NEXT) | instid1(VALU_DEP_1)
	v_cvt_f16_i16_e32 v9, v9
	v_pack_b32_f16 v9, v129, v9
	v_lshrrev_b32_e32 v129, 8, v130
	v_bfe_i32 v130, v130, 0, 8
	s_delay_alu instid0(VALU_DEP_3) | instskip(NEXT) | instid1(VALU_DEP_3)
	v_pk_mul_f16 v9, v9, v8
	v_bfe_i32 v129, v129, 0, 8
	s_delay_alu instid0(VALU_DEP_3) | instskip(NEXT) | instid1(VALU_DEP_3)
	v_cvt_f16_i16_e64 v130, v130
	v_pk_fma_f16 v139, v9, v134, v131
	s_delay_alu instid0(VALU_DEP_3) | instskip(SKIP_1) | instid1(VALU_DEP_2)
	v_cvt_f16_i16_e64 v129, v129
	v_pk_fma_f16 v140, v9, v135, v127
	v_pack_b32_f16 v129, v130, v129
	s_delay_alu instid0(VALU_DEP_1) | instskip(NEXT) | instid1(VALU_DEP_1)
	v_pk_mul_f16 v8, v129, v8
	v_pk_fma_f16 v141, v8, v134, v132
	v_pk_fma_f16 v142, v8, v135, v11
	ds_load_u16 v135, v47 offset:4
	ds_load_u16 v143, v47 offset:8
	;; [unrolled: 1-line block ×12, first 2 shown]
	s_wait_dscnt 0xb
	v_mul_u32_u24_e32 v145, 0x10001, v135
	ds_load_u16 v135, v47 offset:260
	s_wait_dscnt 0xb
	v_mul_u32_u24_e32 v143, 0x10001, v143
	s_wait_dscnt 0x3
	v_mul_u32_u24_e32 v11, 0x10001, v11
	;; [unrolled: 2-line block ×3, first 2 shown]
	v_add_co_u32 v135, vcc_lo, v116, s46
	s_wait_alu 0xfffd
	v_add_co_ci_u32_e64 v136, null, 0, v117, vcc_lo
	v_add_co_u32 v137, vcc_lo, v114, s46
	s_wait_alu 0xfffd
	v_add_co_ci_u32_e64 v138, null, 0, v115, vcc_lo
	global_load_u16 v135, v[135:136], off
	global_load_b32 v137, v[137:138], off
	s_wait_loadcnt 0x1
	v_mul_u32_u24_e32 v135, 0x10001, v135
	s_wait_loadcnt 0x0
	v_ashrrev_i32_e32 v137, v41, v137
	s_delay_alu instid0(VALU_DEP_1) | instskip(NEXT) | instid1(VALU_DEP_1)
	v_and_b32_e32 v137, 0xf0f0f0f, v137
	v_lshrrev_b32_e32 v138, 16, v137
	s_delay_alu instid0(VALU_DEP_1) | instskip(SKIP_1) | instid1(VALU_DEP_1)
	v_and_b32_e32 v147, 0xf00, v138
	v_lshlrev_b16 v138, 8, v138
	v_add_nc_u16 v138, 0xf800, v138
	s_delay_alu instid0(VALU_DEP_1) | instskip(NEXT) | instid1(VALU_DEP_1)
	v_lshrrev_b16 v138, 8, v138
	v_or_b32_e32 v138, v147, v138
	v_and_b32_e32 v147, 0xf00, v137
	v_lshlrev_b16 v137, 8, v137
	s_delay_alu instid0(VALU_DEP_3) | instskip(NEXT) | instid1(VALU_DEP_2)
	v_add_nc_u16 v138, 0xf800, v138
	v_add_nc_u16 v137, 0xf800, v137
	s_delay_alu instid0(VALU_DEP_1) | instskip(NEXT) | instid1(VALU_DEP_1)
	v_lshrrev_b16 v137, 8, v137
	v_or_b32_e32 v137, v147, v137
	s_delay_alu instid0(VALU_DEP_1) | instskip(NEXT) | instid1(VALU_DEP_1)
	v_add_nc_u16 v137, 0xf800, v137
	v_lshrrev_b32_e32 v136, 8, v137
	v_bfe_i32 v137, v137, 0, 8
	s_delay_alu instid0(VALU_DEP_2) | instskip(NEXT) | instid1(VALU_DEP_2)
	v_bfe_i32 v136, v136, 0, 8
	v_cvt_f16_i16_e64 v137, v137
	s_delay_alu instid0(VALU_DEP_2) | instskip(NEXT) | instid1(VALU_DEP_1)
	v_cvt_f16_i16_e64 v136, v136
	v_pack_b32_f16 v136, v137, v136
	v_lshrrev_b32_e32 v137, 8, v138
	v_bfe_i32 v138, v138, 0, 8
	s_delay_alu instid0(VALU_DEP_3) | instskip(NEXT) | instid1(VALU_DEP_3)
	v_pk_mul_f16 v136, v136, v135
	v_bfe_i32 v137, v137, 0, 8
	s_delay_alu instid0(VALU_DEP_3) | instskip(NEXT) | instid1(VALU_DEP_3)
	v_cvt_f16_i16_e64 v138, v138
	v_pk_fma_f16 v139, v136, v145, v139
	s_delay_alu instid0(VALU_DEP_3) | instskip(SKIP_1) | instid1(VALU_DEP_2)
	v_cvt_f16_i16_e64 v137, v137
	v_pk_fma_f16 v140, v136, v146, v140
	v_pack_b32_f16 v137, v138, v137
	s_delay_alu instid0(VALU_DEP_1) | instskip(NEXT) | instid1(VALU_DEP_1)
	v_pk_mul_f16 v135, v137, v135
	v_pk_fma_f16 v141, v135, v145, v141
	v_pk_fma_f16 v142, v135, v146, v142
	ds_load_u16 v135, v47 offset:264
	s_wait_dscnt 0x0
	v_mul_u32_u24_e32 v145, 0x10001, v135
	v_add_co_u32 v135, vcc_lo, v112, s46
	s_wait_alu 0xfffd
	v_add_co_ci_u32_e64 v136, null, 0, v113, vcc_lo
	v_add_co_u32 v137, vcc_lo, v110, s46
	s_wait_alu 0xfffd
	v_add_co_ci_u32_e64 v138, null, 0, v111, vcc_lo
	global_load_u16 v135, v[135:136], off
	global_load_b32 v137, v[137:138], off
	s_wait_loadcnt 0x1
	v_mul_u32_u24_e32 v135, 0x10001, v135
	s_wait_loadcnt 0x0
	v_ashrrev_i32_e32 v137, v41, v137
	s_delay_alu instid0(VALU_DEP_1) | instskip(NEXT) | instid1(VALU_DEP_1)
	v_and_b32_e32 v137, 0xf0f0f0f, v137
	v_lshrrev_b32_e32 v138, 16, v137
	s_delay_alu instid0(VALU_DEP_1) | instskip(SKIP_1) | instid1(VALU_DEP_1)
	v_and_b32_e32 v146, 0xf00, v138
	v_lshlrev_b16 v138, 8, v138
	v_add_nc_u16 v138, 0xf800, v138
	s_delay_alu instid0(VALU_DEP_1) | instskip(NEXT) | instid1(VALU_DEP_1)
	v_lshrrev_b16 v138, 8, v138
	v_or_b32_e32 v138, v146, v138
	v_and_b32_e32 v146, 0xf00, v137
	v_lshlrev_b16 v137, 8, v137
	s_delay_alu instid0(VALU_DEP_3) | instskip(NEXT) | instid1(VALU_DEP_2)
	v_add_nc_u16 v138, 0xf800, v138
	v_add_nc_u16 v137, 0xf800, v137
	s_delay_alu instid0(VALU_DEP_1) | instskip(NEXT) | instid1(VALU_DEP_1)
	v_lshrrev_b16 v137, 8, v137
	v_or_b32_e32 v137, v146, v137
	s_delay_alu instid0(VALU_DEP_1) | instskip(NEXT) | instid1(VALU_DEP_1)
	v_add_nc_u16 v137, 0xf800, v137
	v_lshrrev_b32_e32 v136, 8, v137
	v_bfe_i32 v137, v137, 0, 8
	s_delay_alu instid0(VALU_DEP_2) | instskip(NEXT) | instid1(VALU_DEP_2)
	v_bfe_i32 v136, v136, 0, 8
	v_cvt_f16_i16_e64 v137, v137
	s_delay_alu instid0(VALU_DEP_2) | instskip(NEXT) | instid1(VALU_DEP_1)
	v_cvt_f16_i16_e64 v136, v136
	v_pack_b32_f16 v136, v137, v136
	v_lshrrev_b32_e32 v137, 8, v138
	v_bfe_i32 v138, v138, 0, 8
	s_delay_alu instid0(VALU_DEP_3) | instskip(NEXT) | instid1(VALU_DEP_3)
	v_pk_mul_f16 v136, v136, v135
	v_bfe_i32 v137, v137, 0, 8
	s_delay_alu instid0(VALU_DEP_3) | instskip(NEXT) | instid1(VALU_DEP_3)
	v_cvt_f16_i16_e64 v138, v138
	v_pk_fma_f16 v139, v136, v143, v139
	s_delay_alu instid0(VALU_DEP_3) | instskip(SKIP_1) | instid1(VALU_DEP_2)
	v_cvt_f16_i16_e64 v137, v137
	v_pk_fma_f16 v140, v136, v145, v140
	v_pack_b32_f16 v137, v138, v137
	s_delay_alu instid0(VALU_DEP_1) | instskip(NEXT) | instid1(VALU_DEP_1)
	v_pk_mul_f16 v135, v137, v135
	v_pk_fma_f16 v141, v135, v143, v141
	v_pk_fma_f16 v142, v135, v145, v142
	ds_load_u16 v135, v47 offset:268
	v_mul_u32_u24_e32 v143, 0x10001, v144
	s_wait_dscnt 0x0
	v_mul_u32_u24_e32 v144, 0x10001, v135
	v_add_co_u32 v135, vcc_lo, v108, s46
	s_wait_alu 0xfffd
	v_add_co_ci_u32_e64 v136, null, 0, v109, vcc_lo
	v_add_co_u32 v137, vcc_lo, v106, s46
	s_wait_alu 0xfffd
	v_add_co_ci_u32_e64 v138, null, 0, v107, vcc_lo
	global_load_u16 v135, v[135:136], off
	global_load_b32 v137, v[137:138], off
	s_wait_loadcnt 0x1
	v_mul_u32_u24_e32 v135, 0x10001, v135
	s_wait_loadcnt 0x0
	v_ashrrev_i32_e32 v137, v41, v137
	s_delay_alu instid0(VALU_DEP_1) | instskip(NEXT) | instid1(VALU_DEP_1)
	v_and_b32_e32 v137, 0xf0f0f0f, v137
	v_lshrrev_b32_e32 v138, 16, v137
	s_delay_alu instid0(VALU_DEP_1) | instskip(SKIP_1) | instid1(VALU_DEP_1)
	v_and_b32_e32 v145, 0xf00, v138
	v_lshlrev_b16 v138, 8, v138
	v_add_nc_u16 v138, 0xf800, v138
	s_delay_alu instid0(VALU_DEP_1) | instskip(NEXT) | instid1(VALU_DEP_1)
	v_lshrrev_b16 v138, 8, v138
	v_or_b32_e32 v138, v145, v138
	v_and_b32_e32 v145, 0xf00, v137
	v_lshlrev_b16 v137, 8, v137
	s_delay_alu instid0(VALU_DEP_3) | instskip(NEXT) | instid1(VALU_DEP_2)
	v_add_nc_u16 v138, 0xf800, v138
	v_add_nc_u16 v137, 0xf800, v137
	s_delay_alu instid0(VALU_DEP_1) | instskip(NEXT) | instid1(VALU_DEP_1)
	v_lshrrev_b16 v137, 8, v137
	v_or_b32_e32 v137, v145, v137
	s_delay_alu instid0(VALU_DEP_1) | instskip(NEXT) | instid1(VALU_DEP_1)
	v_add_nc_u16 v137, 0xf800, v137
	v_lshrrev_b32_e32 v136, 8, v137
	v_bfe_i32 v137, v137, 0, 8
	s_delay_alu instid0(VALU_DEP_2) | instskip(NEXT) | instid1(VALU_DEP_2)
	v_bfe_i32 v136, v136, 0, 8
	v_cvt_f16_i16_e64 v137, v137
	s_delay_alu instid0(VALU_DEP_2) | instskip(NEXT) | instid1(VALU_DEP_1)
	v_cvt_f16_i16_e64 v136, v136
	v_pack_b32_f16 v136, v137, v136
	v_lshrrev_b32_e32 v137, 8, v138
	v_bfe_i32 v138, v138, 0, 8
	s_delay_alu instid0(VALU_DEP_3) | instskip(NEXT) | instid1(VALU_DEP_3)
	v_pk_mul_f16 v136, v136, v135
	v_bfe_i32 v137, v137, 0, 8
	s_delay_alu instid0(VALU_DEP_3) | instskip(NEXT) | instid1(VALU_DEP_3)
	v_cvt_f16_i16_e64 v138, v138
	v_pk_fma_f16 v139, v136, v143, v139
	s_delay_alu instid0(VALU_DEP_3) | instskip(SKIP_1) | instid1(VALU_DEP_2)
	v_cvt_f16_i16_e64 v137, v137
	v_pk_fma_f16 v140, v136, v144, v140
	v_pack_b32_f16 v137, v138, v137
	s_delay_alu instid0(VALU_DEP_1) | instskip(NEXT) | instid1(VALU_DEP_1)
	v_pk_mul_f16 v135, v137, v135
	v_pk_fma_f16 v141, v135, v143, v141
	v_pk_fma_f16 v142, v135, v144, v142
	ds_load_u16 v135, v46 offset:272
	s_wait_dscnt 0x0
	v_mul_u32_u24_e32 v143, 0x10001, v135
	v_add_co_u32 v135, vcc_lo, v104, s46
	s_wait_alu 0xfffd
	v_add_co_ci_u32_e64 v136, null, 0, v105, vcc_lo
	v_add_co_u32 v137, vcc_lo, v102, s46
	s_wait_alu 0xfffd
	v_add_co_ci_u32_e64 v138, null, 0, v103, vcc_lo
	global_load_u16 v135, v[135:136], off
	global_load_b32 v137, v[137:138], off
	s_wait_loadcnt 0x1
	v_mul_u32_u24_e32 v135, 0x10001, v135
	s_wait_loadcnt 0x0
	v_ashrrev_i32_e32 v137, v41, v137
	s_delay_alu instid0(VALU_DEP_1) | instskip(NEXT) | instid1(VALU_DEP_1)
	v_and_b32_e32 v137, 0xf0f0f0f, v137
	v_lshrrev_b32_e32 v138, 16, v137
	s_delay_alu instid0(VALU_DEP_1) | instskip(SKIP_1) | instid1(VALU_DEP_1)
	v_and_b32_e32 v144, 0xf00, v138
	v_lshlrev_b16 v138, 8, v138
	v_add_nc_u16 v138, 0xf800, v138
	s_delay_alu instid0(VALU_DEP_1) | instskip(NEXT) | instid1(VALU_DEP_1)
	v_lshrrev_b16 v138, 8, v138
	v_or_b32_e32 v138, v144, v138
	v_and_b32_e32 v144, 0xf00, v137
	v_lshlrev_b16 v137, 8, v137
	s_delay_alu instid0(VALU_DEP_3) | instskip(NEXT) | instid1(VALU_DEP_2)
	v_add_nc_u16 v138, 0xf800, v138
	v_add_nc_u16 v137, 0xf800, v137
	s_delay_alu instid0(VALU_DEP_1) | instskip(NEXT) | instid1(VALU_DEP_1)
	v_lshrrev_b16 v137, 8, v137
	v_or_b32_e32 v137, v144, v137
	s_delay_alu instid0(VALU_DEP_1) | instskip(NEXT) | instid1(VALU_DEP_1)
	v_add_nc_u16 v137, 0xf800, v137
	v_lshrrev_b32_e32 v136, 8, v137
	v_bfe_i32 v137, v137, 0, 8
	s_delay_alu instid0(VALU_DEP_2) | instskip(NEXT) | instid1(VALU_DEP_2)
	v_bfe_i32 v136, v136, 0, 8
	v_cvt_f16_i16_e64 v137, v137
	s_delay_alu instid0(VALU_DEP_2) | instskip(NEXT) | instid1(VALU_DEP_1)
	v_cvt_f16_i16_e64 v136, v136
	v_pack_b32_f16 v136, v137, v136
	v_lshrrev_b32_e32 v137, 8, v138
	v_bfe_i32 v138, v138, 0, 8
	s_delay_alu instid0(VALU_DEP_3) | instskip(NEXT) | instid1(VALU_DEP_3)
	v_pk_mul_f16 v136, v136, v135
	v_bfe_i32 v137, v137, 0, 8
	s_delay_alu instid0(VALU_DEP_3) | instskip(NEXT) | instid1(VALU_DEP_2)
	v_cvt_f16_i16_e64 v138, v138
	v_cvt_f16_i16_e64 v137, v137
	s_delay_alu instid0(VALU_DEP_1) | instskip(SKIP_1) | instid1(VALU_DEP_2)
	v_pack_b32_f16 v137, v138, v137
	v_pk_fma_f16 v138, v136, v143, v140
	v_pk_mul_f16 v135, v137, v135
	v_pk_fma_f16 v137, v136, v133, v139
	s_delay_alu instid0(VALU_DEP_2)
	v_pk_fma_f16 v139, v135, v133, v141
	ds_load_u16 v133, v47 offset:276
	v_pk_fma_f16 v140, v135, v143, v142
	v_mul_u32_u24_e32 v141, 0x10001, v134
	s_wait_dscnt 0x0
	v_mul_u32_u24_e32 v142, 0x10001, v133
	v_add_co_u32 v133, vcc_lo, v100, s46
	s_wait_alu 0xfffd
	v_add_co_ci_u32_e64 v134, null, 0, v101, vcc_lo
	v_add_co_u32 v135, vcc_lo, v98, s46
	s_wait_alu 0xfffd
	v_add_co_ci_u32_e64 v136, null, 0, v99, vcc_lo
	global_load_u16 v133, v[133:134], off
	global_load_b32 v135, v[135:136], off
	s_wait_loadcnt 0x1
	v_mul_u32_u24_e32 v133, 0x10001, v133
	s_wait_loadcnt 0x0
	v_ashrrev_i32_e32 v135, v41, v135
	s_delay_alu instid0(VALU_DEP_1) | instskip(NEXT) | instid1(VALU_DEP_1)
	v_and_b32_e32 v135, 0xf0f0f0f, v135
	v_lshrrev_b32_e32 v136, 16, v135
	s_delay_alu instid0(VALU_DEP_1) | instskip(SKIP_1) | instid1(VALU_DEP_1)
	v_and_b32_e32 v143, 0xf00, v136
	v_lshlrev_b16 v136, 8, v136
	v_add_nc_u16 v136, 0xf800, v136
	s_delay_alu instid0(VALU_DEP_1) | instskip(NEXT) | instid1(VALU_DEP_1)
	v_lshrrev_b16 v136, 8, v136
	v_or_b32_e32 v136, v143, v136
	v_and_b32_e32 v143, 0xf00, v135
	v_lshlrev_b16 v135, 8, v135
	s_delay_alu instid0(VALU_DEP_3) | instskip(NEXT) | instid1(VALU_DEP_2)
	v_add_nc_u16 v136, 0xf800, v136
	v_add_nc_u16 v135, 0xf800, v135
	s_delay_alu instid0(VALU_DEP_1) | instskip(NEXT) | instid1(VALU_DEP_1)
	v_lshrrev_b16 v135, 8, v135
	v_or_b32_e32 v135, v143, v135
	s_delay_alu instid0(VALU_DEP_1) | instskip(NEXT) | instid1(VALU_DEP_1)
	v_add_nc_u16 v135, 0xf800, v135
	v_lshrrev_b32_e32 v134, 8, v135
	v_bfe_i32 v135, v135, 0, 8
	s_delay_alu instid0(VALU_DEP_2) | instskip(NEXT) | instid1(VALU_DEP_2)
	v_bfe_i32 v134, v134, 0, 8
	v_cvt_f16_i16_e64 v135, v135
	s_delay_alu instid0(VALU_DEP_2) | instskip(NEXT) | instid1(VALU_DEP_1)
	v_cvt_f16_i16_e64 v134, v134
	v_pack_b32_f16 v134, v135, v134
	v_lshrrev_b32_e32 v135, 8, v136
	v_bfe_i32 v136, v136, 0, 8
	s_delay_alu instid0(VALU_DEP_3) | instskip(NEXT) | instid1(VALU_DEP_3)
	v_pk_mul_f16 v134, v134, v133
	v_bfe_i32 v135, v135, 0, 8
	s_delay_alu instid0(VALU_DEP_3) | instskip(NEXT) | instid1(VALU_DEP_2)
	v_cvt_f16_i16_e64 v136, v136
	v_cvt_f16_i16_e64 v135, v135
	s_delay_alu instid0(VALU_DEP_1) | instskip(SKIP_2) | instid1(VALU_DEP_3)
	v_pack_b32_f16 v135, v136, v135
	v_pk_fma_f16 v136, v134, v141, v137
	v_pk_fma_f16 v137, v134, v142, v138
	v_pk_mul_f16 v133, v135, v133
	s_delay_alu instid0(VALU_DEP_1)
	v_pk_fma_f16 v138, v133, v141, v139
	v_pk_fma_f16 v139, v133, v142, v140
	v_mul_u32_u24_e32 v140, 0x10001, v132
	ds_load_u16 v132, v47 offset:280
	s_wait_dscnt 0x0
	v_mul_u32_u24_e32 v141, 0x10001, v132
	v_add_co_u32 v132, vcc_lo, v96, s46
	s_wait_alu 0xfffd
	v_add_co_ci_u32_e64 v133, null, 0, v97, vcc_lo
	v_add_co_u32 v134, vcc_lo, v94, s46
	s_wait_alu 0xfffd
	v_add_co_ci_u32_e64 v135, null, 0, v95, vcc_lo
	global_load_u16 v132, v[132:133], off
	global_load_b32 v134, v[134:135], off
	s_wait_loadcnt 0x1
	v_mul_u32_u24_e32 v132, 0x10001, v132
	s_wait_loadcnt 0x0
	v_ashrrev_i32_e32 v134, v41, v134
	s_delay_alu instid0(VALU_DEP_1) | instskip(NEXT) | instid1(VALU_DEP_1)
	v_and_b32_e32 v134, 0xf0f0f0f, v134
	v_lshrrev_b32_e32 v135, 16, v134
	s_delay_alu instid0(VALU_DEP_1) | instskip(SKIP_1) | instid1(VALU_DEP_1)
	v_and_b32_e32 v142, 0xf00, v135
	v_lshlrev_b16 v135, 8, v135
	v_add_nc_u16 v135, 0xf800, v135
	s_delay_alu instid0(VALU_DEP_1) | instskip(NEXT) | instid1(VALU_DEP_1)
	v_lshrrev_b16 v135, 8, v135
	v_or_b32_e32 v135, v142, v135
	v_and_b32_e32 v142, 0xf00, v134
	v_lshlrev_b16 v134, 8, v134
	s_delay_alu instid0(VALU_DEP_3) | instskip(NEXT) | instid1(VALU_DEP_2)
	v_add_nc_u16 v135, 0xf800, v135
	v_add_nc_u16 v134, 0xf800, v134
	s_delay_alu instid0(VALU_DEP_1) | instskip(NEXT) | instid1(VALU_DEP_1)
	v_lshrrev_b16 v134, 8, v134
	v_or_b32_e32 v134, v142, v134
	s_delay_alu instid0(VALU_DEP_1) | instskip(NEXT) | instid1(VALU_DEP_1)
	v_add_nc_u16 v134, 0xf800, v134
	v_lshrrev_b32_e32 v133, 8, v134
	v_bfe_i32 v134, v134, 0, 8
	s_delay_alu instid0(VALU_DEP_2) | instskip(NEXT) | instid1(VALU_DEP_2)
	v_bfe_i32 v133, v133, 0, 8
	v_cvt_f16_i16_e64 v134, v134
	s_delay_alu instid0(VALU_DEP_2) | instskip(NEXT) | instid1(VALU_DEP_1)
	v_cvt_f16_i16_e64 v133, v133
	v_pack_b32_f16 v133, v134, v133
	v_lshrrev_b32_e32 v134, 8, v135
	v_bfe_i32 v135, v135, 0, 8
	s_delay_alu instid0(VALU_DEP_3) | instskip(NEXT) | instid1(VALU_DEP_3)
	v_pk_mul_f16 v133, v133, v132
	v_bfe_i32 v134, v134, 0, 8
	s_delay_alu instid0(VALU_DEP_3) | instskip(NEXT) | instid1(VALU_DEP_2)
	v_cvt_f16_i16_e64 v135, v135
	v_cvt_f16_i16_e64 v134, v134
	s_delay_alu instid0(VALU_DEP_1) | instskip(SKIP_2) | instid1(VALU_DEP_3)
	v_pack_b32_f16 v134, v135, v134
	v_pk_fma_f16 v135, v133, v140, v136
	v_pk_fma_f16 v136, v133, v141, v137
	v_pk_mul_f16 v132, v134, v132
	s_delay_alu instid0(VALU_DEP_1)
	v_pk_fma_f16 v137, v132, v140, v138
	v_pk_fma_f16 v138, v132, v141, v139
	v_mul_u32_u24_e32 v139, 0x10001, v131
	ds_load_u16 v131, v47 offset:284
	s_wait_dscnt 0x0
	v_mul_u32_u24_e32 v140, 0x10001, v131
	v_add_co_u32 v131, vcc_lo, v92, s46
	s_wait_alu 0xfffd
	v_add_co_ci_u32_e64 v132, null, 0, v93, vcc_lo
	v_add_co_u32 v133, vcc_lo, v90, s46
	s_wait_alu 0xfffd
	v_add_co_ci_u32_e64 v134, null, 0, v91, vcc_lo
	global_load_u16 v131, v[131:132], off
	global_load_b32 v133, v[133:134], off
	s_wait_loadcnt 0x1
	v_mul_u32_u24_e32 v131, 0x10001, v131
	s_wait_loadcnt 0x0
	v_ashrrev_i32_e32 v133, v41, v133
	s_delay_alu instid0(VALU_DEP_1) | instskip(NEXT) | instid1(VALU_DEP_1)
	v_and_b32_e32 v133, 0xf0f0f0f, v133
	v_lshrrev_b32_e32 v134, 16, v133
	s_delay_alu instid0(VALU_DEP_1) | instskip(SKIP_1) | instid1(VALU_DEP_1)
	v_and_b32_e32 v141, 0xf00, v134
	v_lshlrev_b16 v134, 8, v134
	v_add_nc_u16 v134, 0xf800, v134
	s_delay_alu instid0(VALU_DEP_1) | instskip(NEXT) | instid1(VALU_DEP_1)
	v_lshrrev_b16 v134, 8, v134
	v_or_b32_e32 v134, v141, v134
	v_and_b32_e32 v141, 0xf00, v133
	v_lshlrev_b16 v133, 8, v133
	s_delay_alu instid0(VALU_DEP_3) | instskip(NEXT) | instid1(VALU_DEP_2)
	v_add_nc_u16 v134, 0xf800, v134
	v_add_nc_u16 v133, 0xf800, v133
	s_delay_alu instid0(VALU_DEP_1) | instskip(NEXT) | instid1(VALU_DEP_1)
	v_lshrrev_b16 v133, 8, v133
	v_or_b32_e32 v133, v141, v133
	s_delay_alu instid0(VALU_DEP_1) | instskip(NEXT) | instid1(VALU_DEP_1)
	v_add_nc_u16 v133, 0xf800, v133
	v_lshrrev_b32_e32 v132, 8, v133
	v_bfe_i32 v133, v133, 0, 8
	s_delay_alu instid0(VALU_DEP_2) | instskip(NEXT) | instid1(VALU_DEP_2)
	v_bfe_i32 v132, v132, 0, 8
	v_cvt_f16_i16_e64 v133, v133
	s_delay_alu instid0(VALU_DEP_2) | instskip(NEXT) | instid1(VALU_DEP_1)
	v_cvt_f16_i16_e64 v132, v132
	v_pack_b32_f16 v132, v133, v132
	v_lshrrev_b32_e32 v133, 8, v134
	v_bfe_i32 v134, v134, 0, 8
	s_delay_alu instid0(VALU_DEP_3) | instskip(NEXT) | instid1(VALU_DEP_3)
	v_pk_mul_f16 v132, v132, v131
	v_bfe_i32 v133, v133, 0, 8
	s_delay_alu instid0(VALU_DEP_3) | instskip(NEXT) | instid1(VALU_DEP_3)
	v_cvt_f16_i16_e64 v134, v134
	v_pk_fma_f16 v135, v132, v139, v135
	s_delay_alu instid0(VALU_DEP_3) | instskip(SKIP_1) | instid1(VALU_DEP_2)
	v_cvt_f16_i16_e64 v133, v133
	v_pk_fma_f16 v136, v132, v140, v136
	v_pack_b32_f16 v133, v134, v133
	s_delay_alu instid0(VALU_DEP_1) | instskip(NEXT) | instid1(VALU_DEP_1)
	v_pk_mul_f16 v131, v133, v131
	v_pk_fma_f16 v137, v131, v139, v137
	v_pk_fma_f16 v138, v131, v140, v138
	ds_load_u16 v131, v46 offset:288
	s_wait_dscnt 0x0
	v_mul_u32_u24_e32 v139, 0x10001, v131
	v_add_co_u32 v131, vcc_lo, v88, s46
	s_wait_alu 0xfffd
	v_add_co_ci_u32_e64 v132, null, 0, v89, vcc_lo
	v_add_co_u32 v133, vcc_lo, v86, s46
	s_wait_alu 0xfffd
	v_add_co_ci_u32_e64 v134, null, 0, v87, vcc_lo
	global_load_u16 v131, v[131:132], off
	global_load_b32 v133, v[133:134], off
	s_wait_loadcnt 0x1
	v_mul_u32_u24_e32 v131, 0x10001, v131
	s_wait_loadcnt 0x0
	v_ashrrev_i32_e32 v133, v41, v133
	s_delay_alu instid0(VALU_DEP_1) | instskip(NEXT) | instid1(VALU_DEP_1)
	v_and_b32_e32 v133, 0xf0f0f0f, v133
	v_lshrrev_b32_e32 v134, 16, v133
	s_delay_alu instid0(VALU_DEP_1) | instskip(SKIP_1) | instid1(VALU_DEP_1)
	v_and_b32_e32 v140, 0xf00, v134
	v_lshlrev_b16 v134, 8, v134
	v_add_nc_u16 v134, 0xf800, v134
	s_delay_alu instid0(VALU_DEP_1) | instskip(NEXT) | instid1(VALU_DEP_1)
	v_lshrrev_b16 v134, 8, v134
	v_or_b32_e32 v134, v140, v134
	v_and_b32_e32 v140, 0xf00, v133
	v_lshlrev_b16 v133, 8, v133
	s_delay_alu instid0(VALU_DEP_3) | instskip(NEXT) | instid1(VALU_DEP_2)
	v_add_nc_u16 v134, 0xf800, v134
	v_add_nc_u16 v133, 0xf800, v133
	s_delay_alu instid0(VALU_DEP_1) | instskip(NEXT) | instid1(VALU_DEP_1)
	v_lshrrev_b16 v133, 8, v133
	v_or_b32_e32 v133, v140, v133
	s_delay_alu instid0(VALU_DEP_1) | instskip(NEXT) | instid1(VALU_DEP_1)
	v_add_nc_u16 v133, 0xf800, v133
	v_lshrrev_b32_e32 v132, 8, v133
	v_bfe_i32 v133, v133, 0, 8
	s_delay_alu instid0(VALU_DEP_2) | instskip(NEXT) | instid1(VALU_DEP_2)
	v_bfe_i32 v132, v132, 0, 8
	v_cvt_f16_i16_e64 v133, v133
	s_delay_alu instid0(VALU_DEP_2) | instskip(NEXT) | instid1(VALU_DEP_1)
	v_cvt_f16_i16_e64 v132, v132
	v_pack_b32_f16 v132, v133, v132
	v_lshrrev_b32_e32 v133, 8, v134
	v_bfe_i32 v134, v134, 0, 8
	s_delay_alu instid0(VALU_DEP_3) | instskip(NEXT) | instid1(VALU_DEP_3)
	v_pk_mul_f16 v132, v132, v131
	v_bfe_i32 v133, v133, 0, 8
	s_delay_alu instid0(VALU_DEP_3) | instskip(NEXT) | instid1(VALU_DEP_2)
	v_cvt_f16_i16_e64 v134, v134
	v_cvt_f16_i16_e64 v133, v133
	s_delay_alu instid0(VALU_DEP_1) | instskip(SKIP_2) | instid1(VALU_DEP_3)
	v_pack_b32_f16 v133, v134, v133
	v_pk_fma_f16 v134, v132, v128, v135
	v_pk_fma_f16 v135, v132, v139, v136
	v_pk_mul_f16 v131, v133, v131
	s_delay_alu instid0(VALU_DEP_1)
	v_pk_fma_f16 v128, v131, v128, v137
	v_mul_u32_u24_e32 v137, 0x10001, v130
	ds_load_u16 v130, v47 offset:292
	v_pk_fma_f16 v136, v131, v139, v138
	s_wait_dscnt 0x0
	v_mul_u32_u24_e32 v138, 0x10001, v130
	v_add_co_u32 v130, vcc_lo, v84, s46
	s_wait_alu 0xfffd
	v_add_co_ci_u32_e64 v131, null, 0, v85, vcc_lo
	v_add_co_u32 v132, vcc_lo, v82, s46
	s_wait_alu 0xfffd
	v_add_co_ci_u32_e64 v133, null, 0, v83, vcc_lo
	global_load_u16 v130, v[130:131], off
	global_load_b32 v132, v[132:133], off
	s_wait_loadcnt 0x1
	v_mul_u32_u24_e32 v130, 0x10001, v130
	s_wait_loadcnt 0x0
	v_ashrrev_i32_e32 v132, v41, v132
	s_delay_alu instid0(VALU_DEP_1) | instskip(NEXT) | instid1(VALU_DEP_1)
	v_and_b32_e32 v132, 0xf0f0f0f, v132
	v_lshrrev_b32_e32 v133, 16, v132
	s_delay_alu instid0(VALU_DEP_1) | instskip(SKIP_1) | instid1(VALU_DEP_1)
	v_and_b32_e32 v139, 0xf00, v133
	v_lshlrev_b16 v133, 8, v133
	v_add_nc_u16 v133, 0xf800, v133
	s_delay_alu instid0(VALU_DEP_1) | instskip(NEXT) | instid1(VALU_DEP_1)
	v_lshrrev_b16 v133, 8, v133
	v_or_b32_e32 v133, v139, v133
	v_and_b32_e32 v139, 0xf00, v132
	v_lshlrev_b16 v132, 8, v132
	s_delay_alu instid0(VALU_DEP_3) | instskip(NEXT) | instid1(VALU_DEP_2)
	v_add_nc_u16 v133, 0xf800, v133
	v_add_nc_u16 v132, 0xf800, v132
	s_delay_alu instid0(VALU_DEP_1) | instskip(NEXT) | instid1(VALU_DEP_1)
	v_lshrrev_b16 v132, 8, v132
	v_or_b32_e32 v132, v139, v132
	s_delay_alu instid0(VALU_DEP_1) | instskip(NEXT) | instid1(VALU_DEP_1)
	v_add_nc_u16 v132, 0xf800, v132
	v_lshrrev_b32_e32 v131, 8, v132
	v_bfe_i32 v132, v132, 0, 8
	s_delay_alu instid0(VALU_DEP_2) | instskip(NEXT) | instid1(VALU_DEP_2)
	v_bfe_i32 v131, v131, 0, 8
	v_cvt_f16_i16_e64 v132, v132
	s_delay_alu instid0(VALU_DEP_2) | instskip(NEXT) | instid1(VALU_DEP_1)
	v_cvt_f16_i16_e64 v131, v131
	v_pack_b32_f16 v131, v132, v131
	v_lshrrev_b32_e32 v132, 8, v133
	v_bfe_i32 v133, v133, 0, 8
	s_delay_alu instid0(VALU_DEP_3) | instskip(NEXT) | instid1(VALU_DEP_3)
	v_pk_mul_f16 v131, v131, v130
	v_bfe_i32 v132, v132, 0, 8
	s_delay_alu instid0(VALU_DEP_3) | instskip(NEXT) | instid1(VALU_DEP_2)
	v_cvt_f16_i16_e64 v133, v133
	v_cvt_f16_i16_e64 v132, v132
	s_delay_alu instid0(VALU_DEP_1) | instskip(SKIP_1) | instid1(VALU_DEP_2)
	v_pack_b32_f16 v132, v133, v132
	v_pk_fma_f16 v133, v131, v138, v135
	v_pk_mul_f16 v130, v132, v130
	v_pk_fma_f16 v132, v131, v137, v134
	s_delay_alu instid0(VALU_DEP_2)
	v_pk_fma_f16 v134, v130, v137, v128
	ds_load_u16 v128, v47 offset:296
	v_pk_fma_f16 v135, v130, v138, v136
	v_mul_u32_u24_e32 v136, 0x10001, v129
	s_wait_dscnt 0x0
	v_mul_u32_u24_e32 v137, 0x10001, v128
	v_add_co_u32 v128, vcc_lo, v80, s46
	s_wait_alu 0xfffd
	v_add_co_ci_u32_e64 v129, null, 0, v81, vcc_lo
	v_add_co_u32 v130, vcc_lo, v78, s46
	s_wait_alu 0xfffd
	v_add_co_ci_u32_e64 v131, null, 0, v79, vcc_lo
	global_load_u16 v128, v[128:129], off
	global_load_b32 v130, v[130:131], off
	s_wait_loadcnt 0x1
	v_mul_u32_u24_e32 v128, 0x10001, v128
	s_wait_loadcnt 0x0
	v_ashrrev_i32_e32 v130, v41, v130
	s_delay_alu instid0(VALU_DEP_1) | instskip(NEXT) | instid1(VALU_DEP_1)
	v_and_b32_e32 v130, 0xf0f0f0f, v130
	v_lshrrev_b32_e32 v131, 16, v130
	s_delay_alu instid0(VALU_DEP_1) | instskip(SKIP_1) | instid1(VALU_DEP_1)
	v_and_b32_e32 v138, 0xf00, v131
	v_lshlrev_b16 v131, 8, v131
	v_add_nc_u16 v131, 0xf800, v131
	s_delay_alu instid0(VALU_DEP_1) | instskip(NEXT) | instid1(VALU_DEP_1)
	v_lshrrev_b16 v131, 8, v131
	v_or_b32_e32 v131, v138, v131
	v_and_b32_e32 v138, 0xf00, v130
	v_lshlrev_b16 v130, 8, v130
	s_delay_alu instid0(VALU_DEP_3) | instskip(NEXT) | instid1(VALU_DEP_2)
	v_add_nc_u16 v131, 0xf800, v131
	v_add_nc_u16 v130, 0xf800, v130
	s_delay_alu instid0(VALU_DEP_1) | instskip(NEXT) | instid1(VALU_DEP_1)
	v_lshrrev_b16 v130, 8, v130
	v_or_b32_e32 v130, v138, v130
	s_delay_alu instid0(VALU_DEP_1) | instskip(NEXT) | instid1(VALU_DEP_1)
	v_add_nc_u16 v130, 0xf800, v130
	v_lshrrev_b32_e32 v129, 8, v130
	v_bfe_i32 v130, v130, 0, 8
	s_delay_alu instid0(VALU_DEP_2) | instskip(NEXT) | instid1(VALU_DEP_2)
	v_bfe_i32 v129, v129, 0, 8
	v_cvt_f16_i16_e64 v130, v130
	s_delay_alu instid0(VALU_DEP_2) | instskip(NEXT) | instid1(VALU_DEP_1)
	v_cvt_f16_i16_e64 v129, v129
	v_pack_b32_f16 v129, v130, v129
	v_lshrrev_b32_e32 v130, 8, v131
	v_bfe_i32 v131, v131, 0, 8
	s_delay_alu instid0(VALU_DEP_3) | instskip(NEXT) | instid1(VALU_DEP_3)
	v_pk_mul_f16 v129, v129, v128
	v_bfe_i32 v130, v130, 0, 8
	s_delay_alu instid0(VALU_DEP_3) | instskip(NEXT) | instid1(VALU_DEP_2)
	v_cvt_f16_i16_e64 v131, v131
	v_cvt_f16_i16_e64 v130, v130
	s_delay_alu instid0(VALU_DEP_1) | instskip(SKIP_2) | instid1(VALU_DEP_3)
	v_pack_b32_f16 v130, v131, v130
	v_pk_fma_f16 v131, v129, v136, v132
	v_pk_fma_f16 v132, v129, v137, v133
	v_pk_mul_f16 v128, v130, v128
	s_delay_alu instid0(VALU_DEP_1)
	v_pk_fma_f16 v133, v128, v136, v134
	v_pk_fma_f16 v134, v128, v137, v135
	v_mul_u32_u24_e32 v135, 0x10001, v127
	ds_load_u16 v127, v47 offset:300
	s_wait_dscnt 0x0
	v_mul_u32_u24_e32 v136, 0x10001, v127
	v_add_co_u32 v127, vcc_lo, v76, s46
	s_wait_alu 0xfffd
	v_add_co_ci_u32_e64 v128, null, 0, v77, vcc_lo
	v_add_co_u32 v129, vcc_lo, v74, s46
	s_wait_alu 0xfffd
	v_add_co_ci_u32_e64 v130, null, 0, v75, vcc_lo
	global_load_u16 v127, v[127:128], off
	global_load_b32 v129, v[129:130], off
	s_wait_loadcnt 0x1
	v_mul_u32_u24_e32 v127, 0x10001, v127
	s_wait_loadcnt 0x0
	v_ashrrev_i32_e32 v129, v41, v129
	s_delay_alu instid0(VALU_DEP_1) | instskip(NEXT) | instid1(VALU_DEP_1)
	v_and_b32_e32 v129, 0xf0f0f0f, v129
	v_lshrrev_b32_e32 v130, 16, v129
	s_delay_alu instid0(VALU_DEP_1) | instskip(SKIP_1) | instid1(VALU_DEP_1)
	v_and_b32_e32 v137, 0xf00, v130
	v_lshlrev_b16 v130, 8, v130
	v_add_nc_u16 v130, 0xf800, v130
	s_delay_alu instid0(VALU_DEP_1) | instskip(NEXT) | instid1(VALU_DEP_1)
	v_lshrrev_b16 v130, 8, v130
	v_or_b32_e32 v130, v137, v130
	v_and_b32_e32 v137, 0xf00, v129
	v_lshlrev_b16 v129, 8, v129
	s_delay_alu instid0(VALU_DEP_3) | instskip(NEXT) | instid1(VALU_DEP_2)
	v_add_nc_u16 v130, 0xf800, v130
	v_add_nc_u16 v129, 0xf800, v129
	s_delay_alu instid0(VALU_DEP_1) | instskip(NEXT) | instid1(VALU_DEP_1)
	v_lshrrev_b16 v129, 8, v129
	v_or_b32_e32 v129, v137, v129
	s_delay_alu instid0(VALU_DEP_1) | instskip(NEXT) | instid1(VALU_DEP_1)
	v_add_nc_u16 v129, 0xf800, v129
	v_lshrrev_b32_e32 v128, 8, v129
	v_bfe_i32 v129, v129, 0, 8
	s_delay_alu instid0(VALU_DEP_2) | instskip(NEXT) | instid1(VALU_DEP_2)
	v_bfe_i32 v128, v128, 0, 8
	v_cvt_f16_i16_e64 v129, v129
	s_delay_alu instid0(VALU_DEP_2) | instskip(NEXT) | instid1(VALU_DEP_1)
	v_cvt_f16_i16_e64 v128, v128
	v_pack_b32_f16 v128, v129, v128
	v_lshrrev_b32_e32 v129, 8, v130
	v_bfe_i32 v130, v130, 0, 8
	s_delay_alu instid0(VALU_DEP_3) | instskip(NEXT) | instid1(VALU_DEP_3)
	v_pk_mul_f16 v128, v128, v127
	v_bfe_i32 v129, v129, 0, 8
	s_delay_alu instid0(VALU_DEP_3) | instskip(NEXT) | instid1(VALU_DEP_3)
	v_cvt_f16_i16_e64 v130, v130
	v_pk_fma_f16 v131, v128, v135, v131
	s_delay_alu instid0(VALU_DEP_3) | instskip(SKIP_1) | instid1(VALU_DEP_2)
	v_cvt_f16_i16_e64 v129, v129
	v_pk_fma_f16 v132, v128, v136, v132
	v_pack_b32_f16 v129, v130, v129
	s_delay_alu instid0(VALU_DEP_1) | instskip(NEXT) | instid1(VALU_DEP_1)
	v_pk_mul_f16 v127, v129, v127
	v_pk_fma_f16 v133, v127, v135, v133
	v_mul_u32_u24_e32 v135, 0x10001, v10
	ds_load_u16 v10, v46 offset:304
	v_pk_fma_f16 v134, v127, v136, v134
	v_add_co_u32 v127, vcc_lo, v72, s46
	s_wait_alu 0xfffd
	v_add_co_ci_u32_e64 v128, null, 0, v73, vcc_lo
	v_add_co_u32 v129, vcc_lo, v70, s46
	s_wait_alu 0xfffd
	v_add_co_ci_u32_e64 v130, null, 0, v71, vcc_lo
	global_load_u16 v127, v[127:128], off
	s_wait_dscnt 0x0
	v_mul_u32_u24_e32 v136, 0x10001, v10
	global_load_b32 v10, v[129:130], off
	s_wait_loadcnt 0x1
	v_mul_u32_u24_e32 v127, 0x10001, v127
	s_wait_loadcnt 0x0
	v_ashrrev_i32_e32 v10, v41, v10
	s_delay_alu instid0(VALU_DEP_1) | instskip(NEXT) | instid1(VALU_DEP_1)
	v_and_b32_e32 v10, 0xf0f0f0f, v10
	v_lshrrev_b32_e32 v129, 16, v10
	s_delay_alu instid0(VALU_DEP_1) | instskip(SKIP_1) | instid1(VALU_DEP_1)
	v_and_b32_e32 v130, 0xf00, v129
	v_lshlrev_b16 v129, 8, v129
	v_add_nc_u16 v129, 0xf800, v129
	s_delay_alu instid0(VALU_DEP_1) | instskip(NEXT) | instid1(VALU_DEP_1)
	v_lshrrev_b16 v129, 8, v129
	v_or_b32_e32 v129, v130, v129
	v_and_b32_e32 v130, 0xf00, v10
	v_lshlrev_b16 v10, 8, v10
	s_delay_alu instid0(VALU_DEP_3) | instskip(NEXT) | instid1(VALU_DEP_2)
	v_add_nc_u16 v129, 0xf800, v129
	v_add_nc_u16 v10, 0xf800, v10
	s_delay_alu instid0(VALU_DEP_1) | instskip(NEXT) | instid1(VALU_DEP_1)
	v_lshrrev_b16 v10, 8, v10
	v_or_b32_e32 v10, v130, v10
	ds_load_u16 v130, v47 offset:308
	v_add_nc_u16 v10, 0xf800, v10
	s_delay_alu instid0(VALU_DEP_1) | instskip(SKIP_1) | instid1(VALU_DEP_2)
	v_lshrrev_b32_e32 v128, 8, v10
	v_bfe_i32 v10, v10, 0, 8
	v_bfe_i32 v128, v128, 0, 8
	s_delay_alu instid0(VALU_DEP_2) | instskip(NEXT) | instid1(VALU_DEP_2)
	v_cvt_f16_i16_e32 v10, v10
	v_cvt_f16_i16_e64 v128, v128
	s_wait_dscnt 0x0
	v_mul_u32_u24_e32 v130, 0x10001, v130
	s_delay_alu instid0(VALU_DEP_2) | instskip(NEXT) | instid1(VALU_DEP_1)
	v_pack_b32_f16 v10, v10, v128
	v_pk_mul_f16 v128, v10, v127
	v_lshrrev_b32_e32 v10, 8, v129
	v_bfe_i32 v129, v129, 0, 8
	s_delay_alu instid0(VALU_DEP_2) | instskip(NEXT) | instid1(VALU_DEP_2)
	v_bfe_i32 v10, v10, 0, 8
	v_cvt_f16_i16_e64 v129, v129
	s_delay_alu instid0(VALU_DEP_2) | instskip(NEXT) | instid1(VALU_DEP_1)
	v_cvt_f16_i16_e32 v10, v10
	v_pack_b32_f16 v10, v129, v10
	s_delay_alu instid0(VALU_DEP_1) | instskip(SKIP_3) | instid1(VALU_DEP_4)
	v_pk_mul_f16 v129, v10, v127
	v_pk_fma_f16 v10, v128, v135, v131
	v_add_co_u32 v131, vcc_lo, v68, s46
	v_pk_fma_f16 v127, v128, v136, v132
	v_pk_fma_f16 v128, v129, v135, v133
	s_wait_alu 0xfffd
	v_add_co_ci_u32_e64 v132, null, 0, v69, vcc_lo
	v_add_co_u32 v133, vcc_lo, v66, s46
	v_pk_fma_f16 v129, v129, v136, v134
	s_wait_alu 0xfffd
	v_add_co_ci_u32_e64 v134, null, 0, v67, vcc_lo
	global_load_u16 v131, v[131:132], off
	global_load_b32 v133, v[133:134], off
	s_wait_loadcnt 0x1
	v_mul_u32_u24_e32 v131, 0x10001, v131
	s_wait_loadcnt 0x0
	v_ashrrev_i32_e32 v133, v41, v133
	s_delay_alu instid0(VALU_DEP_1) | instskip(NEXT) | instid1(VALU_DEP_1)
	v_and_b32_e32 v133, 0xf0f0f0f, v133
	v_lshrrev_b32_e32 v134, 16, v133
	s_delay_alu instid0(VALU_DEP_1) | instskip(SKIP_1) | instid1(VALU_DEP_1)
	v_and_b32_e32 v135, 0xf00, v134
	v_lshlrev_b16 v134, 8, v134
	v_add_nc_u16 v134, 0xf800, v134
	s_delay_alu instid0(VALU_DEP_1) | instskip(NEXT) | instid1(VALU_DEP_1)
	v_lshrrev_b16 v134, 8, v134
	v_or_b32_e32 v134, v135, v134
	v_and_b32_e32 v135, 0xf00, v133
	v_lshlrev_b16 v133, 8, v133
	s_delay_alu instid0(VALU_DEP_3) | instskip(NEXT) | instid1(VALU_DEP_2)
	v_add_nc_u16 v134, 0xf800, v134
	v_add_nc_u16 v133, 0xf800, v133
	s_delay_alu instid0(VALU_DEP_1) | instskip(NEXT) | instid1(VALU_DEP_1)
	v_lshrrev_b16 v133, 8, v133
	v_or_b32_e32 v133, v135, v133
	s_delay_alu instid0(VALU_DEP_1) | instskip(NEXT) | instid1(VALU_DEP_1)
	v_add_nc_u16 v133, 0xf800, v133
	v_lshrrev_b32_e32 v132, 8, v133
	v_bfe_i32 v133, v133, 0, 8
	s_delay_alu instid0(VALU_DEP_2) | instskip(NEXT) | instid1(VALU_DEP_2)
	v_bfe_i32 v132, v132, 0, 8
	v_cvt_f16_i16_e64 v133, v133
	s_delay_alu instid0(VALU_DEP_2) | instskip(NEXT) | instid1(VALU_DEP_1)
	v_cvt_f16_i16_e64 v132, v132
	v_pack_b32_f16 v132, v133, v132
	v_lshrrev_b32_e32 v133, 8, v134
	v_bfe_i32 v134, v134, 0, 8
	s_delay_alu instid0(VALU_DEP_3) | instskip(NEXT) | instid1(VALU_DEP_3)
	v_pk_mul_f16 v132, v132, v131
	v_bfe_i32 v133, v133, 0, 8
	s_delay_alu instid0(VALU_DEP_3) | instskip(NEXT) | instid1(VALU_DEP_2)
	v_cvt_f16_i16_e64 v134, v134
	v_cvt_f16_i16_e64 v133, v133
	s_delay_alu instid0(VALU_DEP_1) | instskip(NEXT) | instid1(VALU_DEP_1)
	v_pack_b32_f16 v133, v134, v133
	v_pk_mul_f16 v131, v133, v131
	v_pk_fma_f16 v133, v132, v11, v10
	v_pk_fma_f16 v132, v132, v130, v127
	s_delay_alu instid0(VALU_DEP_3)
	v_pk_fma_f16 v129, v131, v130, v129
	v_mul_u32_u24_e32 v130, 0x10001, v9
	ds_load_u16 v9, v47 offset:312
	v_pk_fma_f16 v11, v131, v11, v128
	s_wait_dscnt 0x0
	v_mul_u32_u24_e32 v131, 0x10001, v9
	v_add_co_u32 v9, vcc_lo, v64, s46
	s_wait_alu 0xfffd
	v_add_co_ci_u32_e64 v10, null, 0, v65, vcc_lo
	v_add_co_u32 v127, vcc_lo, v62, s46
	s_wait_alu 0xfffd
	v_add_co_ci_u32_e64 v128, null, 0, v63, vcc_lo
	global_load_u16 v9, v[9:10], off
	global_load_b32 v127, v[127:128], off
	s_wait_loadcnt 0x1
	v_mul_u32_u24_e32 v9, 0x10001, v9
	s_wait_loadcnt 0x0
	v_ashrrev_i32_e32 v127, v41, v127
	s_delay_alu instid0(VALU_DEP_1) | instskip(NEXT) | instid1(VALU_DEP_1)
	v_and_b32_e32 v127, 0xf0f0f0f, v127
	v_lshrrev_b32_e32 v128, 16, v127
	s_delay_alu instid0(VALU_DEP_1) | instskip(SKIP_1) | instid1(VALU_DEP_1)
	v_and_b32_e32 v134, 0xf00, v128
	v_lshlrev_b16 v128, 8, v128
	v_add_nc_u16 v128, 0xf800, v128
	s_delay_alu instid0(VALU_DEP_1) | instskip(NEXT) | instid1(VALU_DEP_1)
	v_lshrrev_b16 v128, 8, v128
	v_or_b32_e32 v128, v134, v128
	v_and_b32_e32 v134, 0xf00, v127
	v_lshlrev_b16 v127, 8, v127
	s_delay_alu instid0(VALU_DEP_3) | instskip(NEXT) | instid1(VALU_DEP_2)
	v_add_nc_u16 v128, 0xf800, v128
	v_add_nc_u16 v127, 0xf800, v127
	s_delay_alu instid0(VALU_DEP_1) | instskip(NEXT) | instid1(VALU_DEP_1)
	v_lshrrev_b16 v127, 8, v127
	v_or_b32_e32 v127, v134, v127
	s_delay_alu instid0(VALU_DEP_1) | instskip(NEXT) | instid1(VALU_DEP_1)
	v_add_nc_u16 v127, 0xf800, v127
	v_lshrrev_b32_e32 v10, 8, v127
	v_bfe_i32 v127, v127, 0, 8
	s_delay_alu instid0(VALU_DEP_2) | instskip(NEXT) | instid1(VALU_DEP_2)
	v_bfe_i32 v10, v10, 0, 8
	v_cvt_f16_i16_e32 v127, v127
	s_delay_alu instid0(VALU_DEP_2) | instskip(NEXT) | instid1(VALU_DEP_1)
	v_cvt_f16_i16_e32 v10, v10
	v_pack_b32_f16 v10, v127, v10
	v_lshrrev_b32_e32 v127, 8, v128
	v_bfe_i32 v128, v128, 0, 8
	s_delay_alu instid0(VALU_DEP_3) | instskip(NEXT) | instid1(VALU_DEP_3)
	v_pk_mul_f16 v10, v10, v9
	v_bfe_i32 v127, v127, 0, 8
	s_delay_alu instid0(VALU_DEP_3) | instskip(NEXT) | instid1(VALU_DEP_2)
	v_cvt_f16_i16_e64 v128, v128
	v_cvt_f16_i16_e32 v127, v127
	s_delay_alu instid0(VALU_DEP_1)
	v_pack_b32_f16 v127, v128, v127
	v_mul_u32_u24_e32 v128, 0x10001, v8
	ds_load_u16 v8, v47 offset:316
	v_pk_mul_f16 v127, v127, v9
	v_pk_fma_f16 v9, v10, v130, v133
	v_pk_fma_f16 v10, v10, v131, v132
	s_delay_alu instid0(VALU_DEP_3)
	v_pk_fma_f16 v11, v127, v130, v11
	v_pk_fma_f16 v127, v127, v131, v129
	v_add_co_u32 v131, vcc_lo, v60, s46
	s_wait_alu 0xfffd
	v_add_co_ci_u32_e64 v132, null, 0, v61, vcc_lo
	v_add_co_u32 v133, vcc_lo, v58, s46
	s_wait_alu 0xfffd
	v_add_co_ci_u32_e64 v134, null, 0, v59, vcc_lo
	global_load_u16 v131, v[131:132], off
	v_add_co_u32 v48, vcc_lo, v48, s48
	s_wait_dscnt 0x0
	v_mul_u32_u24_e32 v129, 0x10001, v8
	global_load_b32 v8, v[133:134], off
	s_wait_alu 0xfffd
	v_add_co_ci_u32_e64 v49, null, 0, v49, vcc_lo
	v_add_co_u32 v50, vcc_lo, v50, s48
	s_wait_alu 0xfffd
	v_add_co_ci_u32_e64 v51, null, 0, v51, vcc_lo
	v_add_co_u32 v52, vcc_lo, v52, s48
	;; [unrolled: 3-line block ×38, first 2 shown]
	s_wait_alu 0xfffd
	v_add_co_ci_u32_e64 v125, null, s7, v125, vcc_lo
	s_wait_loadcnt 0x1
	v_mul_u32_u24_e32 v131, 0x10001, v131
	s_wait_loadcnt 0x0
	v_ashrrev_i32_e32 v8, v41, v8
	s_delay_alu instid0(VALU_DEP_1) | instskip(NEXT) | instid1(VALU_DEP_1)
	v_and_b32_e32 v130, 0xf0f0f0f, v8
	v_lshrrev_b32_e32 v8, 16, v130
	s_delay_alu instid0(VALU_DEP_1) | instskip(SKIP_1) | instid1(VALU_DEP_1)
	v_and_b32_e32 v133, 0xf00, v8
	v_lshlrev_b16 v8, 8, v8
	v_add_nc_u16 v8, 0xf800, v8
	s_delay_alu instid0(VALU_DEP_1) | instskip(NEXT) | instid1(VALU_DEP_1)
	v_lshrrev_b16 v8, 8, v8
	v_or_b32_e32 v8, v133, v8
	v_and_b32_e32 v133, 0xf00, v130
	v_lshlrev_b16 v130, 8, v130
	s_delay_alu instid0(VALU_DEP_3) | instskip(NEXT) | instid1(VALU_DEP_2)
	v_add_nc_u16 v8, 0xf800, v8
	v_add_nc_u16 v130, 0xf800, v130
	s_delay_alu instid0(VALU_DEP_1) | instskip(NEXT) | instid1(VALU_DEP_1)
	v_lshrrev_b16 v130, 8, v130
	v_or_b32_e32 v130, v133, v130
	s_delay_alu instid0(VALU_DEP_1) | instskip(NEXT) | instid1(VALU_DEP_1)
	v_add_nc_u16 v130, 0xf800, v130
	v_lshrrev_b32_e32 v132, 8, v130
	v_bfe_i32 v130, v130, 0, 8
	s_delay_alu instid0(VALU_DEP_2) | instskip(NEXT) | instid1(VALU_DEP_2)
	v_bfe_i32 v132, v132, 0, 8
	v_cvt_f16_i16_e64 v130, v130
	s_delay_alu instid0(VALU_DEP_2) | instskip(NEXT) | instid1(VALU_DEP_1)
	v_cvt_f16_i16_e64 v132, v132
	v_pack_b32_f16 v130, v130, v132
	v_lshrrev_b32_e32 v132, 8, v8
	v_bfe_i32 v8, v8, 0, 8
	s_delay_alu instid0(VALU_DEP_3) | instskip(NEXT) | instid1(VALU_DEP_3)
	v_pk_mul_f16 v130, v130, v131
	v_bfe_i32 v132, v132, 0, 8
	s_delay_alu instid0(VALU_DEP_3) | instskip(NEXT) | instid1(VALU_DEP_3)
	v_cvt_f16_i16_e32 v8, v8
	v_pk_fma_f16 v10, v130, v129, v10
	s_delay_alu instid0(VALU_DEP_3) | instskip(NEXT) | instid1(VALU_DEP_1)
	v_cvt_f16_i16_e64 v132, v132
	v_pack_b32_f16 v8, v8, v132
	s_delay_alu instid0(VALU_DEP_1) | instskip(SKIP_1) | instid1(VALU_DEP_2)
	v_pk_mul_f16 v131, v8, v131
	v_pk_fma_f16 v8, v130, v128, v9
	v_pk_fma_f16 v9, v131, v128, v11
	;; [unrolled: 1-line block ×3, first 2 shown]
	s_cbranch_scc1 .LBB9_38
; %bb.36:                               ;   in Loop: Header=BB9_27 Depth=1
	v_dual_mov_b32 v128, v28 :: v_dual_mov_b32 v127, v29
	s_branch .LBB9_27
.LBB9_37:
	v_mov_b32_e32 v28, 0xfeffffff
	s_delay_alu instid0(VALU_DEP_1) | instskip(NEXT) | instid1(VALU_DEP_1)
	v_dual_mov_b32 v36, 0 :: v_dual_mov_b32 v29, v28
	v_mov_b32_e32 v40, v36
	s_branch .LBB9_39
.LBB9_38:
	ds_store_b128 v35, v[8:11]
.LBB9_39:
	s_cmp_eq_u64 s[12:13], 0
	s_cselect_b32 s1, -1, 0
	s_cmp_lg_u32 s4, 0
	s_cselect_b32 s5, -1, 0
	s_wait_alu 0xfffe
	s_or_b32 s1, s5, s1
	s_wait_alu 0xfffe
	s_nor_b32 s0, s1, s0
	s_wait_alu 0xfffe
	s_and_saveexec_b32 s1, s0
	s_cbranch_execz .LBB9_41
; %bb.40:
	s_ashr_i32 s29, s28, 31
	v_cmp_eq_u32_e32 vcc_lo, 1, v31
	s_wait_alu 0xfffe
	s_lshl_b64 s[6:7], s[28:29], 2
	s_wait_alu 0xfffe
	s_add_nc_u64 s[6:7], s[12:13], s[6:7]
	s_wait_alu 0xfffd
	v_cndmask_b32_e32 v0, v28, v29, vcc_lo
	s_load_b32 s0, s[6:7], 0x0
	s_delay_alu instid0(VALU_DEP_1) | instskip(SKIP_2) | instid1(VALU_DEP_1)
	v_max_num_f32_e32 v1, v0, v0
	s_wait_kmcnt 0x0
	v_max_num_f32_e64 v2, s0, s0
	v_max_num_f32_e32 v2, v2, v1
	s_delay_alu instid0(VALU_DEP_1) | instskip(NEXT) | instid1(VALU_DEP_1)
	v_sub_f32_e32 v4, s0, v2
	v_mul_f32_e32 v1, 0x3fb8aa3b, v4
	v_sub_f32_e32 v3, v0, v2
	s_delay_alu instid0(VALU_DEP_2) | instskip(NEXT) | instid1(VALU_DEP_2)
	v_rndne_f32_e32 v8, v1
	v_mul_f32_e32 v0, 0x3fb8aa3b, v3
	v_fma_f32 v7, 0x3fb8aa3b, v4, -v1
	v_cmp_ngt_f32_e64 s0, 0xc2ce8ed0, v3
	s_delay_alu instid0(VALU_DEP_4) | instskip(NEXT) | instid1(VALU_DEP_4)
	v_sub_f32_e32 v1, v1, v8
	v_fma_f32 v5, 0x3fb8aa3b, v3, -v0
	v_rndne_f32_e32 v6, v0
	v_fmac_f32_e32 v7, 0x32a5705f, v4
	s_delay_alu instid0(VALU_DEP_2) | instskip(NEXT) | instid1(VALU_DEP_2)
	v_dual_fmac_f32 v5, 0x32a5705f, v3 :: v_dual_sub_f32 v0, v0, v6
	v_add_f32_e32 v1, v1, v7
	s_delay_alu instid0(VALU_DEP_2) | instskip(NEXT) | instid1(VALU_DEP_2)
	v_dual_cndmask_b32 v29, v29, v2 :: v_dual_add_f32 v0, v0, v5
	v_exp_f32_e32 v1, v1
	v_cvt_i32_f32_e32 v5, v6
	v_cvt_i32_f32_e32 v6, v8
	s_delay_alu instid0(VALU_DEP_3)
	v_exp_f32_e32 v0, v0
	s_delay_alu instid0(TRANS32_DEP_2) | instid1(VALU_DEP_1)
	v_ldexp_f32 v6, v1, v6
	s_delay_alu instid0(TRANS32_DEP_1) | instskip(SKIP_2) | instid1(VALU_DEP_2)
	v_ldexp_f32 v0, v0, v5
	v_lshl_add_u32 v5, v31, 3, v35
	s_wait_alu 0xf1ff
	v_cndmask_b32_e64 v7, 0, v0, s0
	v_cmp_ngt_f32_e64 s0, 0xc2ce8ed0, v4
	ds_load_b64 v[0:1], v5
	s_wait_alu 0xf1ff
	v_cndmask_b32_e64 v6, 0, v6, s0
	v_cmp_nlt_f32_e64 s0, 0x42b17218, v3
	s_wait_alu 0xf1ff
	s_delay_alu instid0(VALU_DEP_1) | instskip(SKIP_2) | instid1(VALU_DEP_1)
	v_cndmask_b32_e64 v3, 0x7f800000, v7, s0
	v_cmp_nlt_f32_e64 s0, 0x42b17218, v4
	s_wait_alu 0xf1ff
	v_cndmask_b32_e64 v4, 0x7f800000, v6, s0
	s_delay_alu instid0(VALU_DEP_3) | instskip(SKIP_1) | instid1(VALU_DEP_2)
	v_cvt_f16_f32_e32 v6, v3
	v_cmp_eq_u32_e64 s0, 0, v30
	v_dual_cndmask_b32 v7, v36, v40 :: v_dual_and_b32 v6, 0xffff, v6
	s_wait_alu 0xf1ff
	s_delay_alu instid0(VALU_DEP_2) | instskip(SKIP_1) | instid1(VALU_DEP_2)
	v_cndmask_b32_e64 v4, 0, v4, s0
	v_cmp_eq_u32_e64 s0, 0, v31
	v_fmac_f32_e32 v4, v7, v3
	v_mul_u32_u24_e32 v3, 0x10001, v6
	s_wait_alu 0xf1ff
	s_delay_alu instid0(VALU_DEP_3) | instskip(NEXT) | instid1(VALU_DEP_3)
	v_cndmask_b32_e64 v28, v28, v2, s0
	v_cndmask_b32_e32 v40, v40, v4, vcc_lo
	s_wait_dscnt 0x0
	v_pk_mul_f16 v0, v0, v3
	v_pk_mul_f16 v1, v1, v3
	v_cndmask_b32_e64 v36, v36, v4, s0
	ds_store_b64 v5, v[0:1]
.LBB9_41:
	s_wait_alu 0xfffe
	s_or_b32 exec_lo, exec_lo, s1
	v_add_nc_u32_e32 v2, 0x500, v33
	v_add_nc_u32_e32 v5, 0x400, v33
	s_mov_b32 s0, exec_lo
	v_cmpx_eq_u32_e32 0, v31
	s_cbranch_execz .LBB9_43
; %bb.42:
	v_dual_mov_b32 v0, 0xfeffffff :: v_dual_mov_b32 v1, 0
	ds_store_2addr_b32 v5, v0, v0 offset1:32
	ds_store_2addr_b32 v2, v1, v1 offset1:32
.LBB9_43:
	s_wait_alu 0xfffe
	s_or_b32 exec_lo, exec_lo, s0
	v_cmp_eq_u32_e64 s0, 0, v30
	s_wait_loadcnt_dscnt 0x0
	s_barrier_signal -1
	s_barrier_wait -1
	global_inv scope:SCOPE_SE
	s_and_saveexec_b32 s1, s0
; %bb.44:
	v_lshlrev_b32_e32 v0, 2, v31
	s_delay_alu instid0(VALU_DEP_1)
	v_add_nc_u32_e32 v0, 0x400, v0
	ds_store_2addr_b32 v0, v28, v29 offset1:32
; %bb.45:
	s_wait_alu 0xfffe
	s_or_b32 exec_lo, exec_lo, s1
	s_cmp_lt_i32 s33, s24
	s_add_nc_u64 s[6:7], s[2:3], 0xd0
	s_wait_loadcnt_dscnt 0x0
	s_barrier_signal -1
	s_barrier_wait -1
	global_inv scope:SCOPE_SE
	s_cbranch_scc1 .LBB9_48
; %bb.46:
	s_add_nc_u64 s[2:3], s[2:3], 0xd0
	s_cbranch_execz .LBB9_49
; %bb.47:
	s_mov_b64 s[6:7], s[2:3]
	s_branch .LBB9_61
.LBB9_48:
                                        ; implicit-def: $sgpr2_sgpr3
.LBB9_49:
	ds_load_b32 v0, v5
	v_xor_b32_e32 v1, 16, v38
	v_xor_b32_e32 v3, 8, v38
	v_lshlrev_b32_e32 v16, 3, v30
	s_delay_alu instid0(VALU_DEP_3) | instskip(SKIP_4) | instid1(VALU_DEP_2)
	v_cmp_gt_i32_e32 vcc_lo, 32, v1
	s_wait_alu 0xfffd
	v_cndmask_b32_e32 v1, v38, v1, vcc_lo
	v_cmp_gt_i32_e32 vcc_lo, 32, v3
	s_wait_alu 0xfffd
	v_dual_cndmask_b32 v3, v38, v3 :: v_dual_lshlrev_b32 v6, 2, v1
	s_wait_dscnt 0x0
	ds_bpermute_b32 v1, v6, v0
	v_dual_max_num_f32 v0, v0, v0 :: v_dual_lshlrev_b32 v7, 2, v3
	v_xor_b32_e32 v3, 4, v38
	s_delay_alu instid0(VALU_DEP_1) | instskip(SKIP_2) | instid1(VALU_DEP_1)
	v_cmp_gt_i32_e32 vcc_lo, 32, v3
	s_wait_alu 0xfffd
	v_cndmask_b32_e32 v3, v38, v3, vcc_lo
	v_lshlrev_b32_e32 v8, 2, v3
	v_xor_b32_e32 v3, 2, v38
	s_wait_dscnt 0x0
	v_max_num_f32_e32 v1, v1, v1
	s_delay_alu instid0(VALU_DEP_2) | instskip(SKIP_1) | instid1(VALU_DEP_2)
	v_cmp_gt_i32_e32 vcc_lo, 32, v3
	s_wait_alu 0xfffd
	v_dual_max_num_f32 v0, v0, v1 :: v_dual_cndmask_b32 v3, v38, v3
	ds_bpermute_b32 v1, v7, v0
	v_lshlrev_b32_e32 v4, 2, v3
	v_xor_b32_e32 v3, 1, v38
	s_delay_alu instid0(VALU_DEP_1) | instskip(SKIP_2) | instid1(VALU_DEP_1)
	v_cmp_gt_i32_e32 vcc_lo, 32, v3
	s_wait_dscnt 0x0
	v_max_num_f32_e32 v1, v1, v1
	v_max_num_f32_e32 v0, v0, v1
	ds_bpermute_b32 v1, v8, v0
	s_wait_dscnt 0x0
	v_max_num_f32_e32 v1, v1, v1
	s_delay_alu instid0(VALU_DEP_1) | instskip(SKIP_4) | instid1(VALU_DEP_1)
	v_max_num_f32_e32 v0, v0, v1
	ds_bpermute_b32 v1, v4, v0
	s_wait_dscnt 0x0
	v_max_num_f32_e32 v1, v1, v1
	s_wait_alu 0xfffd
	v_dual_cndmask_b32 v3, v38, v3 :: v_dual_max_num_f32 v0, v0, v1
	s_delay_alu instid0(VALU_DEP_1) | instskip(SKIP_3) | instid1(VALU_DEP_1)
	v_lshlrev_b32_e32 v3, 2, v3
	ds_bpermute_b32 v1, v3, v0
	s_wait_dscnt 0x0
	v_max_num_f32_e32 v1, v1, v1
	v_max_num_f32_e32 v0, v0, v1
	s_delay_alu instid0(VALU_DEP_1) | instskip(NEXT) | instid1(VALU_DEP_1)
	v_sub_f32_e32 v1, v28, v0
	v_mul_f32_e32 v9, 0x3fb8aa3b, v1
	v_cmp_ngt_f32_e32 vcc_lo, 0xc2ce8ed0, v1
	s_delay_alu instid0(VALU_DEP_2) | instskip(SKIP_1) | instid1(VALU_DEP_2)
	v_fma_f32 v10, 0x3fb8aa3b, v1, -v9
	v_rndne_f32_e32 v11, v9
	v_fmamk_f32 v10, v1, 0x32a5705f, v10
	s_delay_alu instid0(VALU_DEP_2) | instskip(NEXT) | instid1(VALU_DEP_1)
	v_sub_f32_e32 v9, v9, v11
	v_add_f32_e32 v9, v9, v10
	v_cvt_i32_f32_e32 v10, v11
	s_delay_alu instid0(VALU_DEP_2) | instskip(NEXT) | instid1(TRANS32_DEP_1)
	v_exp_f32_e32 v9, v9
	v_ldexp_f32 v9, v9, v10
	s_wait_alu 0xfffd
	s_delay_alu instid0(VALU_DEP_1) | instskip(SKIP_2) | instid1(VALU_DEP_2)
	v_cndmask_b32_e32 v9, 0, v9, vcc_lo
	v_cmp_nlt_f32_e32 vcc_lo, 0x42b17218, v1
	s_wait_alu 0xfffd
	v_cndmask_b32_e32 v1, 0x7f800000, v9, vcc_lo
	s_delay_alu instid0(VALU_DEP_1)
	v_mul_f32_e32 v9, v36, v1
	ds_bpermute_b32 v9, v6, v9
	s_wait_dscnt 0x0
	v_fmac_f32_e32 v9, v36, v1
	v_cvt_f16_f32_e32 v1, v1
	ds_bpermute_b32 v10, v7, v9
	v_and_b32_e32 v1, 0xffff, v1
	s_delay_alu instid0(VALU_DEP_1)
	v_mul_u32_u24_e32 v1, 0x10001, v1
	s_wait_dscnt 0x0
	v_add_f32_e32 v9, v9, v10
	ds_bpermute_b32 v10, v8, v9
	s_wait_dscnt 0x0
	v_add_f32_e32 v9, v9, v10
	ds_bpermute_b32 v10, v4, v9
	s_wait_dscnt 0x0
	v_add_f32_e32 v14, v9, v10
	ds_load_b64 v[10:11], v35
	v_and_b32_e32 v9, 0x380, v16
	ds_bpermute_b32 v15, v3, v14
	v_lshl_add_u32 v17, v31, 8, v9
	v_lshl_add_u32 v9, v31, 2, 0x500
	s_wait_dscnt 0x1
	v_pk_mul_f16 v12, v10, v1
	v_pk_mul_f16 v13, v11, v1
	v_and_or_b32 v10, 0x78, v16, v17
	ds_store_b64 v35, v[12:13]
	ds_store_b64 v10, v[12:13]
	s_wait_dscnt 0x2
	v_add_f32_e32 v36, v14, v15
	s_and_saveexec_b32 s1, s0
; %bb.50:
	ds_store_b32 v9, v36
; %bb.51:
	s_wait_alu 0xfffe
	s_or_b32 exec_lo, exec_lo, s1
	v_cmp_gt_u32_e64 s1, 64, v32
	s_mul_i32 s2, s26, s24
	s_wait_loadcnt_dscnt 0x0
	s_add_co_i32 s2, s33, s2
	s_barrier_signal -1
	s_barrier_wait -1
	global_inv scope:SCOPE_SE
	s_and_saveexec_b32 s3, s1
	s_cbranch_execz .LBB9_53
; %bb.52:
	ds_load_b32 v1, v2
	ds_load_u16 v12, v34
	ds_load_u16 v13, v34 offset:128
	ds_load_u16 v14, v34 offset:256
	s_mul_i32 s8, s2, s25
	s_wait_alu 0xfffe
	s_add_co_i32 s8, s8, s28
	s_wait_dscnt 0x2
	v_cvt_f32_f16_e32 v12, v12
	ds_bpermute_b32 v11, v6, v1
	s_wait_dscnt 0x2
	v_cvt_f32_f16_e32 v13, v13
	s_wait_dscnt 0x1
	v_cvt_f32_f16_e32 v14, v14
	v_add_f32_e32 v12, 0, v12
	s_delay_alu instid0(VALU_DEP_1) | instskip(SKIP_1) | instid1(VALU_DEP_1)
	v_add_f32_e32 v12, v12, v13
	s_wait_dscnt 0x0
	v_dual_add_f32 v12, v12, v14 :: v_dual_add_f32 v1, v1, v11
	ds_bpermute_b32 v11, v7, v1
	s_wait_dscnt 0x0
	v_add_f32_e32 v1, v1, v11
	ds_bpermute_b32 v11, v8, v1
	s_wait_dscnt 0x0
	v_add_f32_e32 v1, v1, v11
	ds_load_u16 v11, v34 offset:384
	ds_load_u16 v16, v34 offset:512
	;; [unrolled: 1-line block ×5, first 2 shown]
	s_load_b32 s5, s[6:7], 0x4
	ds_bpermute_b32 v15, v4, v1
	s_wait_dscnt 0x4
	v_cvt_f32_f16_e32 v13, v16
	s_wait_dscnt 0x3
	v_cvt_f32_f16_e32 v14, v17
	v_cvt_f32_f16_e32 v11, v11
	s_wait_kmcnt 0x0
	s_mul_i32 s8, s5, s8
	s_wait_alu 0xfffe
	s_add_co_i32 s8, s8, s4
	s_wait_dscnt 0x0
	v_add_f32_e32 v1, v1, v15
	v_add_f32_e32 v11, v12, v11
	s_cmp_eq_u32 s5, 1
	ds_bpermute_b32 v12, v3, v1
	s_wait_dscnt 0x0
	v_dual_add_f32 v36, v1, v12 :: v_dual_add_f32 v11, v11, v13
	v_mov_b32_e32 v12, 0
	v_cvt_f32_f16_e32 v13, v18
	s_delay_alu instid0(VALU_DEP_3) | instskip(SKIP_1) | instid1(VALU_DEP_2)
	v_add_f32_e32 v11, v11, v14
	v_cvt_f32_f16_e32 v14, v19
	v_add_f32_e32 v11, v11, v13
	s_delay_alu instid0(VALU_DEP_1) | instskip(NEXT) | instid1(VALU_DEP_1)
	v_add_f32_e32 v13, v11, v14
	v_div_scale_f32 v1, null, v36, v36, v13
	v_div_scale_f32 v15, vcc_lo, v13, v36, v13
	s_delay_alu instid0(VALU_DEP_2) | instskip(NEXT) | instid1(TRANS32_DEP_1)
	v_rcp_f32_e32 v14, v1
	v_fma_f32 v11, -v1, v14, 1.0
	s_delay_alu instid0(VALU_DEP_1) | instskip(NEXT) | instid1(VALU_DEP_1)
	v_fmac_f32_e32 v14, v11, v14
	v_mul_f32_e32 v16, v15, v14
	s_delay_alu instid0(VALU_DEP_1) | instskip(NEXT) | instid1(VALU_DEP_1)
	v_fma_f32 v11, -v1, v16, v15
	v_fmac_f32_e32 v16, v11, v14
	s_wait_alu 0xfffe
	v_lshl_or_b32 v11, s8, 6, v32
	s_delay_alu instid0(VALU_DEP_2) | instskip(NEXT) | instid1(VALU_DEP_2)
	v_fma_f32 v1, -v1, v16, v15
	v_lshlrev_b64_e32 v[11:12], 2, v[11:12]
	s_wait_alu 0xfffd
	s_delay_alu instid0(VALU_DEP_2) | instskip(NEXT) | instid1(VALU_DEP_2)
	v_div_fmas_f32 v1, v1, v14, v16
	v_add_co_u32 v11, vcc_lo, s16, v11
	s_wait_alu 0xfffd
	s_delay_alu instid0(VALU_DEP_3) | instskip(NEXT) | instid1(VALU_DEP_3)
	v_add_co_ci_u32_e64 v12, null, s17, v12, vcc_lo
	v_div_fixup_f32 v1, v1, v36, v13
	s_cselect_b32 vcc_lo, -1, 0
	s_wait_alu 0xfffe
	s_delay_alu instid0(VALU_DEP_1)
	v_cndmask_b32_e32 v1, v13, v1, vcc_lo
	global_store_b32 v[11:12], v1, off
.LBB9_53:
	s_or_b32 exec_lo, exec_lo, s3
	s_or_b32 s3, s33, 1
	s_wait_loadcnt 0x0
	s_wait_storecnt 0x0
	s_cmp_ge_i32 s3, s24
	s_barrier_signal -1
	s_barrier_wait -1
	global_inv scope:SCOPE_SE
	s_cbranch_scc1 .LBB9_59
; %bb.54:
	ds_load_b32 v1, v5 offset:128
	s_wait_dscnt 0x0
	ds_bpermute_b32 v5, v6, v1
	v_max_num_f32_e32 v1, v1, v1
	s_wait_dscnt 0x0
	v_max_num_f32_e32 v5, v5, v5
	s_delay_alu instid0(VALU_DEP_1) | instskip(SKIP_3) | instid1(VALU_DEP_1)
	v_max_num_f32_e32 v1, v1, v5
	ds_bpermute_b32 v5, v7, v1
	s_wait_dscnt 0x0
	v_max_num_f32_e32 v5, v5, v5
	v_max_num_f32_e32 v1, v1, v5
	ds_bpermute_b32 v5, v8, v1
	s_wait_dscnt 0x0
	v_max_num_f32_e32 v5, v5, v5
	s_delay_alu instid0(VALU_DEP_1) | instskip(SKIP_3) | instid1(VALU_DEP_1)
	v_max_num_f32_e32 v1, v1, v5
	ds_bpermute_b32 v5, v4, v1
	s_wait_dscnt 0x0
	v_max_num_f32_e32 v5, v5, v5
	v_max_num_f32_e32 v1, v1, v5
	ds_bpermute_b32 v5, v3, v1
	s_wait_dscnt 0x0
	v_max_num_f32_e32 v5, v5, v5
	s_delay_alu instid0(VALU_DEP_1) | instskip(NEXT) | instid1(VALU_DEP_1)
	v_max_num_f32_e32 v1, v1, v5
	v_sub_f32_e32 v5, v29, v1
	s_delay_alu instid0(VALU_DEP_1) | instskip(SKIP_1) | instid1(VALU_DEP_2)
	v_mul_f32_e32 v11, 0x3fb8aa3b, v5
	v_cmp_ngt_f32_e32 vcc_lo, 0xc2ce8ed0, v5
	v_fma_f32 v12, 0x3fb8aa3b, v5, -v11
	v_rndne_f32_e32 v13, v11
	s_delay_alu instid0(VALU_DEP_1) | instskip(NEXT) | instid1(VALU_DEP_1)
	v_dual_fmamk_f32 v12, v5, 0x32a5705f, v12 :: v_dual_sub_f32 v11, v11, v13
	v_add_f32_e32 v11, v11, v12
	v_cvt_i32_f32_e32 v12, v13
	s_delay_alu instid0(VALU_DEP_2) | instskip(NEXT) | instid1(TRANS32_DEP_1)
	v_exp_f32_e32 v11, v11
	v_ldexp_f32 v11, v11, v12
	s_wait_alu 0xfffd
	s_delay_alu instid0(VALU_DEP_1) | instskip(SKIP_2) | instid1(VALU_DEP_2)
	v_cndmask_b32_e32 v11, 0, v11, vcc_lo
	v_cmp_nlt_f32_e32 vcc_lo, 0x42b17218, v5
	s_wait_alu 0xfffd
	v_cndmask_b32_e32 v5, 0x7f800000, v11, vcc_lo
	s_delay_alu instid0(VALU_DEP_1)
	v_mul_f32_e32 v11, v40, v5
	ds_bpermute_b32 v11, v6, v11
	s_wait_dscnt 0x0
	v_fmac_f32_e32 v11, v40, v5
	v_cvt_f16_f32_e32 v5, v5
	ds_bpermute_b32 v12, v7, v11
	v_and_b32_e32 v5, 0xffff, v5
	s_delay_alu instid0(VALU_DEP_1)
	v_mul_u32_u24_e32 v5, 0x10001, v5
	s_wait_dscnt 0x0
	v_add_f32_e32 v11, v11, v12
	ds_bpermute_b32 v12, v8, v11
	s_wait_dscnt 0x0
	v_add_f32_e32 v11, v11, v12
	ds_bpermute_b32 v12, v4, v11
	s_wait_dscnt 0x0
	v_add_f32_e32 v13, v11, v12
	ds_load_b64 v[11:12], v35 offset:8
	ds_bpermute_b32 v14, v3, v13
	s_wait_dscnt 0x1
	v_pk_mul_f16 v11, v11, v5
	v_pk_mul_f16 v12, v12, v5
	ds_store_b64 v35, v[11:12] offset:8
	ds_store_b64 v10, v[11:12]
	s_wait_dscnt 0x2
	v_add_f32_e32 v40, v13, v14
	s_and_saveexec_b32 s3, s0
; %bb.55:
	ds_store_b32 v9, v40 offset:128
; %bb.56:
	s_or_b32 exec_lo, exec_lo, s3
	s_wait_loadcnt_dscnt 0x0
	s_barrier_signal -1
	s_barrier_wait -1
	global_inv scope:SCOPE_SE
	s_and_saveexec_b32 s0, s1
	s_cbranch_execz .LBB9_58
; %bb.57:
	ds_load_b32 v2, v2 offset:128
	s_add_co_i32 s2, s2, 1
	s_delay_alu instid0(SALU_CYCLE_1) | instskip(NEXT) | instid1(SALU_CYCLE_1)
	s_mul_i32 s2, s2, s25
	s_add_co_i32 s2, s2, s28
	s_wait_dscnt 0x0
	ds_bpermute_b32 v5, v6, v2
	s_wait_dscnt 0x0
	v_add_f32_e32 v2, v2, v5
	ds_bpermute_b32 v5, v7, v2
	s_wait_dscnt 0x0
	v_add_f32_e32 v2, v2, v5
	ds_bpermute_b32 v5, v8, v2
	ds_load_u16 v6, v34
	ds_load_u16 v7, v34 offset:128
	ds_load_u16 v8, v34 offset:256
	s_wait_dscnt 0x2
	v_cvt_f32_f16_e32 v6, v6
	v_add_f32_e32 v2, v2, v5
	ds_load_u16 v5, v34 offset:384
	ds_load_u16 v9, v34 offset:512
	;; [unrolled: 1-line block ×5, first 2 shown]
	s_wait_dscnt 0x6
	v_cvt_f32_f16_e32 v7, v7
	v_add_f32_e32 v6, 0, v6
	ds_bpermute_b32 v4, v4, v2
	s_wait_dscnt 0x6
	v_cvt_f32_f16_e32 v8, v8
	s_load_b32 s1, s[6:7], 0x4
	v_add_f32_e32 v6, v6, v7
	s_delay_alu instid0(VALU_DEP_1)
	v_add_f32_e32 v6, v6, v8
	s_wait_dscnt 0x5
	v_cvt_f32_f16_e32 v5, v5
	s_wait_dscnt 0x0
	v_add_f32_e32 v2, v2, v4
	v_cvt_f32_f16_e32 v4, v9
	s_delay_alu instid0(VALU_DEP_3)
	v_add_f32_e32 v5, v6, v5
	v_cvt_f32_f16_e32 v6, v10
	s_wait_kmcnt 0x0
	s_mul_i32 s2, s1, s2
	ds_bpermute_b32 v3, v3, v2
	s_add_co_i32 s2, s2, s4
	v_add_f32_e32 v4, v5, v4
	v_cvt_f32_f16_e32 v5, v11
	s_cmp_eq_u32 s1, 1
	s_delay_alu instid0(VALU_DEP_2) | instskip(SKIP_1) | instid1(VALU_DEP_2)
	v_add_f32_e32 v4, v4, v6
	v_cvt_f32_f16_e32 v6, v12
	v_add_f32_e32 v4, v4, v5
	s_delay_alu instid0(VALU_DEP_1) | instskip(SKIP_2) | instid1(VALU_DEP_1)
	v_add_f32_e32 v4, v4, v6
	s_wait_dscnt 0x0
	v_add_f32_e32 v40, v2, v3
	v_div_scale_f32 v2, null, v40, v40, v4
	v_div_scale_f32 v6, vcc_lo, v4, v40, v4
	s_delay_alu instid0(VALU_DEP_2) | instskip(NEXT) | instid1(TRANS32_DEP_1)
	v_rcp_f32_e32 v5, v2
	v_fma_f32 v3, -v2, v5, 1.0
	s_delay_alu instid0(VALU_DEP_1) | instskip(NEXT) | instid1(VALU_DEP_1)
	v_fmac_f32_e32 v5, v3, v5
	v_mul_f32_e32 v7, v6, v5
	s_delay_alu instid0(VALU_DEP_1) | instskip(NEXT) | instid1(VALU_DEP_1)
	v_fma_f32 v3, -v2, v7, v6
	v_fmac_f32_e32 v7, v3, v5
	v_mov_b32_e32 v3, 0
	s_delay_alu instid0(VALU_DEP_2) | instskip(SKIP_2) | instid1(VALU_DEP_2)
	v_fma_f32 v6, -v2, v7, v6
	v_lshl_or_b32 v2, s2, 6, v32
	s_wait_alu 0xfffd
	v_div_fmas_f32 v5, v6, v5, v7
	s_delay_alu instid0(VALU_DEP_2) | instskip(NEXT) | instid1(VALU_DEP_2)
	v_lshlrev_b64_e32 v[2:3], 2, v[2:3]
	v_div_fixup_f32 v5, v5, v40, v4
	s_delay_alu instid0(VALU_DEP_2) | instskip(SKIP_1) | instid1(VALU_DEP_3)
	v_add_co_u32 v2, vcc_lo, s16, v2
	s_wait_alu 0xfffd
	v_add_co_ci_u32_e64 v3, null, s17, v3, vcc_lo
	s_cselect_b32 vcc_lo, -1, 0
	s_wait_alu 0xfffe
	v_cndmask_b32_e32 v4, v4, v5, vcc_lo
	global_store_b32 v[2:3], v4, off
.LBB9_58:
	s_wait_alu 0xfffe
	s_or_b32 exec_lo, exec_lo, s0
	s_branch .LBB9_60
.LBB9_59:
	v_mov_b32_e32 v1, v29
.LBB9_60:
	s_delay_alu instid0(VALU_DEP_1)
	v_dual_mov_b32 v29, v1 :: v_dual_mov_b32 v28, v0
.LBB9_61:
	s_load_b32 s1, s[6:7], 0x4
	v_or_b32_e32 v0, s33, v30
	v_cmp_gt_u32_e32 vcc_lo, 2, v32
	s_delay_alu instid0(VALU_DEP_2)
	v_cmp_gt_i32_e64 s0, s24, v0
	s_wait_kmcnt 0x0
	s_cmp_lg_u32 s1, 1
	s_cselect_b32 s2, -1, 0
	s_wait_alu 0xfffe
	s_and_b32 s2, s2, vcc_lo
	s_wait_alu 0xfffe
	s_and_b32 s0, s2, s0
	s_wait_alu 0xfffe
	s_and_saveexec_b32 s2, s0
	s_cbranch_execz .LBB9_63
; %bb.62:
	v_mad_co_u64_u32 v[0:1], null, s26, s24, v[0:1]
	v_cmp_eq_u32_e32 vcc_lo, 1, v32
	s_wait_alu 0xfffd
	v_cndmask_b32_e32 v3, v36, v40, vcc_lo
	s_delay_alu instid0(VALU_DEP_3) | instskip(SKIP_1) | instid1(VALU_DEP_2)
	v_mad_co_u64_u32 v[0:1], null, v0, s25, s[28:29]
	v_cndmask_b32_e32 v2, v28, v29, vcc_lo
	v_mad_co_u64_u32 v[0:1], null, s1, v0, s[4:5]
	v_mov_b32_e32 v1, 0
	s_delay_alu instid0(VALU_DEP_1) | instskip(NEXT) | instid1(VALU_DEP_1)
	v_lshlrev_b64_e32 v[0:1], 3, v[0:1]
	v_add_co_u32 v0, vcc_lo, s18, v0
	s_wait_alu 0xfffd
	s_delay_alu instid0(VALU_DEP_2)
	v_add_co_ci_u32_e64 v1, null, s19, v1, vcc_lo
	global_store_b64 v[0:1], v[2:3], off
.LBB9_63:
	s_nop 0
	s_sendmsg sendmsg(MSG_DEALLOC_VGPRS)
	s_endpgm
	.section	.rodata,"a",@progbits
	.p2align	6, 0x0
	.amdhsa_kernel _ZL18flash_attn_ext_vecILi64ELi2EL9ggml_type3ELS0_2ELb0EEvPKcS2_S2_S2_S2_PKiPfP15HIP_vector_typeIfLj2EEffffjfiS6_IjLj3EEiiiiiiiiiiiliiliiiiil
		.amdhsa_group_segment_fixed_size 3584
		.amdhsa_private_segment_fixed_size 0
		.amdhsa_kernarg_size 464
		.amdhsa_user_sgpr_count 4
		.amdhsa_user_sgpr_dispatch_ptr 1
		.amdhsa_user_sgpr_queue_ptr 0
		.amdhsa_user_sgpr_kernarg_segment_ptr 1
		.amdhsa_user_sgpr_dispatch_id 0
		.amdhsa_user_sgpr_private_segment_size 0
		.amdhsa_wavefront_size32 1
		.amdhsa_uses_dynamic_stack 0
		.amdhsa_enable_private_segment 0
		.amdhsa_system_sgpr_workgroup_id_x 1
		.amdhsa_system_sgpr_workgroup_id_y 1
		.amdhsa_system_sgpr_workgroup_id_z 1
		.amdhsa_system_sgpr_workgroup_info 0
		.amdhsa_system_vgpr_workitem_id 2
		.amdhsa_next_free_vgpr 150
		.amdhsa_next_free_sgpr 52
		.amdhsa_reserve_vcc 1
		.amdhsa_float_round_mode_32 0
		.amdhsa_float_round_mode_16_64 0
		.amdhsa_float_denorm_mode_32 3
		.amdhsa_float_denorm_mode_16_64 3
		.amdhsa_fp16_overflow 0
		.amdhsa_workgroup_processor_mode 1
		.amdhsa_memory_ordered 1
		.amdhsa_forward_progress 1
		.amdhsa_inst_pref_size 156
		.amdhsa_round_robin_scheduling 0
		.amdhsa_exception_fp_ieee_invalid_op 0
		.amdhsa_exception_fp_denorm_src 0
		.amdhsa_exception_fp_ieee_div_zero 0
		.amdhsa_exception_fp_ieee_overflow 0
		.amdhsa_exception_fp_ieee_underflow 0
		.amdhsa_exception_fp_ieee_inexact 0
		.amdhsa_exception_int_div_zero 0
	.end_amdhsa_kernel
	.section	.text._ZL18flash_attn_ext_vecILi64ELi2EL9ggml_type3ELS0_2ELb0EEvPKcS2_S2_S2_S2_PKiPfP15HIP_vector_typeIfLj2EEffffjfiS6_IjLj3EEiiiiiiiiiiiliiliiiiil,"axG",@progbits,_ZL18flash_attn_ext_vecILi64ELi2EL9ggml_type3ELS0_2ELb0EEvPKcS2_S2_S2_S2_PKiPfP15HIP_vector_typeIfLj2EEffffjfiS6_IjLj3EEiiiiiiiiiiiliiliiiiil,comdat
.Lfunc_end9:
	.size	_ZL18flash_attn_ext_vecILi64ELi2EL9ggml_type3ELS0_2ELb0EEvPKcS2_S2_S2_S2_PKiPfP15HIP_vector_typeIfLj2EEffffjfiS6_IjLj3EEiiiiiiiiiiiliiliiiiil, .Lfunc_end9-_ZL18flash_attn_ext_vecILi64ELi2EL9ggml_type3ELS0_2ELb0EEvPKcS2_S2_S2_S2_PKiPfP15HIP_vector_typeIfLj2EEffffjfiS6_IjLj3EEiiiiiiiiiiiliiliiiiil
                                        ; -- End function
	.set _ZL18flash_attn_ext_vecILi64ELi2EL9ggml_type3ELS0_2ELb0EEvPKcS2_S2_S2_S2_PKiPfP15HIP_vector_typeIfLj2EEffffjfiS6_IjLj3EEiiiiiiiiiiiliiliiiiil.num_vgpr, 150
	.set _ZL18flash_attn_ext_vecILi64ELi2EL9ggml_type3ELS0_2ELb0EEvPKcS2_S2_S2_S2_PKiPfP15HIP_vector_typeIfLj2EEffffjfiS6_IjLj3EEiiiiiiiiiiiliiliiiiil.num_agpr, 0
	.set _ZL18flash_attn_ext_vecILi64ELi2EL9ggml_type3ELS0_2ELb0EEvPKcS2_S2_S2_S2_PKiPfP15HIP_vector_typeIfLj2EEffffjfiS6_IjLj3EEiiiiiiiiiiiliiliiiiil.numbered_sgpr, 52
	.set _ZL18flash_attn_ext_vecILi64ELi2EL9ggml_type3ELS0_2ELb0EEvPKcS2_S2_S2_S2_PKiPfP15HIP_vector_typeIfLj2EEffffjfiS6_IjLj3EEiiiiiiiiiiiliiliiiiil.num_named_barrier, 0
	.set _ZL18flash_attn_ext_vecILi64ELi2EL9ggml_type3ELS0_2ELb0EEvPKcS2_S2_S2_S2_PKiPfP15HIP_vector_typeIfLj2EEffffjfiS6_IjLj3EEiiiiiiiiiiiliiliiiiil.private_seg_size, 0
	.set _ZL18flash_attn_ext_vecILi64ELi2EL9ggml_type3ELS0_2ELb0EEvPKcS2_S2_S2_S2_PKiPfP15HIP_vector_typeIfLj2EEffffjfiS6_IjLj3EEiiiiiiiiiiiliiliiiiil.uses_vcc, 1
	.set _ZL18flash_attn_ext_vecILi64ELi2EL9ggml_type3ELS0_2ELb0EEvPKcS2_S2_S2_S2_PKiPfP15HIP_vector_typeIfLj2EEffffjfiS6_IjLj3EEiiiiiiiiiiiliiliiiiil.uses_flat_scratch, 0
	.set _ZL18flash_attn_ext_vecILi64ELi2EL9ggml_type3ELS0_2ELb0EEvPKcS2_S2_S2_S2_PKiPfP15HIP_vector_typeIfLj2EEffffjfiS6_IjLj3EEiiiiiiiiiiiliiliiiiil.has_dyn_sized_stack, 0
	.set _ZL18flash_attn_ext_vecILi64ELi2EL9ggml_type3ELS0_2ELb0EEvPKcS2_S2_S2_S2_PKiPfP15HIP_vector_typeIfLj2EEffffjfiS6_IjLj3EEiiiiiiiiiiiliiliiiiil.has_recursion, 0
	.set _ZL18flash_attn_ext_vecILi64ELi2EL9ggml_type3ELS0_2ELb0EEvPKcS2_S2_S2_S2_PKiPfP15HIP_vector_typeIfLj2EEffffjfiS6_IjLj3EEiiiiiiiiiiiliiliiiiil.has_indirect_call, 0
	.section	.AMDGPU.csdata,"",@progbits
; Kernel info:
; codeLenInByte = 19940
; TotalNumSgprs: 54
; NumVgprs: 150
; ScratchSize: 0
; MemoryBound: 0
; FloatMode: 240
; IeeeMode: 1
; LDSByteSize: 3584 bytes/workgroup (compile time only)
; SGPRBlocks: 0
; VGPRBlocks: 18
; NumSGPRsForWavesPerEU: 54
; NumVGPRsForWavesPerEU: 150
; Occupancy: 9
; WaveLimiterHint : 0
; COMPUTE_PGM_RSRC2:SCRATCH_EN: 0
; COMPUTE_PGM_RSRC2:USER_SGPR: 4
; COMPUTE_PGM_RSRC2:TRAP_HANDLER: 0
; COMPUTE_PGM_RSRC2:TGID_X_EN: 1
; COMPUTE_PGM_RSRC2:TGID_Y_EN: 1
; COMPUTE_PGM_RSRC2:TGID_Z_EN: 1
; COMPUTE_PGM_RSRC2:TIDIG_COMP_CNT: 2
	.section	.text._ZL25flash_attn_mask_to_KV_maxILi2EEvPK7__half2Piiii,"axG",@progbits,_ZL25flash_attn_mask_to_KV_maxILi2EEvPK7__half2Piiii,comdat
	.globl	_ZL25flash_attn_mask_to_KV_maxILi2EEvPK7__half2Piiii ; -- Begin function _ZL25flash_attn_mask_to_KV_maxILi2EEvPK7__half2Piiii
	.p2align	8
	.type	_ZL25flash_attn_mask_to_KV_maxILi2EEvPK7__half2Piiii,@function
_ZL25flash_attn_mask_to_KV_maxILi2EEvPK7__half2Piiii: ; @_ZL25flash_attn_mask_to_KV_maxILi2EEvPK7__half2Piiii
; %bb.0:
	s_load_b64 s[8:9], s[0:1], 0x0
	s_mov_b32 s2, exec_lo
	v_cmpx_gt_u32_e32 32, v0
; %bb.1:
	v_dual_mov_b32 v2, 1 :: v_dual_lshlrev_b32 v1, 2, v0
	ds_store_b32 v1, v2
; %bb.2:
	s_or_b32 exec_lo, exec_lo, s2
	s_clause 0x2
	s_load_b96 s[4:6], s[0:1], 0x10
	s_load_b64 s[2:3], s[0:1], 0x8
	s_load_b32 s1, s[0:1], 0x20
	v_dual_mov_b32 v2, 0 :: v_dual_and_b32 v1, 31, v0
	v_lshrrev_b32_e32 v3, 3, v0
	s_wait_dscnt 0x0
	s_barrier_signal -1
	s_delay_alu instid0(VALU_DEP_2)
	v_lshlrev_b32_e32 v4, 2, v1
	s_barrier_wait -1
	global_inv scope:SCOPE_SE
	s_wait_kmcnt 0x0
	s_mul_i32 s0, ttmp9, s5
	s_mul_i32 s6, s6, ttmp7
	s_lshl_b32 s0, s0, 1
	s_delay_alu instid0(SALU_CYCLE_1) | instskip(SKIP_2) | instid1(SALU_CYCLE_1)
	s_add_co_i32 s6, s6, s0
	v_cmp_eq_u32_e64 s0, 0, v1
	s_ashr_i32 s7, s6, 31
	s_lshl_b64 s[6:7], s[6:7], 2
	s_delay_alu instid0(SALU_CYCLE_1)
	s_add_nc_u64 s[6:7], s[8:9], s[6:7]
	s_lshl_b32 s8, s4, 8
	s_branch .LBB10_4
.LBB10_3:                               ;   in Loop: Header=BB10_4 Depth=1
	s_wait_alu 0xfffe
	s_or_b32 exec_lo, exec_lo, s9
	s_wait_dscnt 0x0
	s_barrier_signal -1
	s_barrier_wait -1
	global_inv scope:SCOPE_SE
	ds_load_b32 v1, v4
	s_wait_loadcnt_dscnt 0x0
	s_barrier_signal -1
	s_barrier_wait -1
	global_inv scope:SCOPE_SE
	v_cmp_ne_u32_e32 vcc_lo, 0, v1
	s_cmp_lg_u32 vcc_lo, exec_lo
	s_cselect_b32 s9, -1, 0
	s_wait_alu 0xfffe
	s_and_b32 vcc_lo, exec_lo, s9
	s_wait_alu 0xfffe
	s_cbranch_vccnz .LBB10_12
.LBB10_4:                               ; =>This Inner Loop Header: Depth=1
	s_mov_b32 s4, s8
	s_addk_co_i32 s8, 0xff00
	s_wait_alu 0xfffe
	s_cmp_lt_i32 s8, 0
	s_cbranch_scc1 .LBB10_11
; %bb.5:                                ;   in Loop: Header=BB10_4 Depth=1
	s_lshr_b32 s9, s8, 1
	s_wait_alu 0xfffe
	v_add_nc_u32_e32 v1, s9, v0
	s_delay_alu instid0(VALU_DEP_1) | instskip(NEXT) | instid1(VALU_DEP_1)
	v_lshlrev_b64_e32 v[5:6], 2, v[1:2]
	v_add_co_u32 v5, vcc_lo, s6, v5
	s_wait_alu 0xfffd
	s_delay_alu instid0(VALU_DEP_2) | instskip(SKIP_4) | instid1(VALU_DEP_2)
	v_add_co_ci_u32_e64 v6, null, s7, v6, vcc_lo
	global_load_b32 v5, v[5:6], off
	s_wait_loadcnt 0x0
	v_lshrrev_b32_e32 v6, 16, v5
	v_cmp_class_f16_e64 s9, v5, 0x204
	v_cmp_class_f16_e64 s10, v6, 0x204
	s_and_b32 s11, s9, s10
	s_mov_b32 s10, 0
	s_wait_alu 0xfffe
	s_and_saveexec_b32 s9, s11
	s_cbranch_execz .LBB10_9
; %bb.6:                                ;   in Loop: Header=BB10_4 Depth=1
	v_add_nc_u32_e32 v5, s5, v1
	s_delay_alu instid0(VALU_DEP_1) | instskip(NEXT) | instid1(VALU_DEP_1)
	v_ashrrev_i32_e32 v6, 31, v5
	v_lshlrev_b64_e32 v[5:6], 2, v[5:6]
	s_delay_alu instid0(VALU_DEP_1) | instskip(SKIP_1) | instid1(VALU_DEP_2)
	v_add_co_u32 v5, vcc_lo, s6, v5
	s_wait_alu 0xfffd
	v_add_co_ci_u32_e64 v6, null, s7, v6, vcc_lo
	global_load_b32 v1, v[5:6], off
	s_wait_loadcnt 0x0
	v_cmp_class_f16_e64 s12, v1, 0x204
	s_and_saveexec_b32 s11, s12
; %bb.7:                                ;   in Loop: Header=BB10_4 Depth=1
	v_lshrrev_b32_e32 v1, 16, v1
	s_delay_alu instid0(VALU_DEP_1)
	v_cmp_class_f16_e64 s10, v1, 0x204
	s_and_b32 s10, s10, exec_lo
; %bb.8:                                ;   in Loop: Header=BB10_4 Depth=1
	s_wait_alu 0xfffe
	s_or_b32 exec_lo, exec_lo, s11
	s_delay_alu instid0(SALU_CYCLE_1)
	s_and_b32 s10, s10, exec_lo
.LBB10_9:                               ;   in Loop: Header=BB10_4 Depth=1
	s_wait_alu 0xfffe
	s_or_b32 exec_lo, exec_lo, s9
	v_cndmask_b32_e64 v1, 0, 1, s10
	s_mov_b32 s11, exec_lo
	s_delay_alu instid0(VALU_DEP_1)
	v_cmp_ne_u32_e32 vcc_lo, 0, v1
	s_and_saveexec_b32 s9, s0
	s_cbranch_execz .LBB10_3
; %bb.10:                               ;   in Loop: Header=BB10_4 Depth=1
	s_wait_alu 0xfffe
	s_cmp_eq_u32 vcc_lo, s11
	s_cselect_b32 s10, -1, 0
	s_wait_alu 0xfffe
	v_cndmask_b32_e64 v1, 0, 1, s10
	ds_store_b32 v3, v1
	s_branch .LBB10_3
.LBB10_11:                              ;   in Loop: Header=BB10_4 Depth=1
	s_cbranch_execz .LBB10_4
.LBB10_12:
	s_mov_b32 s0, exec_lo
	v_cmpx_eq_u32_e32 0, v0
	s_cbranch_execz .LBB10_14
; %bb.13:
	s_mul_i32 s0, s1, ttmp7
	v_dual_mov_b32 v0, 0 :: v_dual_mov_b32 v1, s4
	s_add_co_i32 s0, s0, ttmp9
	s_delay_alu instid0(SALU_CYCLE_1) | instskip(NEXT) | instid1(SALU_CYCLE_1)
	s_ashr_i32 s1, s0, 31
	s_lshl_b64 s[0:1], s[0:1], 2
	s_delay_alu instid0(SALU_CYCLE_1)
	s_add_nc_u64 s[0:1], s[2:3], s[0:1]
	global_store_b32 v0, v1, s[0:1]
.LBB10_14:
	s_endpgm
	.section	.rodata,"a",@progbits
	.p2align	6, 0x0
	.amdhsa_kernel _ZL25flash_attn_mask_to_KV_maxILi2EEvPK7__half2Piiii
		.amdhsa_group_segment_fixed_size 128
		.amdhsa_private_segment_fixed_size 0
		.amdhsa_kernarg_size 288
		.amdhsa_user_sgpr_count 2
		.amdhsa_user_sgpr_dispatch_ptr 0
		.amdhsa_user_sgpr_queue_ptr 0
		.amdhsa_user_sgpr_kernarg_segment_ptr 1
		.amdhsa_user_sgpr_dispatch_id 0
		.amdhsa_user_sgpr_private_segment_size 0
		.amdhsa_wavefront_size32 1
		.amdhsa_uses_dynamic_stack 0
		.amdhsa_enable_private_segment 0
		.amdhsa_system_sgpr_workgroup_id_x 1
		.amdhsa_system_sgpr_workgroup_id_y 1
		.amdhsa_system_sgpr_workgroup_id_z 0
		.amdhsa_system_sgpr_workgroup_info 0
		.amdhsa_system_vgpr_workitem_id 0
		.amdhsa_next_free_vgpr 7
		.amdhsa_next_free_sgpr 13
		.amdhsa_reserve_vcc 1
		.amdhsa_float_round_mode_32 0
		.amdhsa_float_round_mode_16_64 0
		.amdhsa_float_denorm_mode_32 3
		.amdhsa_float_denorm_mode_16_64 3
		.amdhsa_fp16_overflow 0
		.amdhsa_workgroup_processor_mode 1
		.amdhsa_memory_ordered 1
		.amdhsa_forward_progress 1
		.amdhsa_inst_pref_size 5
		.amdhsa_round_robin_scheduling 0
		.amdhsa_exception_fp_ieee_invalid_op 0
		.amdhsa_exception_fp_denorm_src 0
		.amdhsa_exception_fp_ieee_div_zero 0
		.amdhsa_exception_fp_ieee_overflow 0
		.amdhsa_exception_fp_ieee_underflow 0
		.amdhsa_exception_fp_ieee_inexact 0
		.amdhsa_exception_int_div_zero 0
	.end_amdhsa_kernel
	.section	.text._ZL25flash_attn_mask_to_KV_maxILi2EEvPK7__half2Piiii,"axG",@progbits,_ZL25flash_attn_mask_to_KV_maxILi2EEvPK7__half2Piiii,comdat
.Lfunc_end10:
	.size	_ZL25flash_attn_mask_to_KV_maxILi2EEvPK7__half2Piiii, .Lfunc_end10-_ZL25flash_attn_mask_to_KV_maxILi2EEvPK7__half2Piiii
                                        ; -- End function
	.set _ZL25flash_attn_mask_to_KV_maxILi2EEvPK7__half2Piiii.num_vgpr, 7
	.set _ZL25flash_attn_mask_to_KV_maxILi2EEvPK7__half2Piiii.num_agpr, 0
	.set _ZL25flash_attn_mask_to_KV_maxILi2EEvPK7__half2Piiii.numbered_sgpr, 13
	.set _ZL25flash_attn_mask_to_KV_maxILi2EEvPK7__half2Piiii.num_named_barrier, 0
	.set _ZL25flash_attn_mask_to_KV_maxILi2EEvPK7__half2Piiii.private_seg_size, 0
	.set _ZL25flash_attn_mask_to_KV_maxILi2EEvPK7__half2Piiii.uses_vcc, 1
	.set _ZL25flash_attn_mask_to_KV_maxILi2EEvPK7__half2Piiii.uses_flat_scratch, 0
	.set _ZL25flash_attn_mask_to_KV_maxILi2EEvPK7__half2Piiii.has_dyn_sized_stack, 0
	.set _ZL25flash_attn_mask_to_KV_maxILi2EEvPK7__half2Piiii.has_recursion, 0
	.set _ZL25flash_attn_mask_to_KV_maxILi2EEvPK7__half2Piiii.has_indirect_call, 0
	.section	.AMDGPU.csdata,"",@progbits
; Kernel info:
; codeLenInByte = 636
; TotalNumSgprs: 15
; NumVgprs: 7
; ScratchSize: 0
; MemoryBound: 0
; FloatMode: 240
; IeeeMode: 1
; LDSByteSize: 128 bytes/workgroup (compile time only)
; SGPRBlocks: 0
; VGPRBlocks: 0
; NumSGPRsForWavesPerEU: 15
; NumVGPRsForWavesPerEU: 7
; Occupancy: 16
; WaveLimiterHint : 0
; COMPUTE_PGM_RSRC2:SCRATCH_EN: 0
; COMPUTE_PGM_RSRC2:USER_SGPR: 2
; COMPUTE_PGM_RSRC2:TRAP_HANDLER: 0
; COMPUTE_PGM_RSRC2:TGID_X_EN: 1
; COMPUTE_PGM_RSRC2:TGID_Y_EN: 1
; COMPUTE_PGM_RSRC2:TGID_Z_EN: 0
; COMPUTE_PGM_RSRC2:TIDIG_COMP_CNT: 0
	.section	.text._ZL33flash_attn_stream_k_fixup_uniformILi64ELi2ELi1EEvPfPK15HIP_vector_typeIfLj2EEiiiiiiS1_IjLj3EES5_S5_,"axG",@progbits,_ZL33flash_attn_stream_k_fixup_uniformILi64ELi2ELi1EEvPfPK15HIP_vector_typeIfLj2EEiiiiiiS1_IjLj3EES5_S5_,comdat
	.globl	_ZL33flash_attn_stream_k_fixup_uniformILi64ELi2ELi1EEvPfPK15HIP_vector_typeIfLj2EEiiiiiiS1_IjLj3EES5_S5_ ; -- Begin function _ZL33flash_attn_stream_k_fixup_uniformILi64ELi2ELi1EEvPfPK15HIP_vector_typeIfLj2EEiiiiiiS1_IjLj3EES5_S5_
	.p2align	8
	.type	_ZL33flash_attn_stream_k_fixup_uniformILi64ELi2ELi1EEvPfPK15HIP_vector_typeIfLj2EEiiiiiiS1_IjLj3EES5_S5_,@function
_ZL33flash_attn_stream_k_fixup_uniformILi64ELi2ELi1EEvPfPK15HIP_vector_typeIfLj2EEiiiiiiS1_IjLj3EES5_S5_: ; @_ZL33flash_attn_stream_k_fixup_uniformILi64ELi2ELi1EEvPfPK15HIP_vector_typeIfLj2EEiiiiiiS1_IjLj3EES5_S5_
; %bb.0:
	s_clause 0x1
	s_load_b256 s[4:11], s[0:1], 0x1c
	s_load_b128 s[12:15], s[0:1], 0x3c
	s_wait_kmcnt 0x0
	s_mul_hi_u32 s2, s7, ttmp9
	s_delay_alu instid0(SALU_CYCLE_1) | instskip(NEXT) | instid1(SALU_CYCLE_1)
	s_add_co_i32 s2, ttmp9, s2
	s_lshr_b32 s2, s2, s8
	s_delay_alu instid0(SALU_CYCLE_1) | instskip(SKIP_2) | instid1(SALU_CYCLE_1)
	s_mul_i32 s3, s2, s9
	s_load_b64 s[8:9], s[0:1], 0x10
	s_sub_co_i32 s7, ttmp9, s3
	s_mul_hi_u32 s3, s7, s10
	s_delay_alu instid0(SALU_CYCLE_1) | instskip(NEXT) | instid1(SALU_CYCLE_1)
	s_add_co_i32 s3, s7, s3
	s_lshr_b32 s3, s3, s11
	s_delay_alu instid0(SALU_CYCLE_1) | instskip(NEXT) | instid1(SALU_CYCLE_1)
	s_mul_i32 s10, s3, s12
	s_sub_co_i32 s7, s7, s10
	s_delay_alu instid0(SALU_CYCLE_1) | instskip(NEXT) | instid1(SALU_CYCLE_1)
	s_mul_hi_u32 s10, s7, s13
	s_add_co_i32 s10, s7, s10
	s_delay_alu instid0(SALU_CYCLE_1) | instskip(NEXT) | instid1(SALU_CYCLE_1)
	s_lshr_b32 s11, s10, s14
	s_mul_i32 s10, s11, s15
	s_delay_alu instid0(SALU_CYCLE_1) | instskip(SKIP_2) | instid1(SALU_CYCLE_1)
	s_sub_co_i32 s12, s7, s10
	s_and_b32 s7, ttmp7, 0xffff
	s_lshl_b32 s10, s12, 1
	s_add_co_i32 s13, s10, s7
	s_lshr_b32 s10, ttmp7, 16
	s_wait_kmcnt 0x0
	s_cmp_lt_i32 s13, s8
	s_cselect_b32 s13, -1, 0
	s_add_co_i32 s14, s11, s10
	s_delay_alu instid0(SALU_CYCLE_1) | instskip(SKIP_1) | instid1(SALU_CYCLE_1)
	s_cmp_lt_i32 s14, s5
	s_cselect_b32 s14, -1, 0
	s_and_b32 s13, s13, s14
	s_delay_alu instid0(SALU_CYCLE_1)
	s_and_not1_b32 vcc_lo, exec_lo, s13
	s_cbranch_vccnz .LBB11_6
; %bb.1:
	s_mul_i32 s2, s2, s8
	s_mul_i32 s5, s3, s5
	s_add_co_i32 s2, s2, s7
	s_delay_alu instid0(SALU_CYCLE_1) | instskip(NEXT) | instid1(SALU_CYCLE_1)
	s_mul_i32 s2, s2, s9
	s_add_co_i32 s8, s2, s10
	s_load_b128 s[0:3], s[0:1], 0x0
	s_add_co_i32 s5, s8, s5
	s_mul_i32 s8, s9, s12
	s_add_co_i32 s5, s5, s11
	s_lshl_b32 s8, s8, 7
	s_lshl_b32 s5, s5, 6
	s_add_co_i32 s9, s7, s10
	s_add_co_i32 s8, s8, s5
	s_delay_alu instid0(SALU_CYCLE_1) | instskip(SKIP_3) | instid1(SALU_CYCLE_1)
	v_or_b32_e32 v1, s8, v0
	s_mul_i32 s8, s6, ttmp9
	s_wait_alu 0xfffe
	s_add_co_i32 s5, s8, s6
	s_add_co_i32 s7, s5, -2
	v_ashrrev_i32_e32 v2, 31, v1
	s_delay_alu instid0(VALU_DEP_1) | instskip(SKIP_1) | instid1(VALU_DEP_1)
	v_lshlrev_b64_e32 v[1:2], 2, v[1:2]
	s_wait_kmcnt 0x0
	v_add_co_u32 v1, vcc_lo, s0, v1
	s_delay_alu instid0(VALU_DEP_1)
	v_add_co_ci_u32_e64 v2, null, s1, v2, vcc_lo
	s_lshl_b32 s0, s5, 1
	s_wait_alu 0xfffe
	s_add_co_i32 s0, s9, s0
	global_load_b32 v5, v[1:2], off
	s_wait_alu 0xfffe
	s_add_co_i32 s0, s0, -2
	s_wait_alu 0xfffe
	s_ashr_i32 s1, s0, 31
	s_wait_alu 0xfffe
	s_lshl_b64 s[0:1], s[0:1], 3
	s_cmp_lt_i32 s7, s8
	s_wait_alu 0xfffe
	s_add_nc_u64 s[0:1], s[2:3], s[0:1]
	s_load_b32 s10, s[0:1], 0x4
	s_cbranch_scc1 .LBB11_4
; %bb.2:
	s_load_b32 s0, s[0:1], 0x0
	s_add_co_i32 s7, ttmp9, 1
	s_wait_kmcnt 0x0
	v_mov_b32_e32 v6, s10
	s_mul_i32 s1, s6, s7
	s_lshl_b32 s7, s9, 6
	s_wait_alu 0xfffe
	s_lshl_b32 s11, s1, 7
	s_lshl_b32 s6, s4, 3
	s_wait_alu 0xfffe
	s_add_co_i32 s11, s7, s11
	s_lshl_b32 s1, s1, 1
	s_wait_alu 0xfffe
	v_or_b32_e32 v0, s11, v0
	s_ashr_i32 s7, s6, 31
	s_add_co_i32 s1, s9, s1
	s_lshl_b32 s4, s4, 1
	s_lshl_b64 s[6:7], s[6:7], 2
	v_add_nc_u32_e32 v3, 0xffffff00, v0
	s_wait_alu 0xfffe
	s_add_co_i32 s4, s1, s4
	s_add_nc_u64 s[6:7], s[2:3], s[6:7]
	s_add_co_i32 s1, s5, -1
	s_add_co_i32 s4, s4, -4
.LBB11_3:                               ; =>This Inner Loop Header: Depth=1
	v_ashrrev_i32_e32 v4, 31, v3
	s_ashr_i32 s5, s4, 31
	v_mov_b32_e32 v10, v6
	s_lshl_b64 s[10:11], s[4:5], 3
	s_wait_loadcnt 0x0
	v_mov_b32_e32 v9, v5
	v_lshlrev_b64_e32 v[7:8], 2, v[3:4]
	s_wait_alu 0xfffe
	s_add_nc_u64 s[10:11], s[2:3], s[10:11]
	v_max_num_f32_e64 v4, s0, s0
	s_load_b64 s[10:11], s[10:11], 0x0
	v_add_nc_u32_e32 v3, 0xffffff80, v3
	v_add_co_u32 v7, vcc_lo, s6, v7
	s_wait_alu 0xfffd
	v_add_co_ci_u32_e64 v8, null, s7, v8, vcc_lo
	v_readfirstlane_b32 s5, v4
	global_load_b32 v0, v[7:8], off
	s_wait_kmcnt 0x0
	v_max_num_f32_e64 v4, s10, s10
	s_delay_alu instid0(VALU_DEP_1) | instskip(SKIP_1) | instid1(SALU_CYCLE_3)
	v_readfirstlane_b32 s9, v4
	s_max_num_f32 s5, s5, s9
	s_sub_f32 s0, s0, s5
	s_sub_f32 s9, s10, s5
	s_wait_alu 0xfffe
	s_delay_alu instid0(SALU_CYCLE_1) | instskip(NEXT) | instid1(SALU_CYCLE_1)
	s_mul_f32 s10, s0, 0x3fb8aa3b
	s_mul_f32 s12, s9, 0x3fb8aa3b
	s_wait_alu 0xfffe
	s_delay_alu instid0(SALU_CYCLE_1)
	s_xor_b32 s13, s10, 0x80000000
	s_rndne_f32 s14, s10
	s_fmamk_f32 s13, s0, 0x3fb8aa3b, s13
	s_cmp_nlt_f32 s0, 0xc2ce8ed0
	s_rndne_f32 s15, s12
	s_wait_alu 0xfffe
	s_sub_f32 s10, s10, s14
	s_fmamk_f32 s13, s0, 0x32a5705f, s13
	s_cvt_i32_f32 s14, s14
	s_cselect_b32 vcc_lo, -1, 0
	s_cmp_ngt_f32 s0, 0x42b17218
	s_wait_alu 0xfffe
	s_add_f32 s10, s10, s13
	s_sub_f32 s13, s12, s15
	s_wait_alu 0xfffe
	s_delay_alu instid0(SALU_CYCLE_1) | instskip(SKIP_1) | instid1(TRANS32_DEP_1)
	v_s_exp_f32 s10, s10
	s_wait_alu 0xf1ff
	v_ldexp_f32 v4, s10, s14
	s_cvt_i32_f32 s10, s15
	s_delay_alu instid0(VALU_DEP_1) | instskip(SKIP_3) | instid1(VALU_DEP_1)
	v_cndmask_b32_e32 v4, 0, v4, vcc_lo
	s_cselect_b32 vcc_lo, -1, 0
	s_cmp_ge_f32 s0, 0xc1a00000
	s_wait_alu 0xfffe
	v_cndmask_b32_e32 v4, 0x7f800000, v4, vcc_lo
	s_cselect_b32 vcc_lo, -1, 0
	s_xor_b32 s0, s12, 0x80000000
	s_cmp_nlt_f32 s9, 0xc2ce8ed0
	s_wait_alu 0xfffe
	s_fmamk_f32 s0, s9, 0x3fb8aa3b, s0
	s_wait_alu 0xfffe
	s_delay_alu instid0(SALU_CYCLE_2) | instskip(SKIP_1) | instid1(SALU_CYCLE_2)
	s_fmamk_f32 s0, s9, 0x32a5705f, s0
	s_wait_alu 0xfffe
	s_add_f32 s0, s13, s0
	s_wait_alu 0xfffe
	s_delay_alu instid0(SALU_CYCLE_2) | instskip(SKIP_1) | instid1(TRANS32_DEP_1)
	v_s_exp_f32 s0, s0
	s_wait_alu 0xf1ff
	v_ldexp_f32 v7, s0, s10
	s_cselect_b32 s0, -1, 0
	s_cmp_ngt_f32 s9, 0x42b17218
	s_wait_alu 0xfffe
	s_delay_alu instid0(VALU_DEP_1) | instskip(SKIP_3) | instid1(VALU_DEP_1)
	v_cndmask_b32_e64 v7, 0, v7, s0
	s_cselect_b32 s0, -1, 0
	s_cmp_ge_f32 s9, 0xc1a00000
	s_wait_alu 0xfffe
	v_cndmask_b32_e64 v7, 0x7f800000, v7, s0
	s_cselect_b32 s0, -1, 0
	s_add_co_i32 s1, s1, -1
	s_add_co_i32 s4, s4, -2
	s_wait_alu 0xfffe
	s_cmp_le_i32 s1, s8
	v_cndmask_b32_e64 v7, 0, v7, s0
	s_mov_b32 s0, s5
	s_wait_loadcnt 0x0
	s_delay_alu instid0(VALU_DEP_1) | instskip(NEXT) | instid1(VALU_DEP_1)
	v_dual_mul_f32 v5, v0, v7 :: v_dual_cndmask_b32 v4, 0, v4
	v_dual_mul_f32 v8, s11, v7 :: v_dual_fmac_f32 v5, v9, v4
	s_delay_alu instid0(VALU_DEP_1) | instskip(NEXT) | instid1(VALU_DEP_1)
	v_mov_b32_e32 v6, v8
	v_fmac_f32_e32 v6, v10, v4
	s_cbranch_scc0 .LBB11_3
	s_branch .LBB11_5
.LBB11_4:
	s_wait_kmcnt 0x0
	v_mov_b32_e32 v6, s10
.LBB11_5:
	s_wait_loadcnt 0x0
	s_delay_alu instid0(VALU_DEP_1) | instskip(NEXT) | instid1(VALU_DEP_1)
	v_div_scale_f32 v0, null, v6, v6, v5
	v_rcp_f32_e32 v3, v0
	s_delay_alu instid0(TRANS32_DEP_1) | instskip(NEXT) | instid1(VALU_DEP_1)
	v_fma_f32 v4, -v0, v3, 1.0
	v_fmac_f32_e32 v3, v4, v3
	v_div_scale_f32 v4, vcc_lo, v5, v6, v5
	s_delay_alu instid0(VALU_DEP_1) | instskip(NEXT) | instid1(VALU_DEP_1)
	v_mul_f32_e32 v7, v4, v3
	v_fma_f32 v8, -v0, v7, v4
	s_delay_alu instid0(VALU_DEP_1) | instskip(NEXT) | instid1(VALU_DEP_1)
	v_fmac_f32_e32 v7, v8, v3
	v_fma_f32 v0, -v0, v7, v4
	s_wait_alu 0xfffd
	s_delay_alu instid0(VALU_DEP_1) | instskip(NEXT) | instid1(VALU_DEP_1)
	v_div_fmas_f32 v0, v0, v3, v7
	v_div_fixup_f32 v0, v0, v6, v5
	global_store_b32 v[1:2], v0, off
.LBB11_6:
	s_endpgm
	.section	.rodata,"a",@progbits
	.p2align	6, 0x0
	.amdhsa_kernel _ZL33flash_attn_stream_k_fixup_uniformILi64ELi2ELi1EEvPfPK15HIP_vector_typeIfLj2EEiiiiiiS1_IjLj3EES5_S5_
		.amdhsa_group_segment_fixed_size 0
		.amdhsa_private_segment_fixed_size 0
		.amdhsa_kernarg_size 76
		.amdhsa_user_sgpr_count 2
		.amdhsa_user_sgpr_dispatch_ptr 0
		.amdhsa_user_sgpr_queue_ptr 0
		.amdhsa_user_sgpr_kernarg_segment_ptr 1
		.amdhsa_user_sgpr_dispatch_id 0
		.amdhsa_user_sgpr_private_segment_size 0
		.amdhsa_wavefront_size32 1
		.amdhsa_uses_dynamic_stack 0
		.amdhsa_enable_private_segment 0
		.amdhsa_system_sgpr_workgroup_id_x 1
		.amdhsa_system_sgpr_workgroup_id_y 1
		.amdhsa_system_sgpr_workgroup_id_z 1
		.amdhsa_system_sgpr_workgroup_info 0
		.amdhsa_system_vgpr_workitem_id 0
		.amdhsa_next_free_vgpr 11
		.amdhsa_next_free_sgpr 16
		.amdhsa_reserve_vcc 1
		.amdhsa_float_round_mode_32 0
		.amdhsa_float_round_mode_16_64 0
		.amdhsa_float_denorm_mode_32 3
		.amdhsa_float_denorm_mode_16_64 3
		.amdhsa_fp16_overflow 0
		.amdhsa_workgroup_processor_mode 1
		.amdhsa_memory_ordered 1
		.amdhsa_forward_progress 1
		.amdhsa_inst_pref_size 9
		.amdhsa_round_robin_scheduling 0
		.amdhsa_exception_fp_ieee_invalid_op 0
		.amdhsa_exception_fp_denorm_src 0
		.amdhsa_exception_fp_ieee_div_zero 0
		.amdhsa_exception_fp_ieee_overflow 0
		.amdhsa_exception_fp_ieee_underflow 0
		.amdhsa_exception_fp_ieee_inexact 0
		.amdhsa_exception_int_div_zero 0
	.end_amdhsa_kernel
	.section	.text._ZL33flash_attn_stream_k_fixup_uniformILi64ELi2ELi1EEvPfPK15HIP_vector_typeIfLj2EEiiiiiiS1_IjLj3EES5_S5_,"axG",@progbits,_ZL33flash_attn_stream_k_fixup_uniformILi64ELi2ELi1EEvPfPK15HIP_vector_typeIfLj2EEiiiiiiS1_IjLj3EES5_S5_,comdat
.Lfunc_end11:
	.size	_ZL33flash_attn_stream_k_fixup_uniformILi64ELi2ELi1EEvPfPK15HIP_vector_typeIfLj2EEiiiiiiS1_IjLj3EES5_S5_, .Lfunc_end11-_ZL33flash_attn_stream_k_fixup_uniformILi64ELi2ELi1EEvPfPK15HIP_vector_typeIfLj2EEiiiiiiS1_IjLj3EES5_S5_
                                        ; -- End function
	.set _ZL33flash_attn_stream_k_fixup_uniformILi64ELi2ELi1EEvPfPK15HIP_vector_typeIfLj2EEiiiiiiS1_IjLj3EES5_S5_.num_vgpr, 11
	.set _ZL33flash_attn_stream_k_fixup_uniformILi64ELi2ELi1EEvPfPK15HIP_vector_typeIfLj2EEiiiiiiS1_IjLj3EES5_S5_.num_agpr, 0
	.set _ZL33flash_attn_stream_k_fixup_uniformILi64ELi2ELi1EEvPfPK15HIP_vector_typeIfLj2EEiiiiiiS1_IjLj3EES5_S5_.numbered_sgpr, 16
	.set _ZL33flash_attn_stream_k_fixup_uniformILi64ELi2ELi1EEvPfPK15HIP_vector_typeIfLj2EEiiiiiiS1_IjLj3EES5_S5_.num_named_barrier, 0
	.set _ZL33flash_attn_stream_k_fixup_uniformILi64ELi2ELi1EEvPfPK15HIP_vector_typeIfLj2EEiiiiiiS1_IjLj3EES5_S5_.private_seg_size, 0
	.set _ZL33flash_attn_stream_k_fixup_uniformILi64ELi2ELi1EEvPfPK15HIP_vector_typeIfLj2EEiiiiiiS1_IjLj3EES5_S5_.uses_vcc, 1
	.set _ZL33flash_attn_stream_k_fixup_uniformILi64ELi2ELi1EEvPfPK15HIP_vector_typeIfLj2EEiiiiiiS1_IjLj3EES5_S5_.uses_flat_scratch, 0
	.set _ZL33flash_attn_stream_k_fixup_uniformILi64ELi2ELi1EEvPfPK15HIP_vector_typeIfLj2EEiiiiiiS1_IjLj3EES5_S5_.has_dyn_sized_stack, 0
	.set _ZL33flash_attn_stream_k_fixup_uniformILi64ELi2ELi1EEvPfPK15HIP_vector_typeIfLj2EEiiiiiiS1_IjLj3EES5_S5_.has_recursion, 0
	.set _ZL33flash_attn_stream_k_fixup_uniformILi64ELi2ELi1EEvPfPK15HIP_vector_typeIfLj2EEiiiiiiS1_IjLj3EES5_S5_.has_indirect_call, 0
	.section	.AMDGPU.csdata,"",@progbits
; Kernel info:
; codeLenInByte = 1120
; TotalNumSgprs: 18
; NumVgprs: 11
; ScratchSize: 0
; MemoryBound: 0
; FloatMode: 240
; IeeeMode: 1
; LDSByteSize: 0 bytes/workgroup (compile time only)
; SGPRBlocks: 0
; VGPRBlocks: 1
; NumSGPRsForWavesPerEU: 18
; NumVGPRsForWavesPerEU: 11
; Occupancy: 16
; WaveLimiterHint : 0
; COMPUTE_PGM_RSRC2:SCRATCH_EN: 0
; COMPUTE_PGM_RSRC2:USER_SGPR: 2
; COMPUTE_PGM_RSRC2:TRAP_HANDLER: 0
; COMPUTE_PGM_RSRC2:TGID_X_EN: 1
; COMPUTE_PGM_RSRC2:TGID_Y_EN: 1
; COMPUTE_PGM_RSRC2:TGID_Z_EN: 1
; COMPUTE_PGM_RSRC2:TIDIG_COMP_CNT: 0
	.section	.text._ZL33flash_attn_stream_k_fixup_generalILi64ELi2ELi1EEvPfPK15HIP_vector_typeIfLj2EEiiiiS1_IjLj3EES5_S5_S5_,"axG",@progbits,_ZL33flash_attn_stream_k_fixup_generalILi64ELi2ELi1EEvPfPK15HIP_vector_typeIfLj2EEiiiiS1_IjLj3EES5_S5_S5_,comdat
	.globl	_ZL33flash_attn_stream_k_fixup_generalILi64ELi2ELi1EEvPfPK15HIP_vector_typeIfLj2EEiiiiS1_IjLj3EES5_S5_S5_ ; -- Begin function _ZL33flash_attn_stream_k_fixup_generalILi64ELi2ELi1EEvPfPK15HIP_vector_typeIfLj2EEiiiiS1_IjLj3EES5_S5_S5_
	.p2align	8
	.type	_ZL33flash_attn_stream_k_fixup_generalILi64ELi2ELi1EEvPfPK15HIP_vector_typeIfLj2EEiiiiS1_IjLj3EES5_S5_S5_,@function
_ZL33flash_attn_stream_k_fixup_generalILi64ELi2ELi1EEvPfPK15HIP_vector_typeIfLj2EEiiiiS1_IjLj3EES5_S5_S5_: ; @_ZL33flash_attn_stream_k_fixup_generalILi64ELi2ELi1EEvPfPK15HIP_vector_typeIfLj2EEiiiiS1_IjLj3EES5_S5_S5_
; %bb.0:
	s_clause 0x1
	s_load_b128 s[4:7], s[0:1], 0x10
	s_load_b32 s16, s[0:1], 0x50
	s_mov_b32 s2, ttmp9
	s_ashr_i32 s3, ttmp9, 31
	s_mov_b32 s17, 0
	s_delay_alu instid0(SALU_CYCLE_1) | instskip(SKIP_3) | instid1(SALU_CYCLE_1)
	s_mov_b32 s8, s17
	s_wait_kmcnt 0x0
	s_ashr_i32 s19, s7, 31
	s_mov_b32 s18, s7
	s_mul_u64 s[2:3], s[18:19], s[2:3]
	s_delay_alu instid0(SALU_CYCLE_1) | instskip(NEXT) | instid1(SALU_CYCLE_1)
	s_mov_b32 s9, s3
	s_cmp_lg_u64 s[8:9], 0
	s_cbranch_scc0 .LBB12_21
; %bb.1:
	s_add_nc_u64 s[8:9], s[16:17], 0
	s_mov_b32 s15, s17
	s_xor_b64 s[8:9], s[8:9], 0
	s_mov_b32 s23, s17
	s_cvt_f32_u32 s7, s8
	s_cvt_f32_u32 s10, s9
	s_sub_nc_u64 s[12:13], 0, s[8:9]
	s_delay_alu instid0(SALU_CYCLE_2) | instskip(NEXT) | instid1(SALU_CYCLE_3)
	s_fmamk_f32 s7, s10, 0x4f800000, s7
	v_s_rcp_f32 s7, s7
	s_delay_alu instid0(TRANS32_DEP_1) | instskip(SKIP_1) | instid1(SALU_CYCLE_2)
	s_mul_f32 s7, s7, 0x5f7ffffc
	s_wait_alu 0xfffe
	s_mul_f32 s10, s7, 0x2f800000
	s_delay_alu instid0(SALU_CYCLE_3) | instskip(NEXT) | instid1(SALU_CYCLE_3)
	s_trunc_f32 s10, s10
	s_fmamk_f32 s7, s10, 0xcf800000, s7
	s_cvt_u32_f32 s11, s10
	s_wait_alu 0xfffe
	s_delay_alu instid0(SALU_CYCLE_1) | instskip(NEXT) | instid1(SALU_CYCLE_3)
	s_cvt_u32_f32 s10, s7
	s_mul_u64 s[20:21], s[12:13], s[10:11]
	s_delay_alu instid0(SALU_CYCLE_1)
	s_mul_hi_u32 s25, s10, s21
	s_mul_i32 s24, s10, s21
	s_mul_hi_u32 s14, s10, s20
	s_mul_i32 s22, s11, s20
	s_add_nc_u64 s[14:15], s[14:15], s[24:25]
	s_mul_hi_u32 s7, s11, s20
	s_mul_hi_u32 s26, s11, s21
	s_add_co_u32 s14, s14, s22
	s_wait_alu 0xfffe
	s_add_co_ci_u32 s22, s15, s7
	s_mul_i32 s20, s11, s21
	s_add_co_ci_u32 s21, s26, 0
	s_delay_alu instid0(SALU_CYCLE_1)
	s_add_nc_u64 s[14:15], s[22:23], s[20:21]
	s_mov_b32 s21, s17
	s_add_co_u32 s10, s10, s14
	s_cselect_b32 s7, -1, 0
	s_wait_alu 0xfffe
	s_cmp_lg_u32 s7, 0
	s_add_co_ci_u32 s11, s11, s15
	s_mov_b32 s15, s17
	s_mul_u64 s[12:13], s[12:13], s[10:11]
	s_delay_alu instid0(SALU_CYCLE_1)
	s_mul_hi_u32 s23, s10, s13
	s_mul_i32 s22, s10, s13
	s_mul_hi_u32 s14, s10, s12
	s_mul_i32 s20, s11, s12
	s_add_nc_u64 s[14:15], s[14:15], s[22:23]
	s_mul_hi_u32 s7, s11, s12
	s_mul_hi_u32 s24, s11, s13
	s_mul_i32 s12, s11, s13
	s_add_co_u32 s13, s14, s20
	s_wait_alu 0xfffe
	s_add_co_ci_u32 s20, s15, s7
	s_add_co_ci_u32 s13, s24, 0
	s_mov_b32 s15, s17
	s_add_nc_u64 s[12:13], s[20:21], s[12:13]
	s_delay_alu instid0(SALU_CYCLE_1) | instskip(SKIP_1) | instid1(SALU_CYCLE_1)
	s_add_co_u32 s7, s10, s12
	s_cselect_b32 s10, -1, 0
	s_cmp_lg_u32 s10, 0
	s_add_co_ci_u32 s20, s11, s13
	s_ashr_i32 s10, s3, 31
	s_delay_alu instid0(SALU_CYCLE_1) | instskip(NEXT) | instid1(SALU_CYCLE_1)
	s_mov_b32 s11, s10
	s_add_nc_u64 s[12:13], s[2:3], s[10:11]
	s_delay_alu instid0(SALU_CYCLE_1) | instskip(NEXT) | instid1(SALU_CYCLE_1)
	s_xor_b64 s[12:13], s[12:13], s[10:11]
	s_mul_hi_u32 s23, s12, s20
	s_mul_i32 s22, s12, s20
	s_wait_alu 0xfffe
	s_mul_hi_u32 s14, s12, s7
	s_mul_hi_u32 s24, s13, s7
	s_mul_i32 s7, s13, s7
	s_add_nc_u64 s[14:15], s[14:15], s[22:23]
	s_mul_hi_u32 s3, s13, s20
	s_wait_alu 0xfffe
	s_add_co_u32 s7, s14, s7
	s_mul_i32 s22, s13, s20
	s_add_co_ci_u32 s20, s15, s24
	s_add_co_ci_u32 s23, s3, 0
	s_delay_alu instid0(SALU_CYCLE_1) | instskip(NEXT) | instid1(SALU_CYCLE_1)
	s_add_nc_u64 s[14:15], s[20:21], s[22:23]
	s_mul_u64 s[20:21], s[8:9], s[14:15]
	s_delay_alu instid0(SALU_CYCLE_1)
	s_sub_co_u32 s3, s12, s20
	s_cselect_b32 s7, -1, 0
	s_sub_co_i32 s12, s13, s21
	s_wait_alu 0xfffe
	s_cmp_lg_u32 s7, 0
	s_sub_co_ci_u32 s12, s12, s9
	s_sub_co_u32 s20, s3, s8
	s_cselect_b32 s22, -1, 0
	s_delay_alu instid0(SALU_CYCLE_1) | instskip(SKIP_2) | instid1(SALU_CYCLE_1)
	s_cmp_lg_u32 s22, 0
	s_add_nc_u64 s[22:23], s[14:15], 1
	s_sub_co_ci_u32 s12, s12, 0
	s_cmp_ge_u32 s12, s9
	s_cselect_b32 s24, -1, 0
	s_cmp_ge_u32 s20, s8
	s_cselect_b32 s20, -1, 0
	s_cmp_eq_u32 s12, s9
	s_cselect_b32 s12, s20, s24
	s_add_nc_u64 s[24:25], s[14:15], 2
	s_cmp_lg_u32 s12, 0
	s_cselect_b32 s12, s24, s22
	s_cselect_b32 s20, s25, s23
	s_cmp_lg_u32 s7, 0
	s_sub_co_ci_u32 s7, s13, s21
	s_wait_alu 0xfffe
	s_cmp_ge_u32 s7, s9
	s_cselect_b32 s13, -1, 0
	s_cmp_ge_u32 s3, s8
	s_cselect_b32 s3, -1, 0
	s_cmp_eq_u32 s7, s9
	s_cselect_b32 s3, s3, s13
	s_delay_alu instid0(SALU_CYCLE_1) | instskip(SKIP_4) | instid1(SALU_CYCLE_1)
	s_cmp_lg_u32 s3, 0
	s_mov_b32 s3, s17
	s_cselect_b32 s9, s20, s15
	s_cselect_b32 s8, s12, s14
	s_xor_b64 s[10:11], s[10:11], 0
	s_xor_b64 s[8:9], s[8:9], s[10:11]
	s_delay_alu instid0(SALU_CYCLE_1)
	s_sub_nc_u64 s[20:21], s[8:9], s[10:11]
	s_and_not1_b32 vcc_lo, exec_lo, s3
	s_cbranch_vccnz .LBB12_3
.LBB12_2:
	v_cvt_f32_u32_e32 v1, s16
	s_sub_co_i32 s7, 0, s16
	s_delay_alu instid0(VALU_DEP_1) | instskip(NEXT) | instid1(TRANS32_DEP_1)
	v_rcp_iflag_f32_e32 v1, v1
	v_mul_f32_e32 v1, 0x4f7ffffe, v1
	s_delay_alu instid0(VALU_DEP_1) | instskip(NEXT) | instid1(VALU_DEP_1)
	v_cvt_u32_f32_e32 v1, v1
	v_readfirstlane_b32 s3, v1
	s_wait_alu 0xfffe
	s_mul_i32 s7, s7, s3
	s_wait_alu 0xfffe
	s_mul_hi_u32 s7, s3, s7
	s_wait_alu 0xfffe
	s_add_co_i32 s3, s3, s7
	s_delay_alu instid0(SALU_CYCLE_1) | instskip(NEXT) | instid1(SALU_CYCLE_1)
	s_mul_hi_u32 s3, s2, s3
	s_mul_i32 s7, s3, s16
	s_wait_alu 0xfffe
	s_sub_co_i32 s2, s2, s7
	s_add_co_i32 s7, s3, 1
	s_sub_co_i32 s8, s2, s16
	s_cmp_ge_u32 s2, s16
	s_wait_alu 0xfffe
	s_cselect_b32 s3, s7, s3
	s_cselect_b32 s2, s8, s2
	s_add_co_i32 s7, s3, 1
	s_cmp_ge_u32 s2, s16
	s_wait_alu 0xfffe
	s_cselect_b32 s20, s7, s3
.LBB12_3:
	s_add_co_i32 s2, ttmp9, 1
	s_mov_b32 s8, 0
	s_ashr_i32 s3, s2, 31
	s_delay_alu instid0(SALU_CYCLE_1) | instskip(NEXT) | instid1(SALU_CYCLE_1)
	s_mul_u64 s[2:3], s[18:19], s[2:3]
	s_mov_b32 s9, s3
	s_delay_alu instid0(SALU_CYCLE_1)
	s_cmp_lg_u64 s[8:9], 0
	s_cbranch_scc0 .LBB12_22
; %bb.4:
	s_add_nc_u64 s[10:11], s[16:17], 0
	s_mov_b32 s23, s8
	s_xor_b64 s[10:11], s[10:11], 0
	s_mov_b32 s27, s8
	s_cvt_f32_u32 s7, s10
	s_cvt_f32_u32 s9, s11
	s_sub_nc_u64 s[14:15], 0, s[10:11]
	s_wait_alu 0xfffe
	s_delay_alu instid0(SALU_CYCLE_1) | instskip(SKIP_1) | instid1(SALU_CYCLE_2)
	s_fmamk_f32 s7, s9, 0x4f800000, s7
	s_wait_alu 0xfffe
	v_s_rcp_f32 s7, s7
	s_delay_alu instid0(TRANS32_DEP_1) | instskip(SKIP_1) | instid1(SALU_CYCLE_2)
	s_mul_f32 s7, s7, 0x5f7ffffc
	s_wait_alu 0xfffe
	s_mul_f32 s9, s7, 0x2f800000
	s_delay_alu instid0(SALU_CYCLE_3) | instskip(NEXT) | instid1(SALU_CYCLE_3)
	s_trunc_f32 s9, s9
	s_fmamk_f32 s7, s9, 0xcf800000, s7
	s_cvt_u32_f32 s13, s9
	s_wait_alu 0xfffe
	s_delay_alu instid0(SALU_CYCLE_1) | instskip(NEXT) | instid1(SALU_CYCLE_3)
	s_cvt_u32_f32 s12, s7
	s_mul_u64 s[24:25], s[14:15], s[12:13]
	s_delay_alu instid0(SALU_CYCLE_1)
	s_mul_hi_u32 s29, s12, s25
	s_mul_i32 s28, s12, s25
	s_mul_hi_u32 s22, s12, s24
	s_mul_i32 s9, s13, s24
	s_add_nc_u64 s[22:23], s[22:23], s[28:29]
	s_mul_hi_u32 s7, s13, s24
	s_mul_hi_u32 s21, s13, s25
	s_add_co_u32 s9, s22, s9
	s_wait_alu 0xfffe
	s_add_co_ci_u32 s26, s23, s7
	s_mul_i32 s24, s13, s25
	s_add_co_ci_u32 s25, s21, 0
	s_delay_alu instid0(SALU_CYCLE_1)
	s_add_nc_u64 s[22:23], s[26:27], s[24:25]
	s_mov_b32 s25, s8
	s_add_co_u32 s12, s12, s22
	s_cselect_b32 s7, -1, 0
	s_wait_alu 0xfffe
	s_cmp_lg_u32 s7, 0
	s_add_co_ci_u32 s13, s13, s23
	s_mov_b32 s23, s8
	s_mul_u64 s[14:15], s[14:15], s[12:13]
	s_delay_alu instid0(SALU_CYCLE_1)
	s_mul_hi_u32 s27, s12, s15
	s_mul_i32 s26, s12, s15
	s_mul_hi_u32 s22, s12, s14
	s_mul_i32 s9, s13, s14
	s_add_nc_u64 s[22:23], s[22:23], s[26:27]
	s_mul_hi_u32 s7, s13, s14
	s_mul_hi_u32 s21, s13, s15
	s_add_co_u32 s9, s22, s9
	s_wait_alu 0xfffe
	s_add_co_ci_u32 s24, s23, s7
	s_mul_i32 s14, s13, s15
	s_add_co_ci_u32 s15, s21, 0
	s_mov_b32 s23, s8
	s_add_nc_u64 s[14:15], s[24:25], s[14:15]
	s_delay_alu instid0(SALU_CYCLE_1) | instskip(SKIP_1) | instid1(SALU_CYCLE_1)
	s_add_co_u32 s7, s12, s14
	s_cselect_b32 s9, -1, 0
	s_cmp_lg_u32 s9, 0
	s_add_co_ci_u32 s9, s13, s15
	s_ashr_i32 s12, s3, 31
	s_delay_alu instid0(SALU_CYCLE_1) | instskip(NEXT) | instid1(SALU_CYCLE_1)
	s_mov_b32 s13, s12
	s_add_nc_u64 s[14:15], s[2:3], s[12:13]
	s_delay_alu instid0(SALU_CYCLE_1) | instskip(NEXT) | instid1(SALU_CYCLE_1)
	s_xor_b64 s[14:15], s[14:15], s[12:13]
	s_mul_hi_u32 s27, s14, s9
	s_mul_i32 s26, s14, s9
	s_wait_alu 0xfffe
	s_mul_hi_u32 s22, s14, s7
	s_mul_hi_u32 s21, s15, s7
	s_mul_i32 s7, s15, s7
	s_add_nc_u64 s[22:23], s[22:23], s[26:27]
	s_mul_hi_u32 s3, s15, s9
	s_wait_alu 0xfffe
	s_add_co_u32 s7, s22, s7
	s_add_co_ci_u32 s24, s23, s21
	s_mul_i32 s26, s15, s9
	s_add_co_ci_u32 s27, s3, 0
	s_delay_alu instid0(SALU_CYCLE_1) | instskip(NEXT) | instid1(SALU_CYCLE_1)
	s_add_nc_u64 s[22:23], s[24:25], s[26:27]
	s_mul_u64 s[24:25], s[10:11], s[22:23]
	s_add_nc_u64 s[26:27], s[22:23], 1
	s_sub_co_u32 s3, s14, s24
	s_cselect_b32 s7, -1, 0
	s_sub_co_i32 s9, s15, s25
	s_wait_alu 0xfffe
	s_cmp_lg_u32 s7, 0
	s_add_nc_u64 s[28:29], s[22:23], 2
	s_sub_co_ci_u32 s9, s9, s11
	s_sub_co_u32 s14, s3, s10
	s_cselect_b32 s21, -1, 0
	s_delay_alu instid0(SALU_CYCLE_1) | instskip(SKIP_1) | instid1(SALU_CYCLE_1)
	s_cmp_lg_u32 s21, 0
	s_sub_co_ci_u32 s9, s9, 0
	s_cmp_ge_u32 s9, s11
	s_cselect_b32 s21, -1, 0
	s_cmp_ge_u32 s14, s10
	s_cselect_b32 s14, -1, 0
	s_cmp_eq_u32 s9, s11
	s_cselect_b32 s9, s14, s21
	s_delay_alu instid0(SALU_CYCLE_1)
	s_cmp_lg_u32 s9, 0
	s_cselect_b32 s9, s28, s26
	s_cselect_b32 s14, s29, s27
	s_cmp_lg_u32 s7, 0
	s_sub_co_ci_u32 s7, s15, s25
	s_wait_alu 0xfffe
	s_cmp_ge_u32 s7, s11
	s_cselect_b32 s15, -1, 0
	s_cmp_ge_u32 s3, s10
	s_cselect_b32 s3, -1, 0
	s_cmp_eq_u32 s7, s11
	s_cselect_b32 s3, s3, s15
	s_delay_alu instid0(SALU_CYCLE_1) | instskip(SKIP_3) | instid1(SALU_CYCLE_1)
	s_cmp_lg_u32 s3, 0
	s_cselect_b32 s11, s14, s23
	s_cselect_b32 s10, s9, s22
	s_xor_b64 s[12:13], s[12:13], 0
	s_xor_b64 s[10:11], s[10:11], s[12:13]
	s_delay_alu instid0(SALU_CYCLE_1)
	s_sub_nc_u64 s[10:11], s[10:11], s[12:13]
	s_load_b96 s[12:14], s[0:1], 0x44
	s_and_not1_b32 vcc_lo, exec_lo, s8
	s_cbranch_vccnz .LBB12_6
.LBB12_5:
	v_cvt_f32_u32_e32 v1, s16
	s_sub_co_i32 s7, 0, s16
	s_delay_alu instid0(VALU_DEP_1) | instskip(NEXT) | instid1(TRANS32_DEP_1)
	v_rcp_iflag_f32_e32 v1, v1
	v_mul_f32_e32 v1, 0x4f7ffffe, v1
	s_delay_alu instid0(VALU_DEP_1) | instskip(NEXT) | instid1(VALU_DEP_1)
	v_cvt_u32_f32_e32 v1, v1
	v_readfirstlane_b32 s3, v1
	s_wait_alu 0xfffe
	s_mul_i32 s7, s7, s3
	s_wait_alu 0xfffe
	s_mul_hi_u32 s7, s3, s7
	s_wait_alu 0xfffe
	s_add_co_i32 s3, s3, s7
	s_delay_alu instid0(SALU_CYCLE_1) | instskip(NEXT) | instid1(SALU_CYCLE_1)
	s_mul_hi_u32 s3, s2, s3
	s_mul_i32 s7, s3, s16
	s_wait_alu 0xfffe
	s_sub_co_i32 s2, s2, s7
	s_add_co_i32 s7, s3, 1
	s_sub_co_i32 s8, s2, s16
	s_cmp_ge_u32 s2, s16
	s_wait_alu 0xfffe
	s_cselect_b32 s3, s7, s3
	s_cselect_b32 s2, s8, s2
	s_add_co_i32 s7, s3, 1
	s_cmp_ge_u32 s2, s16
	s_wait_alu 0xfffe
	s_cselect_b32 s10, s7, s3
.LBB12_6:
	s_mov_b32 s21, 0
	s_wait_kmcnt 0x0
	s_mov_b32 s22, s12
	s_mov_b32 s23, s21
	s_cmp_eq_u32 s20, s10
	s_mul_u64 s[2:3], s[20:21], s[22:23]
	s_cselect_b32 s7, -1, 0
	s_add_co_i32 s2, s3, s20
	s_mov_b32 s11, s21
	s_lshr_b32 s12, s2, s13
	s_mul_u64 s[2:3], s[10:11], s[22:23]
	s_mul_i32 s2, s12, s14
	s_delay_alu instid0(SALU_CYCLE_1) | instskip(SKIP_2) | instid1(SALU_CYCLE_1)
	s_cmp_eq_u32 s2, s20
	s_cselect_b32 s2, -1, 0
	s_add_co_i32 s3, s3, s10
	s_lshr_b32 s3, s3, s13
	s_delay_alu instid0(SALU_CYCLE_1)
	s_cmp_eq_u32 s12, s3
	s_mul_i32 s3, s3, s14
	s_cselect_b32 s8, -1, 0
	s_cmp_lg_u32 s3, s10
	s_cselect_b32 s3, -1, 0
	s_wait_alu 0xfffe
	s_or_b32 s2, s7, s2
	s_and_b32 s3, s8, s3
	s_delay_alu instid0(SALU_CYCLE_1) | instskip(NEXT) | instid1(SALU_CYCLE_1)
	s_or_b32 s2, s2, s3
	s_and_b32 vcc_lo, exec_lo, s2
	s_cbranch_vccnz .LBB12_24
; %bb.7:
	s_load_b256 s[24:31], s[0:1], 0x20
	s_mov_b32 s3, s21
	s_and_b32 s15, ttmp7, 0xffff
	s_wait_kmcnt 0x0
	s_mov_b32 s2, s24
	s_delay_alu instid0(SALU_CYCLE_1) | instskip(NEXT) | instid1(SALU_CYCLE_1)
	s_mul_u64 s[2:3], s[20:21], s[2:3]
	s_add_co_i32 s2, s3, s20
	s_delay_alu instid0(SALU_CYCLE_1) | instskip(SKIP_4) | instid1(SALU_CYCLE_1)
	s_lshr_b32 s3, s2, s25
	s_load_b32 s2, s[0:1], 0x40
	s_mul_i32 s7, s3, s26
	s_wait_alu 0xfffe
	s_sub_co_i32 s8, s20, s7
	s_mul_hi_u32 s7, s8, s27
	s_wait_alu 0xfffe
	s_add_co_i32 s7, s8, s7
	s_wait_alu 0xfffe
	s_lshr_b32 s7, s7, s28
	s_wait_alu 0xfffe
	s_mul_i32 s9, s7, s29
	s_delay_alu instid0(SALU_CYCLE_1) | instskip(NEXT) | instid1(SALU_CYCLE_1)
	s_sub_co_i32 s8, s8, s9
	s_mul_hi_u32 s9, s8, s30
	s_delay_alu instid0(SALU_CYCLE_1) | instskip(NEXT) | instid1(SALU_CYCLE_1)
	s_add_co_i32 s9, s8, s9
	s_lshr_b32 s24, s9, s31
	s_mov_b32 s9, s21
	s_wait_kmcnt 0x0
	s_mul_i32 s2, s24, s2
	s_delay_alu instid0(SALU_CYCLE_1) | instskip(NEXT) | instid1(SALU_CYCLE_1)
	s_sub_co_i32 s8, s8, s2
	s_mul_u64 s[10:11], s[8:9], s[22:23]
	s_delay_alu instid0(SALU_CYCLE_1) | instskip(NEXT) | instid1(SALU_CYCLE_1)
	s_add_co_i32 s2, s8, s11
	s_lshr_b32 s21, s2, s13
	s_delay_alu instid0(SALU_CYCLE_1) | instskip(NEXT) | instid1(SALU_CYCLE_1)
	s_lshl_b32 s2, s21, 1
	s_add_co_i32 s8, s2, s15
	s_lshr_b32 s2, ttmp7, 16
	s_cmp_lt_i32 s8, s4
	s_cselect_b32 s8, -1, 0
	s_add_co_i32 s9, s24, s2
	s_delay_alu instid0(SALU_CYCLE_1) | instskip(SKIP_1) | instid1(SALU_CYCLE_1)
	s_cmp_lt_i32 s9, s6
	s_cselect_b32 s9, -1, 0
	s_and_b32 s8, s8, s9
	s_delay_alu instid0(SALU_CYCLE_1)
	s_and_not1_b32 vcc_lo, exec_lo, s8
	s_cbranch_vccnz .LBB12_24
; %bb.8:
	s_mul_i32 s3, s3, s4
	s_mul_i32 s7, s7, s6
	s_add_co_i32 s3, s3, s15
	s_load_b128 s[8:11], s[0:1], 0x0
	s_mul_i32 s3, s3, s5
	s_mul_i32 s1, s5, s21
	s_add_co_i32 s3, s3, s2
	s_lshl_b32 s1, s1, 7
	s_add_co_i32 s0, s3, s7
	s_add_co_i32 s15, s15, s2
	;; [unrolled: 1-line block ×3, first 2 shown]
	v_cvt_f32_u32_e32 v4, s16
	s_lshl_b32 s0, s0, 6
	s_add_co_i32 s34, ttmp9, -1
	s_add_co_i32 s1, s1, s0
	s_delay_alu instid0(VALU_DEP_1)
	v_rcp_iflag_f32_e32 v4, v4
	v_or_b32_e32 v1, s1, v0
	s_add_nc_u64 s[0:1], s[16:17], 0
	v_lshl_or_b32 v0, s15, 6, v0
	s_wait_alu 0xfffe
	s_xor_b64 s[6:7], s[0:1], 0
	s_lshl_b32 s0, ttmp9, 1
	v_ashrrev_i32_e32 v2, 31, v1
	s_wait_alu 0xfffe
	s_cvt_f32_u32 s1, s6
	s_cvt_f32_u32 s2, s7
	s_add_co_i32 s0, s0, s15
	s_sub_nc_u64 s[30:31], 0, s[6:7]
	v_lshlrev_b64_e32 v[1:2], 2, v[1:2]
	s_wait_alu 0xfffe
	s_fmamk_f32 s2, s2, 0x4f800000, s1
	s_ashr_i32 s1, s0, 31
	s_wait_alu 0xfffe
	s_lshl_b64 s[0:1], s[0:1], 3
	v_s_rcp_f32 s2, s2
	s_wait_kmcnt 0x0
	v_add_co_u32 v1, vcc_lo, s8, v1
	s_delay_alu instid0(VALU_DEP_1)
	v_add_co_ci_u32_e64 v2, null, s9, v2, vcc_lo
	s_wait_alu 0xfffe
	s_add_nc_u64 s[0:1], s[10:11], s[0:1]
	s_mov_b32 s8, 0
	s_load_b64 s[26:27], s[0:1], 0x0
	global_load_b32 v3, v[1:2], off
	s_mul_f32 s2, s2, 0x5f7ffffc
	v_mul_f32_e32 v4, 0x4f7ffffe, v4
	s_lshl_b32 s0, s16, 3
	s_wait_alu 0xfffe
	s_mul_f32 s1, s2, 0x2f800000
	s_wait_alu 0xfffe
	s_delay_alu instid0(SALU_CYCLE_2)
	s_trunc_f32 s3, s1
	s_mov_b32 s1, s8
	s_wait_alu 0xfffe
	s_lshl_b64 s[0:1], s[0:1], 2
	s_fmamk_f32 s2, s3, 0xcf800000, s2
	s_cvt_u32_f32 s29, s3
	s_wait_alu 0xfffe
	s_add_nc_u64 s[24:25], s[10:11], s[0:1]
	s_cvt_u32_f32 s28, s2
	s_wait_kmcnt 0x0
	v_mov_b32_e32 v5, s27
	v_cvt_u32_f32_e32 v4, v4
.LBB12_9:                               ; =>This Inner Loop Header: Depth=1
	s_wait_alu 0xfffe
	s_ashr_i32 s35, s34, 31
	s_mov_b32 s2, -1
	s_wait_alu 0xfffe
	s_mul_u64 s[0:1], s[34:35], s[18:19]
                                        ; implicit-def: $sgpr38_sgpr39
	s_wait_alu 0xfffe
	s_mov_b32 s9, s1
	s_wait_alu 0xfffe
	s_cmp_lg_u64 s[8:9], 0
	s_cbranch_scc0 .LBB12_11
; %bb.10:                               ;   in Loop: Header=BB12_9 Depth=1
	s_mul_u64 s[2:3], s[30:31], s[28:29]
	s_mov_b32 s37, s8
	s_wait_alu 0xfffe
	s_mul_hi_u32 s5, s28, s3
	s_mul_i32 s4, s28, s3
	s_mul_hi_u32 s36, s28, s2
	s_mul_hi_u32 s9, s29, s2
	s_wait_alu 0xfffe
	s_add_nc_u64 s[4:5], s[36:37], s[4:5]
	s_mul_i32 s2, s29, s2
	s_mul_hi_u32 s17, s29, s3
	s_wait_alu 0xfffe
	s_add_co_u32 s2, s4, s2
	s_add_co_ci_u32 s2, s5, s9
	s_add_co_ci_u32 s5, s17, 0
	s_mul_i32 s4, s29, s3
	s_mov_b32 s3, s8
	s_mov_b32 s39, s8
	s_wait_alu 0xfffe
	s_add_nc_u64 s[2:3], s[2:3], s[4:5]
	s_wait_alu 0xfffe
	s_add_co_u32 s2, s28, s2
	s_cselect_b32 s4, -1, 0
	s_wait_alu 0xfffe
	s_cmp_lg_u32 s4, 0
	s_add_co_ci_u32 s3, s29, s3
	s_wait_alu 0xfffe
	s_mul_u64 s[4:5], s[30:31], s[2:3]
	s_wait_alu 0xfffe
	s_mul_hi_u32 s37, s2, s5
	s_mul_i32 s36, s2, s5
	s_mul_hi_u32 s38, s2, s4
	s_mul_hi_u32 s9, s3, s4
	s_mul_i32 s4, s3, s4
	s_wait_alu 0xfffe
	s_add_nc_u64 s[36:37], s[38:39], s[36:37]
	s_mul_hi_u32 s17, s3, s5
	s_wait_alu 0xfffe
	s_add_co_u32 s4, s36, s4
	s_add_co_ci_u32 s4, s37, s9
	s_add_co_ci_u32 s37, s17, 0
	s_mul_i32 s36, s3, s5
	s_mov_b32 s5, s8
	s_wait_alu 0xfffe
	s_add_nc_u64 s[4:5], s[4:5], s[36:37]
	s_mov_b32 s37, s8
	s_wait_alu 0xfffe
	s_add_co_u32 s9, s2, s4
	s_cselect_b32 s2, -1, 0
	s_wait_alu 0xfffe
	s_cmp_lg_u32 s2, 0
	s_add_co_ci_u32 s17, s3, s5
	s_ashr_i32 s2, s1, 31
	s_wait_alu 0xfffe
	s_mov_b32 s3, s2
	s_wait_alu 0xfffe
	s_add_nc_u64 s[4:5], s[0:1], s[2:3]
	s_wait_alu 0xfffe
	s_xor_b64 s[4:5], s[4:5], s[2:3]
	s_wait_alu 0xfffe
	s_mul_hi_u32 s39, s4, s17
	s_mul_i32 s38, s4, s17
	s_mul_hi_u32 s36, s4, s9
	s_mul_i32 s21, s5, s9
	s_wait_alu 0xfffe
	s_add_nc_u64 s[36:37], s[36:37], s[38:39]
	s_mul_hi_u32 s9, s5, s9
	s_mul_hi_u32 s1, s5, s17
	s_wait_alu 0xfffe
	s_add_co_u32 s21, s36, s21
	s_add_co_ci_u32 s36, s37, s9
	s_add_co_ci_u32 s39, s1, 0
	s_mul_i32 s38, s5, s17
	s_mov_b32 s37, s8
	s_wait_alu 0xfffe
	s_add_nc_u64 s[36:37], s[36:37], s[38:39]
	s_wait_alu 0xfffe
	s_mul_u64 s[38:39], s[6:7], s[36:37]
	s_add_nc_u64 s[40:41], s[36:37], 1
	s_sub_co_u32 s1, s4, s38
	s_cselect_b32 s4, -1, 0
	s_sub_co_i32 s9, s5, s39
	s_wait_alu 0xfffe
	s_cmp_lg_u32 s4, 0
	s_add_nc_u64 s[42:43], s[36:37], 2
	s_sub_co_ci_u32 s9, s9, s7
	s_sub_co_u32 s17, s1, s6
	s_cselect_b32 s21, -1, 0
	s_delay_alu instid0(SALU_CYCLE_1)
	s_cmp_lg_u32 s21, 0
	s_wait_alu 0xfffe
	s_sub_co_ci_u32 s9, s9, 0
	s_wait_alu 0xfffe
	s_cmp_ge_u32 s9, s7
	s_cselect_b32 s21, -1, 0
	s_cmp_ge_u32 s17, s6
	s_cselect_b32 s17, -1, 0
	s_cmp_eq_u32 s9, s7
	s_wait_alu 0xfffe
	s_cselect_b32 s9, s17, s21
	s_wait_alu 0xfffe
	s_cmp_lg_u32 s9, 0
	s_cselect_b32 s9, s42, s40
	s_cselect_b32 s17, s43, s41
	s_cmp_lg_u32 s4, 0
	s_sub_co_ci_u32 s4, s5, s39
	s_wait_alu 0xfffe
	s_cmp_ge_u32 s4, s7
	s_cselect_b32 s5, -1, 0
	s_cmp_ge_u32 s1, s6
	s_cselect_b32 s1, -1, 0
	s_cmp_eq_u32 s4, s7
	s_wait_alu 0xfffe
	s_cselect_b32 s1, s1, s5
	s_wait_alu 0xfffe
	s_cmp_lg_u32 s1, 0
	s_cselect_b32 s5, s17, s37
	s_cselect_b32 s4, s9, s36
	s_xor_b64 s[2:3], s[2:3], 0
	s_wait_alu 0xfffe
	s_xor_b64 s[4:5], s[4:5], s[2:3]
	s_wait_alu 0xfffe
	s_sub_nc_u64 s[38:39], s[4:5], s[2:3]
	s_mov_b32 s2, 0
.LBB12_11:                              ;   in Loop: Header=BB12_9 Depth=1
	s_wait_alu 0xfffe
	s_and_not1_b32 vcc_lo, exec_lo, s2
	s_wait_alu 0xfffe
	s_cbranch_vccnz .LBB12_13
; %bb.12:                               ;   in Loop: Header=BB12_9 Depth=1
	v_readfirstlane_b32 s1, v4
	s_sub_co_i32 s2, 0, s16
	s_wait_alu 0xfffe
	s_mul_i32 s2, s2, s1
	s_wait_alu 0xfffe
	s_mul_hi_u32 s2, s1, s2
	s_wait_alu 0xfffe
	s_add_co_i32 s1, s1, s2
	s_wait_alu 0xfffe
	s_mul_hi_u32 s1, s0, s1
	s_wait_alu 0xfffe
	s_mul_i32 s2, s1, s16
	s_wait_alu 0xfffe
	s_sub_co_i32 s0, s0, s2
	s_add_co_i32 s2, s1, 1
	s_wait_alu 0xfffe
	s_sub_co_i32 s3, s0, s16
	s_cmp_ge_u32 s0, s16
	s_cselect_b32 s1, s2, s1
	s_wait_alu 0xfffe
	s_cselect_b32 s0, s3, s0
	s_add_co_i32 s2, s1, 1
	s_wait_alu 0xfffe
	s_cmp_ge_u32 s0, s16
	s_cselect_b32 s38, s2, s1
.LBB12_13:                              ;   in Loop: Header=BB12_9 Depth=1
	v_readfirstlane_b32 s9, v0
	s_cmp_lg_u32 s20, s38
	s_mov_b32 s0, -1
                                        ; implicit-def: $sgpr21
                                        ; implicit-def: $vgpr6
                                        ; implicit-def: $vgpr7
                                        ; implicit-def: $sgpr17
                                        ; implicit-def: $sgpr27
	s_cbranch_scc1 .LBB12_16
; %bb.14:                               ;   in Loop: Header=BB12_9 Depth=1
	s_wait_alu 0xfffe
	s_and_not1_b32 vcc_lo, exec_lo, s0
	s_wait_alu 0xfffe
	s_cbranch_vccz .LBB12_19
.LBB12_15:                              ;   in Loop: Header=BB12_9 Depth=1
	s_and_not1_b32 vcc_lo, exec_lo, s21
	s_wait_alu 0xfffe
	s_cbranch_vccnz .LBB12_20
	s_branch .LBB12_23
.LBB12_16:                              ;   in Loop: Header=BB12_9 Depth=1
	s_add_co_i32 s0, s34, s16
	s_mov_b32 s1, s8
	s_wait_alu 0xfffe
	s_lshl_b32 s0, s0, 1
	v_max_num_f32_e64 v6, s26, s26
	s_wait_alu 0xfffe
	s_add_co_i32 s0, s0, s15
	s_mov_b32 s39, s8
	s_wait_alu 0xfffe
	s_lshl_b64 s[0:1], s[0:1], 3
	s_mul_u64 s[40:41], s[38:39], s[22:23]
	s_wait_alu 0xfffe
	s_add_nc_u64 s[0:1], s[10:11], s[0:1]
	s_mov_b32 s27, s20
	s_load_b64 s[36:37], s[0:1], 0x0
	v_readfirstlane_b32 s0, v6
	s_wait_kmcnt 0x0
	v_max_num_f32_e64 v7, s36, s36
	s_delay_alu instid0(VALU_DEP_1) | instskip(SKIP_2) | instid1(SALU_CYCLE_2)
	v_readfirstlane_b32 s1, v7
	s_max_num_f32 s9, s0, s1
	s_wait_alu 0xfffe
	s_sub_f32 s33, s26, s9
	s_sub_f32 s35, s36, s9
	s_wait_alu 0xfffe
	s_delay_alu instid0(SALU_CYCLE_1)
	s_cmp_nlt_f32 s33, 0xc2ce8ed0
	s_cselect_b32 s0, -1, 0
	s_cmp_ngt_f32 s33, 0x42b17218
	s_cselect_b32 s1, -1, 0
	s_cmp_ge_f32 s33, 0xc1a00000
	s_cselect_b32 s2, -1, 0
	s_cmp_nlt_f32 s35, 0xc2ce8ed0
	s_cselect_b32 s3, -1, 0
	s_cmp_ngt_f32 s35, 0x42b17218
	s_cselect_b32 s4, -1, 0
	s_cmp_ge_f32 s35, 0xc1a00000
	s_cselect_b32 s5, -1, 0
	s_add_co_i32 s17, s41, s38
	s_wait_alu 0xfffe
	s_lshr_b32 s17, s17, s13
	s_wait_alu 0xfffe
	s_mul_i32 s21, s17, s14
	s_delay_alu instid0(SALU_CYCLE_1)
	s_cmp_eq_u32 s21, s38
	s_cselect_b32 s21, -1, 0
	s_cmp_lt_u32 s17, s12
	s_cselect_b32 s17, -1, 0
	s_wait_alu 0xfffe
	s_or_b32 s17, s17, s21
	s_mov_b32 s21, -1
	s_wait_alu 0xfffe
	s_and_b32 vcc_lo, exec_lo, s17
	s_mov_b32 s17, s34
	s_wait_alu 0xfffe
	s_cbranch_vccnz .LBB12_18
; %bb.17:                               ;   in Loop: Header=BB12_9 Depth=1
	s_add_co_i32 s17, s34, -1
	s_mov_b32 s21, 0
	s_mov_b32 s27, s38
.LBB12_18:                              ;   in Loop: Header=BB12_9 Depth=1
	v_lshl_add_u32 v6, s34, 7, v0
	s_mul_f32 s36, s35, 0x3fb8aa3b
	s_mul_f32 s38, s33, 0x3fb8aa3b
	s_wait_alu 0xfffe
	s_delay_alu instid0(SALU_CYCLE_1)
	s_xor_b32 s39, s36, 0x80000000
	v_ashrrev_i32_e32 v7, 31, v6
	s_rndne_f32 s40, s36
	s_fmamk_f32 s39, s35, 0x3fb8aa3b, s39
	s_xor_b32 s41, s38, 0x80000000
	s_rndne_f32 s42, s38
	v_lshlrev_b64_e32 v[6:7], 2, v[6:7]
	s_sub_f32 s36, s36, s40
	s_fmamk_f32 s35, s35, 0x32a5705f, s39
	s_fmamk_f32 s39, s33, 0x3fb8aa3b, s41
	s_sub_f32 s38, s38, s42
	s_delay_alu instid0(VALU_DEP_1)
	v_add_co_u32 v6, vcc_lo, s24, v6
	s_wait_alu 0xfffd
	v_add_co_ci_u32_e64 v7, null, s25, v7, vcc_lo
	s_wait_alu 0xfffe
	s_add_f32 s35, s36, s35
	s_fmamk_f32 s33, s33, 0x32a5705f, s39
	s_cvt_i32_f32 s36, s40
	global_load_b32 v6, v[6:7], off
	s_wait_alu 0xfffe
	v_s_exp_f32 s35, s35
	s_add_f32 s33, s38, s33
	s_wait_alu 0xfffe
	s_delay_alu instid0(SALU_CYCLE_2) | instskip(NEXT) | instid1(TRANS32_DEP_2)
	v_s_exp_f32 s33, s33
	v_ldexp_f32 v7, s35, s36
	s_cvt_i32_f32 s35, s42
	s_wait_alu 0xf1fe
	s_delay_alu instid0(TRANS32_DEP_1) | instid1(SALU_CYCLE_2)
	v_ldexp_f32 v8, s33, s35
	s_delay_alu instid0(VALU_DEP_2) | instskip(NEXT) | instid1(VALU_DEP_2)
	v_cndmask_b32_e64 v7, 0, v7, s3
	v_cndmask_b32_e64 v8, 0, v8, s0
	s_delay_alu instid0(VALU_DEP_2) | instskip(NEXT) | instid1(VALU_DEP_2)
	v_cndmask_b32_e64 v7, 0x7f800000, v7, s4
	v_cndmask_b32_e64 v8, 0x7f800000, v8, s1
	s_delay_alu instid0(VALU_DEP_2) | instskip(NEXT) | instid1(VALU_DEP_2)
	v_cndmask_b32_e64 v7, 0, v7, s5
	v_cndmask_b32_e64 v8, 0, v8, s2
	s_wait_loadcnt 0x0
	s_delay_alu instid0(VALU_DEP_2) | instskip(SKIP_1) | instid1(VALU_DEP_1)
	v_mul_f32_e32 v6, v6, v7
	v_mul_f32_e32 v7, s37, v7
	v_fmac_f32_e32 v7, v5, v8
	s_delay_alu instid0(VALU_DEP_3)
	v_fmac_f32_e32 v6, v3, v8
	s_cbranch_execnz .LBB12_15
.LBB12_19:                              ;   in Loop: Header=BB12_9 Depth=1
	s_wait_loadcnt 0x0
	v_dual_mov_b32 v7, v5 :: v_dual_mov_b32 v6, v3
	s_add_co_i32 s17, s34, -1
	s_mov_b32 s27, s20
	s_mov_b32 s9, s26
	s_cbranch_execz .LBB12_23
.LBB12_20:                              ;   in Loop: Header=BB12_9 Depth=1
	v_mov_b32_e32 v5, v7
	s_wait_loadcnt 0x0
	v_mov_b32_e32 v3, v6
	s_wait_alu 0xfffe
	s_mov_b32 s20, s27
	s_mov_b32 s34, s17
	s_mov_b32 s26, s9
	s_branch .LBB12_9
.LBB12_21:
                                        ; implicit-def: $sgpr20_sgpr21
	s_branch .LBB12_2
.LBB12_22:
                                        ; implicit-def: $sgpr10_sgpr11
	s_load_b96 s[12:14], s[0:1], 0x44
	s_branch .LBB12_5
.LBB12_23:
	v_div_scale_f32 v0, null, v7, v7, v6
	s_wait_loadcnt 0x0
	s_delay_alu instid0(VALU_DEP_1) | instskip(NEXT) | instid1(TRANS32_DEP_1)
	v_rcp_f32_e32 v3, v0
	v_fma_f32 v4, -v0, v3, 1.0
	s_delay_alu instid0(VALU_DEP_1) | instskip(SKIP_1) | instid1(VALU_DEP_1)
	v_fmac_f32_e32 v3, v4, v3
	v_div_scale_f32 v4, vcc_lo, v6, v7, v6
	v_mul_f32_e32 v5, v4, v3
	s_delay_alu instid0(VALU_DEP_1) | instskip(NEXT) | instid1(VALU_DEP_1)
	v_fma_f32 v8, -v0, v5, v4
	v_fmac_f32_e32 v5, v8, v3
	s_delay_alu instid0(VALU_DEP_1) | instskip(SKIP_1) | instid1(VALU_DEP_1)
	v_fma_f32 v0, -v0, v5, v4
	s_wait_alu 0xfffd
	v_div_fmas_f32 v0, v0, v3, v5
	s_delay_alu instid0(VALU_DEP_1)
	v_div_fixup_f32 v0, v0, v7, v6
	global_store_b32 v[1:2], v0, off
.LBB12_24:
	s_endpgm
	.section	.rodata,"a",@progbits
	.p2align	6, 0x0
	.amdhsa_kernel _ZL33flash_attn_stream_k_fixup_generalILi64ELi2ELi1EEvPfPK15HIP_vector_typeIfLj2EEiiiiS1_IjLj3EES5_S5_S5_
		.amdhsa_group_segment_fixed_size 0
		.amdhsa_private_segment_fixed_size 0
		.amdhsa_kernarg_size 336
		.amdhsa_user_sgpr_count 2
		.amdhsa_user_sgpr_dispatch_ptr 0
		.amdhsa_user_sgpr_queue_ptr 0
		.amdhsa_user_sgpr_kernarg_segment_ptr 1
		.amdhsa_user_sgpr_dispatch_id 0
		.amdhsa_user_sgpr_private_segment_size 0
		.amdhsa_wavefront_size32 1
		.amdhsa_uses_dynamic_stack 0
		.amdhsa_enable_private_segment 0
		.amdhsa_system_sgpr_workgroup_id_x 1
		.amdhsa_system_sgpr_workgroup_id_y 1
		.amdhsa_system_sgpr_workgroup_id_z 1
		.amdhsa_system_sgpr_workgroup_info 0
		.amdhsa_system_vgpr_workitem_id 0
		.amdhsa_next_free_vgpr 9
		.amdhsa_next_free_sgpr 44
		.amdhsa_reserve_vcc 1
		.amdhsa_float_round_mode_32 0
		.amdhsa_float_round_mode_16_64 0
		.amdhsa_float_denorm_mode_32 3
		.amdhsa_float_denorm_mode_16_64 3
		.amdhsa_fp16_overflow 0
		.amdhsa_workgroup_processor_mode 1
		.amdhsa_memory_ordered 1
		.amdhsa_forward_progress 1
		.amdhsa_inst_pref_size 28
		.amdhsa_round_robin_scheduling 0
		.amdhsa_exception_fp_ieee_invalid_op 0
		.amdhsa_exception_fp_denorm_src 0
		.amdhsa_exception_fp_ieee_div_zero 0
		.amdhsa_exception_fp_ieee_overflow 0
		.amdhsa_exception_fp_ieee_underflow 0
		.amdhsa_exception_fp_ieee_inexact 0
		.amdhsa_exception_int_div_zero 0
	.end_amdhsa_kernel
	.section	.text._ZL33flash_attn_stream_k_fixup_generalILi64ELi2ELi1EEvPfPK15HIP_vector_typeIfLj2EEiiiiS1_IjLj3EES5_S5_S5_,"axG",@progbits,_ZL33flash_attn_stream_k_fixup_generalILi64ELi2ELi1EEvPfPK15HIP_vector_typeIfLj2EEiiiiS1_IjLj3EES5_S5_S5_,comdat
.Lfunc_end12:
	.size	_ZL33flash_attn_stream_k_fixup_generalILi64ELi2ELi1EEvPfPK15HIP_vector_typeIfLj2EEiiiiS1_IjLj3EES5_S5_S5_, .Lfunc_end12-_ZL33flash_attn_stream_k_fixup_generalILi64ELi2ELi1EEvPfPK15HIP_vector_typeIfLj2EEiiiiS1_IjLj3EES5_S5_S5_
                                        ; -- End function
	.set _ZL33flash_attn_stream_k_fixup_generalILi64ELi2ELi1EEvPfPK15HIP_vector_typeIfLj2EEiiiiS1_IjLj3EES5_S5_S5_.num_vgpr, 9
	.set _ZL33flash_attn_stream_k_fixup_generalILi64ELi2ELi1EEvPfPK15HIP_vector_typeIfLj2EEiiiiS1_IjLj3EES5_S5_S5_.num_agpr, 0
	.set _ZL33flash_attn_stream_k_fixup_generalILi64ELi2ELi1EEvPfPK15HIP_vector_typeIfLj2EEiiiiS1_IjLj3EES5_S5_S5_.numbered_sgpr, 44
	.set _ZL33flash_attn_stream_k_fixup_generalILi64ELi2ELi1EEvPfPK15HIP_vector_typeIfLj2EEiiiiS1_IjLj3EES5_S5_S5_.num_named_barrier, 0
	.set _ZL33flash_attn_stream_k_fixup_generalILi64ELi2ELi1EEvPfPK15HIP_vector_typeIfLj2EEiiiiS1_IjLj3EES5_S5_S5_.private_seg_size, 0
	.set _ZL33flash_attn_stream_k_fixup_generalILi64ELi2ELi1EEvPfPK15HIP_vector_typeIfLj2EEiiiiS1_IjLj3EES5_S5_S5_.uses_vcc, 1
	.set _ZL33flash_attn_stream_k_fixup_generalILi64ELi2ELi1EEvPfPK15HIP_vector_typeIfLj2EEiiiiS1_IjLj3EES5_S5_S5_.uses_flat_scratch, 0
	.set _ZL33flash_attn_stream_k_fixup_generalILi64ELi2ELi1EEvPfPK15HIP_vector_typeIfLj2EEiiiiS1_IjLj3EES5_S5_S5_.has_dyn_sized_stack, 0
	.set _ZL33flash_attn_stream_k_fixup_generalILi64ELi2ELi1EEvPfPK15HIP_vector_typeIfLj2EEiiiiS1_IjLj3EES5_S5_S5_.has_recursion, 0
	.set _ZL33flash_attn_stream_k_fixup_generalILi64ELi2ELi1EEvPfPK15HIP_vector_typeIfLj2EEiiiiS1_IjLj3EES5_S5_S5_.has_indirect_call, 0
	.section	.AMDGPU.csdata,"",@progbits
; Kernel info:
; codeLenInByte = 3556
; TotalNumSgprs: 46
; NumVgprs: 9
; ScratchSize: 0
; MemoryBound: 0
; FloatMode: 240
; IeeeMode: 1
; LDSByteSize: 0 bytes/workgroup (compile time only)
; SGPRBlocks: 0
; VGPRBlocks: 1
; NumSGPRsForWavesPerEU: 46
; NumVGPRsForWavesPerEU: 9
; Occupancy: 16
; WaveLimiterHint : 0
; COMPUTE_PGM_RSRC2:SCRATCH_EN: 0
; COMPUTE_PGM_RSRC2:USER_SGPR: 2
; COMPUTE_PGM_RSRC2:TRAP_HANDLER: 0
; COMPUTE_PGM_RSRC2:TGID_X_EN: 1
; COMPUTE_PGM_RSRC2:TGID_Y_EN: 1
; COMPUTE_PGM_RSRC2:TGID_Z_EN: 1
; COMPUTE_PGM_RSRC2:TIDIG_COMP_CNT: 0
	.section	.text._ZL18flash_attn_ext_vecILi64ELi2EL9ggml_type3ELS0_2ELb1EEvPKcS2_S2_S2_S2_PKiPfP15HIP_vector_typeIfLj2EEffffjfiS6_IjLj3EEiiiiiiiiiiiliiliiiiil,"axG",@progbits,_ZL18flash_attn_ext_vecILi64ELi2EL9ggml_type3ELS0_2ELb1EEvPKcS2_S2_S2_S2_PKiPfP15HIP_vector_typeIfLj2EEffffjfiS6_IjLj3EEiiiiiiiiiiiliiliiiiil,comdat
	.globl	_ZL18flash_attn_ext_vecILi64ELi2EL9ggml_type3ELS0_2ELb1EEvPKcS2_S2_S2_S2_PKiPfP15HIP_vector_typeIfLj2EEffffjfiS6_IjLj3EEiiiiiiiiiiiliiliiiiil ; -- Begin function _ZL18flash_attn_ext_vecILi64ELi2EL9ggml_type3ELS0_2ELb1EEvPKcS2_S2_S2_S2_PKiPfP15HIP_vector_typeIfLj2EEffffjfiS6_IjLj3EEiiiiiiiiiiiliiliiiiil
	.p2align	8
	.type	_ZL18flash_attn_ext_vecILi64ELi2EL9ggml_type3ELS0_2ELb1EEvPKcS2_S2_S2_S2_PKiPfP15HIP_vector_typeIfLj2EEffffjfiS6_IjLj3EEiiiiiiiiiiiliiliiiiil,@function
_ZL18flash_attn_ext_vecILi64ELi2EL9ggml_type3ELS0_2ELb1EEvPKcS2_S2_S2_S2_PKiPfP15HIP_vector_typeIfLj2EEffffjfiS6_IjLj3EEiiiiiiiiiiiliiliiiiil: ; @_ZL18flash_attn_ext_vecILi64ELi2EL9ggml_type3ELS0_2ELb1EEvPKcS2_S2_S2_S2_PKiPfP15HIP_vector_typeIfLj2EEffffjfiS6_IjLj3EEiiiiiiiiiiiliiliiiiil
; %bb.0:
	s_getpc_b64 s[2:3]
	s_sext_i32_i16 s3, s3
	s_add_co_u32 s2, s2, _ZL14no_device_codePKciS0_iS0_@rel32@lo+8
	s_add_co_ci_u32 s3, s3, _ZL14no_device_codePKciS0_iS0_@rel32@hi+16
	s_add_nc_u64 s[8:9], s[0:1], 0xd0
	s_mov_b32 s32, 0
	s_swappc_b64 s[30:31], s[2:3]
	.section	.rodata,"a",@progbits
	.p2align	6, 0x0
	.amdhsa_kernel _ZL18flash_attn_ext_vecILi64ELi2EL9ggml_type3ELS0_2ELb1EEvPKcS2_S2_S2_S2_PKiPfP15HIP_vector_typeIfLj2EEffffjfiS6_IjLj3EEiiiiiiiiiiiliiliiiiil
		.amdhsa_group_segment_fixed_size 0
		.amdhsa_private_segment_fixed_size 16
		.amdhsa_kernarg_size 464
		.amdhsa_user_sgpr_count 2
		.amdhsa_user_sgpr_dispatch_ptr 0
		.amdhsa_user_sgpr_queue_ptr 0
		.amdhsa_user_sgpr_kernarg_segment_ptr 1
		.amdhsa_user_sgpr_dispatch_id 0
		.amdhsa_user_sgpr_private_segment_size 0
		.amdhsa_wavefront_size32 1
		.amdhsa_uses_dynamic_stack 0
		.amdhsa_enable_private_segment 1
		.amdhsa_system_sgpr_workgroup_id_x 1
		.amdhsa_system_sgpr_workgroup_id_y 0
		.amdhsa_system_sgpr_workgroup_id_z 0
		.amdhsa_system_sgpr_workgroup_info 0
		.amdhsa_system_vgpr_workitem_id 0
		.amdhsa_next_free_vgpr 40
		.amdhsa_next_free_sgpr 34
		.amdhsa_reserve_vcc 1
		.amdhsa_float_round_mode_32 0
		.amdhsa_float_round_mode_16_64 0
		.amdhsa_float_denorm_mode_32 3
		.amdhsa_float_denorm_mode_16_64 3
		.amdhsa_fp16_overflow 0
		.amdhsa_workgroup_processor_mode 1
		.amdhsa_memory_ordered 1
		.amdhsa_forward_progress 1
		.amdhsa_inst_pref_size 1
		.amdhsa_round_robin_scheduling 0
		.amdhsa_exception_fp_ieee_invalid_op 0
		.amdhsa_exception_fp_denorm_src 0
		.amdhsa_exception_fp_ieee_div_zero 0
		.amdhsa_exception_fp_ieee_overflow 0
		.amdhsa_exception_fp_ieee_underflow 0
		.amdhsa_exception_fp_ieee_inexact 0
		.amdhsa_exception_int_div_zero 0
	.end_amdhsa_kernel
	.section	.text._ZL18flash_attn_ext_vecILi64ELi2EL9ggml_type3ELS0_2ELb1EEvPKcS2_S2_S2_S2_PKiPfP15HIP_vector_typeIfLj2EEffffjfiS6_IjLj3EEiiiiiiiiiiiliiliiiiil,"axG",@progbits,_ZL18flash_attn_ext_vecILi64ELi2EL9ggml_type3ELS0_2ELb1EEvPKcS2_S2_S2_S2_PKiPfP15HIP_vector_typeIfLj2EEffffjfiS6_IjLj3EEiiiiiiiiiiiliiliiiiil,comdat
.Lfunc_end13:
	.size	_ZL18flash_attn_ext_vecILi64ELi2EL9ggml_type3ELS0_2ELb1EEvPKcS2_S2_S2_S2_PKiPfP15HIP_vector_typeIfLj2EEffffjfiS6_IjLj3EEiiiiiiiiiiiliiliiiiil, .Lfunc_end13-_ZL18flash_attn_ext_vecILi64ELi2EL9ggml_type3ELS0_2ELb1EEvPKcS2_S2_S2_S2_PKiPfP15HIP_vector_typeIfLj2EEffffjfiS6_IjLj3EEiiiiiiiiiiiliiliiiiil
                                        ; -- End function
	.set _ZL18flash_attn_ext_vecILi64ELi2EL9ggml_type3ELS0_2ELb1EEvPKcS2_S2_S2_S2_PKiPfP15HIP_vector_typeIfLj2EEffffjfiS6_IjLj3EEiiiiiiiiiiiliiliiiiil.num_vgpr, max(0, .L_ZL14no_device_codePKciS0_iS0_.num_vgpr)
	.set _ZL18flash_attn_ext_vecILi64ELi2EL9ggml_type3ELS0_2ELb1EEvPKcS2_S2_S2_S2_PKiPfP15HIP_vector_typeIfLj2EEffffjfiS6_IjLj3EEiiiiiiiiiiiliiliiiiil.num_agpr, max(0, .L_ZL14no_device_codePKciS0_iS0_.num_agpr)
	.set _ZL18flash_attn_ext_vecILi64ELi2EL9ggml_type3ELS0_2ELb1EEvPKcS2_S2_S2_S2_PKiPfP15HIP_vector_typeIfLj2EEffffjfiS6_IjLj3EEiiiiiiiiiiiliiliiiiil.numbered_sgpr, max(33, .L_ZL14no_device_codePKciS0_iS0_.numbered_sgpr)
	.set _ZL18flash_attn_ext_vecILi64ELi2EL9ggml_type3ELS0_2ELb1EEvPKcS2_S2_S2_S2_PKiPfP15HIP_vector_typeIfLj2EEffffjfiS6_IjLj3EEiiiiiiiiiiiliiliiiiil.num_named_barrier, max(0, .L_ZL14no_device_codePKciS0_iS0_.num_named_barrier)
	.set _ZL18flash_attn_ext_vecILi64ELi2EL9ggml_type3ELS0_2ELb1EEvPKcS2_S2_S2_S2_PKiPfP15HIP_vector_typeIfLj2EEffffjfiS6_IjLj3EEiiiiiiiiiiiliiliiiiil.private_seg_size, 0+max(.L_ZL14no_device_codePKciS0_iS0_.private_seg_size)
	.set _ZL18flash_attn_ext_vecILi64ELi2EL9ggml_type3ELS0_2ELb1EEvPKcS2_S2_S2_S2_PKiPfP15HIP_vector_typeIfLj2EEffffjfiS6_IjLj3EEiiiiiiiiiiiliiliiiiil.uses_vcc, or(1, .L_ZL14no_device_codePKciS0_iS0_.uses_vcc)
	.set _ZL18flash_attn_ext_vecILi64ELi2EL9ggml_type3ELS0_2ELb1EEvPKcS2_S2_S2_S2_PKiPfP15HIP_vector_typeIfLj2EEffffjfiS6_IjLj3EEiiiiiiiiiiiliiliiiiil.uses_flat_scratch, or(0, .L_ZL14no_device_codePKciS0_iS0_.uses_flat_scratch)
	.set _ZL18flash_attn_ext_vecILi64ELi2EL9ggml_type3ELS0_2ELb1EEvPKcS2_S2_S2_S2_PKiPfP15HIP_vector_typeIfLj2EEffffjfiS6_IjLj3EEiiiiiiiiiiiliiliiiiil.has_dyn_sized_stack, or(0, .L_ZL14no_device_codePKciS0_iS0_.has_dyn_sized_stack)
	.set _ZL18flash_attn_ext_vecILi64ELi2EL9ggml_type3ELS0_2ELb1EEvPKcS2_S2_S2_S2_PKiPfP15HIP_vector_typeIfLj2EEffffjfiS6_IjLj3EEiiiiiiiiiiiliiliiiiil.has_recursion, or(0, .L_ZL14no_device_codePKciS0_iS0_.has_recursion)
	.set _ZL18flash_attn_ext_vecILi64ELi2EL9ggml_type3ELS0_2ELb1EEvPKcS2_S2_S2_S2_PKiPfP15HIP_vector_typeIfLj2EEffffjfiS6_IjLj3EEiiiiiiiiiiiliiliiiiil.has_indirect_call, or(0, .L_ZL14no_device_codePKciS0_iS0_.has_indirect_call)
	.section	.AMDGPU.csdata,"",@progbits
; Kernel info:
; codeLenInByte = 40
; TotalNumSgprs: 36
; NumVgprs: 40
; ScratchSize: 16
; MemoryBound: 0
; FloatMode: 240
; IeeeMode: 1
; LDSByteSize: 0 bytes/workgroup (compile time only)
; SGPRBlocks: 0
; VGPRBlocks: 4
; NumSGPRsForWavesPerEU: 36
; NumVGPRsForWavesPerEU: 40
; Occupancy: 16
; WaveLimiterHint : 1
; COMPUTE_PGM_RSRC2:SCRATCH_EN: 1
; COMPUTE_PGM_RSRC2:USER_SGPR: 2
; COMPUTE_PGM_RSRC2:TRAP_HANDLER: 0
; COMPUTE_PGM_RSRC2:TGID_X_EN: 1
; COMPUTE_PGM_RSRC2:TGID_Y_EN: 0
; COMPUTE_PGM_RSRC2:TGID_Z_EN: 0
; COMPUTE_PGM_RSRC2:TIDIG_COMP_CNT: 0
	.section	.text._ZL18flash_attn_ext_vecILi128ELi1EL9ggml_type3ELS0_2ELb0EEvPKcS2_S2_S2_S2_PKiPfP15HIP_vector_typeIfLj2EEffffjfiS6_IjLj3EEiiiiiiiiiiiliiliiiiil,"axG",@progbits,_ZL18flash_attn_ext_vecILi128ELi1EL9ggml_type3ELS0_2ELb0EEvPKcS2_S2_S2_S2_PKiPfP15HIP_vector_typeIfLj2EEffffjfiS6_IjLj3EEiiiiiiiiiiiliiliiiiil,comdat
	.globl	_ZL18flash_attn_ext_vecILi128ELi1EL9ggml_type3ELS0_2ELb0EEvPKcS2_S2_S2_S2_PKiPfP15HIP_vector_typeIfLj2EEffffjfiS6_IjLj3EEiiiiiiiiiiiliiliiiiil ; -- Begin function _ZL18flash_attn_ext_vecILi128ELi1EL9ggml_type3ELS0_2ELb0EEvPKcS2_S2_S2_S2_PKiPfP15HIP_vector_typeIfLj2EEffffjfiS6_IjLj3EEiiiiiiiiiiiliiliiiiil
	.p2align	8
	.type	_ZL18flash_attn_ext_vecILi128ELi1EL9ggml_type3ELS0_2ELb0EEvPKcS2_S2_S2_S2_PKiPfP15HIP_vector_typeIfLj2EEffffjfiS6_IjLj3EEiiiiiiiiiiiliiliiiiil,@function
_ZL18flash_attn_ext_vecILi128ELi1EL9ggml_type3ELS0_2ELb0EEvPKcS2_S2_S2_S2_PKiPfP15HIP_vector_typeIfLj2EEffffjfiS6_IjLj3EEiiiiiiiiiiiliiliiiiil: ; @_ZL18flash_attn_ext_vecILi128ELi1EL9ggml_type3ELS0_2ELb0EEvPKcS2_S2_S2_S2_PKiPfP15HIP_vector_typeIfLj2EEffffjfiS6_IjLj3EEiiiiiiiiiiiliiliiiiil
; %bb.0:
	s_clause 0x2
	s_load_b64 s[24:25], s[0:1], 0x64
	s_load_b64 s[30:31], s[0:1], 0x80
	;; [unrolled: 1-line block ×3, first 2 shown]
	s_lshr_b32 s4, ttmp7, 16
	v_mov_b32_e32 v46, 1.0
	s_mov_b32 s37, 0
	s_wait_kmcnt 0x0
	s_cvt_f32_u32 s2, s25
	s_sub_co_i32 s3, 0, s25
	s_delay_alu instid0(SALU_CYCLE_2) | instskip(NEXT) | instid1(TRANS32_DEP_1)
	v_rcp_iflag_f32_e32 v1, s2
	v_readfirstlane_b32 s2, v1
	s_mul_f32 s2, s2, 0x4f7ffffe
	s_wait_alu 0xfffe
	s_delay_alu instid0(SALU_CYCLE_2) | instskip(SKIP_1) | instid1(SALU_CYCLE_2)
	s_cvt_u32_f32 s2, s2
	s_wait_alu 0xfffe
	s_mul_i32 s3, s3, s2
	s_wait_alu 0xfffe
	s_mul_hi_u32 s3, s2, s3
	s_wait_alu 0xfffe
	s_add_co_i32 s2, s2, s3
	s_wait_alu 0xfffe
	s_mul_hi_u32 s2, s4, s2
	s_wait_alu 0xfffe
	s_mul_i32 s3, s2, s25
	s_add_co_i32 s5, s2, 1
	s_wait_alu 0xfffe
	s_sub_co_i32 s3, s4, s3
	s_wait_alu 0xfffe
	s_sub_co_i32 s6, s3, s25
	s_cmp_ge_u32 s3, s25
	s_cselect_b32 s2, s5, s2
	s_cselect_b32 s3, s6, s3
	s_wait_alu 0xfffe
	s_add_co_i32 s5, s2, 1
	s_cmp_ge_u32 s3, s25
	s_cselect_b32 s26, s5, s2
	s_abs_i32 s2, s31
	s_abs_i32 s7, s25
	s_wait_alu 0xfffe
	s_cvt_f32_u32 s3, s2
	s_sub_co_i32 s5, 0, s2
	s_xor_b32 s6, s25, s31
	s_wait_alu 0xfffe
	v_rcp_iflag_f32_e32 v1, s3
	s_ashr_i32 s6, s6, 31
	s_delay_alu instid0(TRANS32_DEP_1) | instskip(SKIP_2) | instid1(SALU_CYCLE_2)
	v_readfirstlane_b32 s3, v1
	s_mul_f32 s3, s3, 0x4f7ffffe
	s_wait_alu 0xfffe
	s_cvt_u32_f32 s3, s3
	s_wait_alu 0xfffe
	s_delay_alu instid0(SALU_CYCLE_2) | instskip(NEXT) | instid1(SALU_CYCLE_1)
	s_mul_i32 s5, s5, s3
	s_mul_hi_u32 s5, s3, s5
	s_delay_alu instid0(SALU_CYCLE_1)
	s_add_co_i32 s3, s3, s5
	s_mul_i32 s5, s26, s25
	s_wait_alu 0xfffe
	s_mul_hi_u32 s3, s7, s3
	s_sub_co_i32 s28, s4, s5
	s_wait_alu 0xfffe
	s_mul_i32 s8, s3, s2
	s_add_co_i32 s5, s3, 1
	s_sub_co_i32 s4, s7, s8
	s_delay_alu instid0(SALU_CYCLE_1)
	s_sub_co_i32 s7, s4, s2
	s_cmp_ge_u32 s4, s2
	s_cselect_b32 s3, s5, s3
	s_cselect_b32 s4, s7, s4
	s_wait_alu 0xfffe
	s_add_co_i32 s5, s3, 1
	s_cmp_ge_u32 s4, s2
	s_cselect_b32 s2, s5, s3
	s_abs_i32 s46, s38
	s_wait_alu 0xfffe
	s_xor_b32 s2, s2, s6
	s_sub_co_i32 s9, 0, s46
	s_wait_alu 0xfffe
	s_sub_co_i32 s27, s2, s6
	s_cvt_f32_u32 s2, s46
	s_abs_i32 s48, s27
	s_load_b128 s[4:7], s[0:1], 0x40
	s_cvt_f32_u32 s3, s48
	v_rcp_iflag_f32_e32 v1, s2
	s_load_b32 s2, s[0:1], 0x50
	s_sub_co_i32 s10, 0, s48
	v_rcp_iflag_f32_e32 v2, s3
	s_abs_i32 s36, s28
	s_abs_i32 s34, s26
	s_delay_alu instid0(TRANS32_DEP_2) | instskip(NEXT) | instid1(TRANS32_DEP_1)
	v_readfirstlane_b32 s3, v1
	v_readfirstlane_b32 s8, v2
	s_mul_f32 s3, s3, 0x4f7ffffe
	s_mul_f32 s8, s8, 0x4f7ffffe
	s_wait_alu 0xfffe
	s_delay_alu instid0(SALU_CYCLE_1) | instskip(NEXT) | instid1(SALU_CYCLE_1)
	s_cvt_u32_f32 s3, s3
	s_cvt_u32_f32 s8, s8
	s_wait_alu 0xfffe
	s_delay_alu instid0(SALU_CYCLE_1) | instskip(NEXT) | instid1(SALU_CYCLE_1)
	s_mul_i32 s9, s9, s3
	s_mul_hi_u32 s9, s3, s9
	s_mul_i32 s10, s10, s8
	s_add_co_i32 s40, s3, s9
	s_mul_hi_u32 s10, s8, s10
	s_delay_alu instid0(SALU_CYCLE_1)
	s_add_co_i32 s42, s8, s10
	s_wait_kmcnt 0x0
	s_cmp_le_f32 s5, 0
	s_cbranch_scc1 .LBB14_2
; %bb.1:
	v_sub_co_u32 v1, s2, s28, s2
	s_and_b32 s5, s2, exec_lo
	s_cselect_b32 s5, s6, s7
	s_add_co_i32 s6, s28, 1
	v_readfirstlane_b32 s3, v1
	s_lshl_b32 s3, s3, 1
	s_wait_alu 0xfffe
	s_or_b32 s3, s3, 1
	s_and_b32 s2, s2, exec_lo
	s_wait_alu 0xfffe
	s_cselect_b32 s2, s6, s3
	s_cmp_neq_f32 s5, 1.0
	s_wait_alu 0xfffe
	s_cvt_f32_i32 s2, s2
	s_wait_alu 0xfffe
	s_delay_alu instid0(SALU_CYCLE_2)
	s_cselect_b32 s3, s2, 1.0
	s_wait_alu 0xfffe
	s_cmp_neq_f32 s3, 0
	s_cselect_b32 s2, s5, 1.0
	s_wait_alu 0xfffe
	v_frexp_mant_f32_e64 v1, |s2|
	s_delay_alu instid0(VALU_DEP_1) | instskip(SKIP_3) | instid1(SALU_CYCLE_1)
	v_readfirstlane_b32 s5, v1
	v_cvt_f64_f32_e64 v[1:2], |s2|
	s_cmp_lt_f32 s5, 0x3f2aaaab
	s_cselect_b32 s6, -1, 0
	s_and_b32 s7, s6, exec_lo
	s_cselect_b32 s7, 2.0, 1.0
	s_delay_alu instid0(SALU_CYCLE_1) | instskip(NEXT) | instid1(SALU_CYCLE_3)
	s_mul_f32 s5, s5, s7
	s_add_f32 s7, s5, 1.0
	s_add_f32 s9, s5, -1.0
	s_delay_alu instid0(SALU_CYCLE_2) | instskip(SKIP_1) | instid1(SALU_CYCLE_3)
	v_s_rcp_f32 s8, s7
	s_add_f32 s12, s7, -1.0
	s_sub_f32 s5, s5, s12
	s_delay_alu instid0(TRANS32_DEP_1) | instskip(NEXT) | instid1(SALU_CYCLE_3)
	s_mul_f32 s10, s9, s8
	s_mul_f32 s11, s7, s10
	s_delay_alu instid0(SALU_CYCLE_3) | instskip(NEXT) | instid1(VALU_DEP_1)
	s_xor_b32 s13, s11, 0x80000000
	v_frexp_exp_i32_f64_e32 v1, v[1:2]
	s_fmac_f32 s13, s10, s7
	s_delay_alu instid0(SALU_CYCLE_3) | instskip(NEXT) | instid1(SALU_CYCLE_3)
	s_fmac_f32 s13, s10, s5
	s_add_f32 s5, s11, s13
	s_delay_alu instid0(SALU_CYCLE_3) | instskip(SKIP_2) | instid1(SALU_CYCLE_1)
	s_sub_f32 s7, s9, s5
	s_sub_f32 s11, s5, s11
	s_wait_alu 0xfffe
	s_sub_f32 s9, s9, s7
	s_delay_alu instid0(SALU_CYCLE_1) | instskip(NEXT) | instid1(SALU_CYCLE_2)
	s_sub_f32 s11, s11, s13
	s_sub_f32 s5, s9, s5
	s_delay_alu instid0(SALU_CYCLE_3) | instskip(SKIP_1) | instid1(SALU_CYCLE_2)
	s_add_f32 s5, s11, s5
	s_mov_b32 s11, 0x3e76c4e1
	s_add_f32 s5, s7, s5
	s_delay_alu instid0(SALU_CYCLE_3) | instskip(NEXT) | instid1(SALU_CYCLE_3)
	s_mul_f32 s5, s8, s5
	s_add_f32 s7, s10, s5
	s_wait_alu 0xfffe
	s_delay_alu instid0(SALU_CYCLE_2) | instskip(SKIP_1) | instid1(SALU_CYCLE_2)
	s_sub_f32 s8, s7, s10
	s_mul_f32 s9, s7, s7
	s_sub_f32 s5, s5, s8
	s_delay_alu instid0(SALU_CYCLE_2) | instskip(NEXT) | instid1(SALU_CYCLE_1)
	s_xor_b32 s8, s9, 0x80000000
	s_fmac_f32 s8, s7, s7
	s_delay_alu instid0(SALU_CYCLE_1) | instskip(NEXT) | instid1(SALU_CYCLE_3)
	s_add_f32 s10, s5, s5
	s_fmac_f32 s8, s7, s10
	s_delay_alu instid0(SALU_CYCLE_3) | instskip(NEXT) | instid1(SALU_CYCLE_3)
	s_add_f32 s10, s9, s8
	s_fmaak_f32 s11, s10, s11, 0x3e91f4c4
	s_sub_f32 s9, s10, s9
	s_delay_alu instid0(SALU_CYCLE_2) | instskip(NEXT) | instid1(SALU_CYCLE_2)
	s_fmaak_f32 s11, s10, s11, 0x3ecccdef
	s_sub_f32 s8, s8, s9
	s_mul_f32 s9, s7, s10
	s_delay_alu instid0(SALU_CYCLE_1) | instskip(NEXT) | instid1(SALU_CYCLE_2)
	s_mul_f32 s12, s10, s11
	s_xor_b32 s14, s9, 0x80000000
	s_delay_alu instid0(SALU_CYCLE_2) | instskip(SKIP_2) | instid1(SALU_CYCLE_2)
	s_xor_b32 s13, s12, 0x80000000
	s_fmac_f32 s14, s10, s7
	s_fmac_f32 s13, s10, s11
	;; [unrolled: 1-line block ×3, first 2 shown]
	s_delay_alu instid0(SALU_CYCLE_2) | instskip(NEXT) | instid1(SALU_CYCLE_2)
	s_fmac_f32 s13, s8, s11
	s_fmac_f32 s14, s8, s7
	s_delay_alu instid0(SALU_CYCLE_2) | instskip(NEXT) | instid1(SALU_CYCLE_3)
	s_add_f32 s11, s12, s13
	s_sub_f32 s12, s11, s12
	s_add_f32 s15, s11, 0x3f2aaaaa
	s_delay_alu instid0(SALU_CYCLE_2) | instskip(NEXT) | instid1(SALU_CYCLE_2)
	s_sub_f32 s12, s13, s12
	s_add_f32 s13, s15, 0xbf2aaaaa
	s_delay_alu instid0(SALU_CYCLE_2) | instskip(NEXT) | instid1(SALU_CYCLE_2)
	s_add_f32 s10, s12, 0x31739010
	s_sub_f32 s11, s11, s13
	s_delay_alu instid0(SALU_CYCLE_3) | instskip(SKIP_1) | instid1(SALU_CYCLE_2)
	s_add_f32 s8, s10, s11
	s_add_f32 s10, s9, s14
	;; [unrolled: 1-line block ×3, first 2 shown]
	s_delay_alu instid0(SALU_CYCLE_2) | instskip(NEXT) | instid1(SALU_CYCLE_2)
	s_sub_f32 s9, s10, s9
	s_mul_f32 s12, s10, s11
	s_sub_f32 s13, s15, s11
	s_delay_alu instid0(SALU_CYCLE_1) | instskip(NEXT) | instid1(SALU_CYCLE_1)
	s_sub_f32 s9, s14, s9
	s_xor_b32 s15, s12, 0x80000000
	s_delay_alu instid0(SALU_CYCLE_1)
	s_add_f32 s8, s8, s13
	s_fmac_f32 s15, s10, s11
	v_readfirstlane_b32 s13, v1
	v_ldexp_f32 v1, s7, 1
	s_cmp_lg_u32 s6, 0
	s_fmac_f32 s15, s10, s8
	s_sub_co_ci_u32 s6, s13, 0
	s_delay_alu instid0(VALU_DEP_1) | instskip(NEXT) | instid1(SALU_CYCLE_1)
	v_readfirstlane_b32 s7, v1
	s_fmac_f32 s15, s9, s11
	s_wait_alu 0xfffe
	s_cvt_f32_i32 s6, s6
	v_ldexp_f32 v1, s5, 1
	s_add_f32 s8, s12, s15
	s_wait_alu 0xfffe
	s_mul_f32 s5, s6, 0x3f317218
	s_delay_alu instid0(VALU_DEP_1)
	v_readfirstlane_b32 s11, v1
	s_add_f32 s9, s7, s8
	s_sub_f32 s10, s8, s12
	s_wait_alu 0xfffe
	s_xor_b32 s12, s5, 0x80000000
	s_sub_f32 s7, s9, s7
	s_sub_f32 s10, s15, s10
	s_fmamk_f32 s12, s6, 0x3f317218, s12
	s_wait_alu 0xfffe
	s_sub_f32 s7, s8, s7
	s_add_f32 s8, s11, s10
	s_fmamk_f32 s6, s6, 0xb102e308, s12
	s_wait_alu 0xfffe
	s_delay_alu instid0(SALU_CYCLE_1) | instskip(NEXT) | instid1(SALU_CYCLE_1)
	s_add_f32 s7, s8, s7
	s_add_f32 s8, s5, s6
	s_wait_alu 0xfffe
	s_delay_alu instid0(SALU_CYCLE_1) | instskip(NEXT) | instid1(SALU_CYCLE_1)
	s_add_f32 s10, s9, s7
	s_sub_f32 s5, s8, s5
	s_delay_alu instid0(SALU_CYCLE_2)
	s_add_f32 s11, s8, s10
	s_sub_f32 s9, s10, s9
	s_wait_alu 0xfffe
	s_sub_f32 s5, s6, s5
	s_sub_f32 s12, s11, s8
	;; [unrolled: 1-line block ×3, first 2 shown]
	s_delay_alu instid0(SALU_CYCLE_2) | instskip(SKIP_4) | instid1(SALU_CYCLE_3)
	s_sub_f32 s13, s11, s12
	s_sub_f32 s7, s10, s12
	s_wait_alu 0xfffe
	s_add_f32 s9, s5, s6
	s_sub_f32 s8, s8, s13
	s_add_f32 s7, s7, s8
	s_delay_alu instid0(SALU_CYCLE_1) | instskip(SKIP_1) | instid1(SALU_CYCLE_1)
	s_sub_f32 s8, s9, s5
	s_wait_alu 0xfffe
	s_add_f32 s7, s9, s7
	s_delay_alu instid0(SALU_CYCLE_1) | instskip(SKIP_4) | instid1(SALU_CYCLE_2)
	s_sub_f32 s9, s9, s8
	s_sub_f32 s6, s6, s8
	s_wait_alu 0xfffe
	s_add_f32 s10, s11, s7
	s_sub_f32 s5, s5, s9
	s_sub_f32 s8, s10, s11
	s_wait_alu 0xfffe
	s_delay_alu instid0(SALU_CYCLE_1) | instskip(NEXT) | instid1(SALU_CYCLE_1)
	s_add_f32 s5, s6, s5
	s_sub_f32 s6, s7, s8
	s_wait_alu 0xfffe
	s_delay_alu instid0(SALU_CYCLE_2) | instskip(SKIP_1) | instid1(SALU_CYCLE_2)
	s_add_f32 s5, s5, s6
	s_wait_alu 0xfffe
	s_add_f32 s6, s10, s5
	s_wait_alu 0xfffe
	s_delay_alu instid0(SALU_CYCLE_2) | instskip(SKIP_2) | instid1(SALU_CYCLE_1)
	s_mul_f32 s7, s3, s6
	s_sub_f32 s8, s6, s10
	s_wait_alu 0xfffe
	s_xor_b32 s9, s7, 0x80000000
	s_delay_alu instid0(SALU_CYCLE_1) | instskip(SKIP_2) | instid1(SALU_CYCLE_2)
	s_sub_f32 s5, s5, s8
	s_fmac_f32 s9, s3, s6
	s_wait_alu 0xfffe
	s_fmac_f32 s9, s3, s5
	v_cmp_class_f32_e64 s5, s7, 0x204
	s_delay_alu instid0(SALU_CYCLE_2) | instskip(SKIP_2) | instid1(SALU_CYCLE_1)
	s_add_f32 s6, s7, s9
	s_and_b32 s5, s5, exec_lo
	s_wait_alu 0xfffe
	s_sub_f32 s5, s6, s7
	s_cselect_b32 s6, s7, s6
	s_wait_alu 0xfffe
	s_and_b32 s7, s6, 0x7fffffff
	s_sub_f32 s5, s9, s5
	s_wait_alu 0xfffe
	s_cmp_neq_f32 s7, 0x7f800000
	s_delay_alu instid0(SALU_CYCLE_1)
	s_cselect_b32 s5, s5, 0
	s_cmp_eq_f32 s6, 0x42b17218
	s_cselect_b32 s7, 0x37000000, 0
	s_wait_alu 0xfffe
	s_sub_f32 s6, s6, s7
	s_add_f32 s5, s7, s5
	s_wait_alu 0xfffe
	s_delay_alu instid0(SALU_CYCLE_1) | instskip(NEXT) | instid1(SALU_CYCLE_3)
	s_mul_f32 s8, s6, 0x3fb8aa3b
	s_xor_b32 s9, s8, 0x80000000
	s_rndne_f32 s10, s8
	s_fmamk_f32 s9, s6, 0x3fb8aa3b, s9
	s_cmp_nlt_f32 s6, 0xc2ce8ed0
	s_delay_alu instid0(SALU_CYCLE_1) | instskip(NEXT) | instid1(SALU_CYCLE_1)
	s_sub_f32 s8, s8, s10
	s_fmamk_f32 s9, s6, 0x32a5705f, s9
	s_cselect_b32 vcc_lo, -1, 0
	s_cmp_ngt_f32 s6, 0x42b17218
	s_trunc_f32 s6, s3
	s_add_f32 s8, s8, s9
	s_cvt_i32_f32 s9, s10
	s_delay_alu instid0(SALU_CYCLE_2)
	v_s_exp_f32 s8, s8
	s_wait_alu 0xf1ff
	s_delay_alu instid0(TRANS32_DEP_1) | instid1(SALU_CYCLE_1)
	v_ldexp_f32 v1, s8, s9
	s_mul_f32 s8, s3, 0.5
	s_delay_alu instid0(VALU_DEP_1)
	v_cndmask_b32_e32 v1, 0, v1, vcc_lo
	s_cselect_b32 vcc_lo, -1, 0
	s_wait_alu 0xfffe
	s_cmp_eq_f32 s6, s3
	s_trunc_f32 s9, s8
	v_cndmask_b32_e32 v1, 0x7f800000, v1, vcc_lo
	s_cselect_b32 s10, -1, 0
	s_wait_alu 0xfffe
	s_cmp_neq_f32 s9, s8
	s_delay_alu instid0(VALU_DEP_1)
	v_fma_f32 v2, s5, v1, v1
	v_cmp_class_f32_e64 vcc_lo, v1, 0x204
	s_cselect_b32 s7, -1, 0
	s_wait_alu 0xfffe
	s_and_b32 s5, s10, s7
	s_wait_alu 0xfffd
	v_cndmask_b32_e32 v1, v2, v1, vcc_lo
	s_wait_alu 0xfffe
	s_and_b32 s7, s5, exec_lo
	s_cselect_b32 s7, s2, 1.0
	s_cmp_eq_f32 s6, s3
	v_cmp_class_f32_e64 s6, s2, 0x204
	s_wait_alu 0xfffe
	v_bfi_b32 v1, 0x7fffffff, v1, s7
	s_cselect_b32 vcc_lo, -1, 0
	s_cmp_lt_f32 s2, 0
	s_wait_alu 0xfffe
	s_delay_alu instid0(VALU_DEP_1) | instskip(SKIP_3) | instid1(VALU_DEP_1)
	v_cndmask_b32_e32 v2, 0x7fc00000, v1, vcc_lo
	s_cselect_b32 vcc_lo, -1, 0
	s_cmp_eq_f32 s2, 0
	s_wait_alu 0xfffe
	v_cndmask_b32_e32 v1, v1, v2, vcc_lo
	s_cselect_b32 s7, -1, 0
	s_wait_alu 0xfffe
	s_or_b32 vcc_lo, s7, s6
	s_cmp_lt_f32 s3, 0
	s_cselect_b32 s3, -1, 0
	s_wait_alu 0xfffe
	s_xor_b32 s3, s3, s7
	s_wait_alu 0xfffe
	s_and_b32 s3, s3, exec_lo
	s_cselect_b32 s3, 0, 0x7f800000
	s_and_b32 s5, s5, exec_lo
	s_cselect_b32 s5, s2, 0
	s_cmp_o_f32 s2, s2
	s_wait_alu 0xfffe
	v_mov_b32_e32 v2, s5
	s_delay_alu instid0(VALU_DEP_1) | instskip(NEXT) | instid1(VALU_DEP_1)
	v_bfi_b32 v2, 0x7fffffff, s3, v2
	v_cndmask_b32_e32 v1, v1, v2, vcc_lo
	s_cselect_b32 vcc_lo, -1, 0
	s_wait_alu 0xfffe
	s_delay_alu instid0(VALU_DEP_1)
	v_cndmask_b32_e32 v46, 0x7fc00000, v1, vcc_lo
.LBB14_2:
	s_load_b512 s[8:23], s[0:1], 0x0
	v_bfe_u32 v43, v0, 10, 10
	v_and_b32_e32 v44, 0x3ff, v0
	v_mbcnt_lo_u32_b32 v45, -1, 0
	s_mov_b32 s43, s37
	s_mov_b32 s35, s37
	v_cmp_eq_u32_e64 s2, 0, v43
	s_mov_b32 s41, s37
	s_and_saveexec_b32 s6, s2
	s_cbranch_execz .LBB14_7
; %bb.3:
	s_load_b96 s[52:54], s[0:1], 0x70
	v_lshlrev_b32_e32 v0, 4, v44
	v_xor_b32_e32 v11, 1, v45
	s_wait_kmcnt 0x0
	s_mul_i32 s3, s26, s54
	s_mul_i32 s5, s52, ttmp9
	s_mul_i32 s7, s28, s53
	s_wait_alu 0xfffe
	s_add_co_i32 s3, s3, s5
	s_wait_alu 0xfffe
	s_add_co_i32 s44, s3, s7
	s_mov_b32 s7, exec_lo
	s_ashr_i32 s45, s44, 31
	s_delay_alu instid0(SALU_CYCLE_1) | instskip(SKIP_2) | instid1(VALU_DEP_1)
	s_add_nc_u64 s[8:9], s[8:9], s[44:45]
	global_load_b128 v[7:10], v0, s[8:9]
	v_xor_b32_e32 v0, 4, v45
	v_cmp_gt_i32_e32 vcc_lo, 32, v0
	s_wait_alu 0xfffd
	v_cndmask_b32_e32 v0, v45, v0, vcc_lo
	s_delay_alu instid0(VALU_DEP_1) | instskip(SKIP_4) | instid1(VALU_DEP_3)
	v_lshlrev_b32_e32 v0, 2, v0
	s_wait_loadcnt 0x0
	v_dual_mul_f32 v4, s4, v8 :: v_dual_mul_f32 v5, s4, v10
	v_xor_b32_e32 v8, 2, v45
	v_mul_f32_e32 v1, s4, v7
	v_fma_f32 v7, s4, v7, v4
	s_delay_alu instid0(VALU_DEP_3) | instskip(NEXT) | instid1(VALU_DEP_3)
	v_cmp_gt_i32_e32 vcc_lo, 32, v8
	v_max_num_f32_e64 v2, |v1|, |v4|
	s_wait_alu 0xfffd
	s_delay_alu instid0(VALU_DEP_3) | instskip(SKIP_1) | instid1(VALU_DEP_2)
	v_dual_fmac_f32 v7, s4, v9 :: v_dual_cndmask_b32 v8, v45, v8
	v_cmp_gt_i32_e32 vcc_lo, 32, v11
	v_dual_mul_f32 v6, s4, v9 :: v_dual_fmac_f32 v7, s4, v10
	s_wait_alu 0xfffd
	v_cndmask_b32_e32 v11, v45, v11, vcc_lo
	s_delay_alu instid0(VALU_DEP_2) | instskip(NEXT) | instid1(VALU_DEP_2)
	v_max3_num_f32 v2, v2, |v6|, |v5|
	v_lshlrev_b32_e32 v11, 2, v11
	ds_bpermute_b32 v3, v0, v2
	s_wait_dscnt 0x0
	v_dual_max_num_f32 v3, v3, v3 :: v_dual_lshlrev_b32 v8, 2, v8
	s_delay_alu instid0(VALU_DEP_1)
	v_max_num_f32_e32 v2, v2, v3
	ds_bpermute_b32 v3, v8, v2
	s_wait_dscnt 0x0
	v_max_num_f32_e32 v3, v3, v3
	ds_bpermute_b32 v0, v0, v7
	v_max_num_f32_e32 v2, v2, v3
	ds_bpermute_b32 v3, v11, v2
	s_wait_dscnt 0x1
	v_add_f32_e32 v0, v7, v0
	s_wait_dscnt 0x0
	v_max_num_f32_e32 v3, v3, v3
	s_delay_alu instid0(VALU_DEP_1) | instskip(SKIP_3) | instid1(VALU_DEP_2)
	v_max_num_f32_e32 v9, v2, v3
	ds_bpermute_b32 v3, v8, v0
	v_div_scale_f32 v10, null, 0x42fe0000, 0x42fe0000, v9
	v_div_scale_f32 v7, vcc_lo, v9, 0x42fe0000, v9
	v_rcp_f32_e32 v12, v10
	s_delay_alu instid0(TRANS32_DEP_1) | instskip(NEXT) | instid1(VALU_DEP_1)
	v_fma_f32 v2, -v10, v12, 1.0
	v_fmac_f32_e32 v12, v2, v12
	s_wait_dscnt 0x0
	v_add_f32_e32 v2, v0, v3
	s_delay_alu instid0(VALU_DEP_2) | instskip(SKIP_2) | instid1(VALU_DEP_1)
	v_mul_f32_e32 v8, v7, v12
	ds_bpermute_b32 v3, v11, v2
	v_fma_f32 v13, -v10, v8, v7
	v_fmac_f32_e32 v8, v13, v12
	s_delay_alu instid0(VALU_DEP_1) | instskip(SKIP_2) | instid1(VALU_DEP_2)
	v_fma_f32 v0, -v10, v8, v7
	v_mov_b32_e32 v7, 0
	s_wait_alu 0xfffd
	v_div_fmas_f32 v0, v0, v12, v8
	s_delay_alu instid0(VALU_DEP_1) | instskip(NEXT) | instid1(VALU_DEP_1)
	v_div_fixup_f32 v0, v0, 0x42fe0000, v9
	v_cmpx_neq_f32_e32 0, v0
	s_cbranch_execz .LBB14_5
; %bb.4:
	v_div_scale_f32 v7, null, v0, v0, v1
	v_div_scale_f32 v8, null, v0, v0, v4
	;; [unrolled: 1-line block ×3, first 2 shown]
	s_delay_alu instid0(VALU_DEP_3) | instskip(SKIP_1) | instid1(VALU_DEP_3)
	v_rcp_f32_e32 v9, v7
	v_div_scale_f32 v11, null, v0, v0, v5
	v_rcp_f32_e32 v12, v8
	s_delay_alu instid0(VALU_DEP_2) | instskip(SKIP_1) | instid1(VALU_DEP_2)
	v_rcp_f32_e32 v13, v10
	v_div_scale_f32 v17, vcc_lo, v1, v0, v1
	v_rcp_f32_e32 v14, v11
	v_fma_f32 v15, -v7, v9, 1.0
	s_delay_alu instid0(TRANS32_DEP_3) | instskip(NEXT) | instid1(TRANS32_DEP_2)
	v_fma_f32 v16, -v8, v12, 1.0
	v_fma_f32 v18, -v10, v13, 1.0
	s_delay_alu instid0(VALU_DEP_3) | instskip(SKIP_1) | instid1(TRANS32_DEP_1)
	v_fmac_f32_e32 v9, v15, v9
	v_div_scale_f32 v15, s3, v4, v0, v4
	v_fma_f32 v19, -v11, v14, 1.0
	s_delay_alu instid0(VALU_DEP_4) | instskip(SKIP_1) | instid1(VALU_DEP_3)
	v_dual_fmac_f32 v12, v16, v12 :: v_dual_fmac_f32 v13, v18, v13
	v_div_scale_f32 v16, s4, v6, v0, v6
	v_dual_fmac_f32 v14, v19, v14 :: v_dual_mul_f32 v19, v17, v9
	s_delay_alu instid0(VALU_DEP_3) | instskip(SKIP_1) | instid1(VALU_DEP_4)
	v_mul_f32_e32 v20, v15, v12
	v_div_scale_f32 v18, s5, v5, v0, v5
	v_mul_f32_e32 v21, v16, v13
	s_delay_alu instid0(VALU_DEP_4) | instskip(NEXT) | instid1(VALU_DEP_4)
	v_fma_f32 v23, -v7, v19, v17
	v_fma_f32 v24, -v8, v20, v15
	s_delay_alu instid0(VALU_DEP_4) | instskip(NEXT) | instid1(VALU_DEP_4)
	v_mul_f32_e32 v22, v18, v14
	v_fma_f32 v25, -v10, v21, v16
	s_delay_alu instid0(VALU_DEP_3) | instskip(NEXT) | instid1(VALU_DEP_3)
	v_dual_fmac_f32 v19, v23, v9 :: v_dual_fmac_f32 v20, v24, v12
	v_fma_f32 v26, -v11, v22, v18
	s_delay_alu instid0(VALU_DEP_3) | instskip(NEXT) | instid1(VALU_DEP_3)
	v_fmac_f32_e32 v21, v25, v13
	v_fma_f32 v7, -v7, v19, v17
	s_delay_alu instid0(VALU_DEP_4) | instskip(NEXT) | instid1(VALU_DEP_4)
	v_fma_f32 v8, -v8, v20, v15
	v_fmac_f32_e32 v22, v26, v14
	s_delay_alu instid0(VALU_DEP_4)
	v_fma_f32 v10, -v10, v21, v16
	s_wait_alu 0xfffd
	v_div_fmas_f32 v7, v7, v9, v19
	s_mov_b32 vcc_lo, s3
	s_wait_alu 0xfffe
	v_div_fmas_f32 v8, v8, v12, v20
	s_mov_b32 vcc_lo, s4
	v_div_fixup_f32 v1, v7, v0, v1
	s_wait_alu 0xfffe
	v_div_fmas_f32 v9, v10, v13, v21
	v_fma_f32 v10, -v11, v22, v18
	s_mov_b32 vcc_lo, s5
	v_div_fixup_f32 v4, v8, v0, v4
	v_trunc_f32_e32 v12, v1
	v_div_fixup_f32 v6, v9, v0, v6
	s_wait_alu 0xfffe
	v_div_fmas_f32 v9, v10, v14, v22
	s_delay_alu instid0(VALU_DEP_2) | instskip(NEXT) | instid1(VALU_DEP_2)
	v_trunc_f32_e32 v8, v6
	v_div_fixup_f32 v5, v9, v0, v5
	v_trunc_f32_e32 v9, v4
	s_delay_alu instid0(VALU_DEP_3) | instskip(NEXT) | instid1(VALU_DEP_3)
	v_sub_f32_e32 v10, v6, v8
	v_trunc_f32_e32 v7, v5
	s_delay_alu instid0(VALU_DEP_3) | instskip(NEXT) | instid1(VALU_DEP_3)
	v_sub_f32_e32 v11, v4, v9
	v_cmp_ge_f32_e64 s3, |v10|, 0.5
	s_wait_alu 0xf1ff
	s_delay_alu instid0(VALU_DEP_1) | instskip(NEXT) | instid1(VALU_DEP_3)
	v_cndmask_b32_e64 v10, 0, 1.0, s3
	v_cmp_ge_f32_e64 s3, |v11|, 0.5
	s_delay_alu instid0(VALU_DEP_2) | instskip(SKIP_2) | instid1(VALU_DEP_3)
	v_bfi_b32 v6, 0x7fffffff, v10, v6
	v_sub_f32_e32 v13, v5, v7
	s_wait_alu 0xf1ff
	v_cndmask_b32_e64 v11, 0, 1.0, s3
	s_delay_alu instid0(VALU_DEP_3) | instskip(NEXT) | instid1(VALU_DEP_3)
	v_add_f32_e32 v6, v8, v6
	v_cmp_ge_f32_e64 s3, |v13|, 0.5
	s_delay_alu instid0(VALU_DEP_3) | instskip(NEXT) | instid1(VALU_DEP_3)
	v_bfi_b32 v4, 0x7fffffff, v11, v4
	v_cvt_i32_f32_e32 v6, v6
	s_wait_alu 0xf1ff
	s_delay_alu instid0(VALU_DEP_3) | instskip(NEXT) | instid1(VALU_DEP_2)
	v_cndmask_b32_e64 v13, 0, 1.0, s3
	v_and_b32_e32 v6, 0xff, v6
	s_delay_alu instid0(VALU_DEP_2) | instskip(SKIP_1) | instid1(VALU_DEP_2)
	v_bfi_b32 v5, 0x7fffffff, v13, v5
	v_sub_f32_e32 v10, v1, v12
	v_dual_add_f32 v5, v7, v5 :: v_dual_lshlrev_b32 v6, 16, v6
	s_delay_alu instid0(VALU_DEP_2) | instskip(NEXT) | instid1(VALU_DEP_2)
	v_cmp_ge_f32_e64 s3, |v10|, 0.5
	v_cvt_i32_f32_e32 v5, v5
	s_wait_alu 0xf1ff
	s_delay_alu instid0(VALU_DEP_2) | instskip(NEXT) | instid1(VALU_DEP_2)
	v_cndmask_b32_e64 v8, 0, 1.0, s3
	v_lshl_or_b32 v5, v5, 24, v6
	s_delay_alu instid0(VALU_DEP_2) | instskip(NEXT) | instid1(VALU_DEP_1)
	v_bfi_b32 v1, 0x7fffffff, v8, v1
	v_dual_add_f32 v4, v9, v4 :: v_dual_add_f32 v1, v12, v1
	s_delay_alu instid0(VALU_DEP_1) | instskip(NEXT) | instid1(VALU_DEP_2)
	v_cvt_i32_f32_e32 v4, v4
	v_cvt_i32_f32_e32 v1, v1
	s_delay_alu instid0(VALU_DEP_2) | instskip(NEXT) | instid1(VALU_DEP_2)
	v_and_b32_e32 v4, 0xff, v4
	v_and_b32_e32 v1, 0xff, v1
	s_delay_alu instid0(VALU_DEP_2) | instskip(NEXT) | instid1(VALU_DEP_1)
	v_lshlrev_b32_e32 v4, 8, v4
	v_or3_b32 v7, v5, v4, v1
.LBB14_5:
	s_wait_alu 0xfffe
	s_or_b32 exec_lo, exec_lo, s7
	v_and_b32_e32 v1, 7, v44
	v_lshlrev_b32_e32 v4, 2, v44
	s_delay_alu instid0(VALU_DEP_2)
	v_cmp_eq_u32_e32 vcc_lo, 0, v1
	ds_store_b32 v4, v7
	s_and_b32 exec_lo, exec_lo, vcc_lo
	s_cbranch_execz .LBB14_7
; %bb.6:
	s_wait_dscnt 0x1
	v_add_f32_e32 v1, v2, v3
	ds_store_b64 v44, v[0:1] offset:128
.LBB14_7:
	s_wait_alu 0xfffe
	s_or_b32 exec_lo, exec_lo, s6
	v_and_b32_e32 v10, 1, v44
	v_mov_b32_e32 v50, 0
	s_wait_dscnt 0x0
	s_barrier_signal -1
	s_barrier_wait -1
	v_lshlrev_b32_e32 v8, 2, v10
	global_inv scope:SCOPE_SE
	s_ashr_i32 s29, s28, 31
	s_ashr_i32 s3, s27, 31
	;; [unrolled: 1-line block ×3, first 2 shown]
	ds_load_2addr_b32 v[16:17], v8 offset1:2
	ds_load_2addr_b32 v[18:19], v8 offset0:4 offset1:6
	ds_load_2addr_b32 v[20:21], v8 offset0:8 offset1:10
	;; [unrolled: 1-line block ×3, first 2 shown]
	ds_load_b128 v[0:3], v50 offset:128
	ds_load_b128 v[4:7], v50 offset:144
	ds_load_2addr_b32 v[24:25], v8 offset0:16 offset1:18
	ds_load_2addr_b32 v[26:27], v8 offset0:20 offset1:22
	;; [unrolled: 1-line block ×4, first 2 shown]
	s_mul_u64 s[42:43], s[36:37], s[42:43]
	s_mul_u64 s[40:41], s[34:35], s[40:41]
	s_wait_kmcnt 0x0
	s_cmp_eq_u64 s[18:19], 0
	s_wait_loadcnt_dscnt 0x0
	s_barrier_signal -1
	s_barrier_wait -1
	global_inv scope:SCOPE_SE
	s_cbranch_scc1 .LBB14_9
; %bb.8:
	s_load_b32 s4, s[0:1], 0xd0
	s_mov_b32 s5, 0
	s_wait_kmcnt 0x0
	s_mul_i32 s4, s4, s26
	s_wait_alu 0xfffe
	s_add_co_i32 s4, s4, ttmp9
	s_wait_alu 0xfffe
	s_lshl_b64 s[4:5], s[4:5], 2
	s_wait_alu 0xfffe
	s_add_nc_u64 s[4:5], s[18:19], s[4:5]
	s_load_b32 s30, s[4:5], 0x0
.LBB14_9:
	v_lshlrev_b32_e32 v9, 5, v43
	s_and_b32 s31, ttmp7, 0xffff
	v_lshlrev_b32_e32 v49, 2, v44
	s_lshl_b32 s33, s31, 7
	s_mov_b32 s19, 0
	v_add_nc_u32_e32 v47, v9, v44
	s_wait_kmcnt 0x0
	s_cmp_ge_i32 s33, s30
	s_delay_alu instid0(VALU_DEP_1)
	v_lshlrev_b32_e32 v48, 1, v47
	s_cbranch_scc1 .LBB14_17
; %bb.10:
	s_clause 0x1
	s_load_b128 s[4:7], s[0:1], 0x98
	s_load_b64 s[8:9], s[0:1], 0x8c
	s_mul_i32 s49, s43, s48
	s_mul_i32 s42, s41, s46
	s_clause 0x2
	s_load_b64 s[44:45], s[0:1], 0xa8
	s_load_b64 s[40:41], s[0:1], 0xc8
	s_load_b32 s18, s[0:1], 0xd4
	s_sub_co_i32 s36, s36, s49
	s_xor_b32 s35, s29, s3
	s_add_co_i32 s37, s43, 1
	s_mul_i32 s38, s39, ttmp9
	s_sub_co_i32 s39, s36, s48
	s_cmp_ge_u32 s36, s48
	v_and_b32_e32 v11, 0x7e, v44
	s_cselect_b32 s37, s37, s43
	s_cselect_b32 s36, s39, s36
	s_add_co_i32 s39, s37, 1
	v_bfe_u32 v13, v44, 3, 27
	s_cmp_ge_u32 s36, s48
	v_cmp_eq_u32_e64 s3, 0, v10
	s_cselect_b32 s36, s39, s37
	s_sub_co_i32 s39, s34, s42
	s_wait_kmcnt 0x0
	v_mul_lo_u32 v33, v9, s6
	s_xor_b32 s34, s36, s35
	v_add_nc_u32_e32 v10, v9, v11
	v_mul_hi_u32_u24_e32 v12, 18, v13
	v_mul_u32_u24_e32 v11, 18, v13
	s_sub_co_i32 s35, s34, s35
	s_sub_co_i32 s42, s39, s46
	s_mul_i32 s34, s35, s9
	v_add_nc_u32_e32 v63, s6, v33
	s_mul_i32 s36, s35, s7
	v_mad_co_u64_u32 v[13:14], null, s44, s26, v[11:12]
	s_ashr_i32 s35, s34, 31
	s_ashr_i32 s37, s36, 31
	v_add_nc_u32_e32 v15, s6, v63
	s_cmp_ge_u32 s39, s46
	s_mul_i32 s7, s45, s26
	s_cselect_b32 s39, s42, s39
	s_mul_i32 s9, s44, s27
	s_sub_co_i32 s42, s39, s46
	v_add_nc_u32_e32 v34, s6, v15
	s_cmp_ge_u32 s39, s46
	s_wait_alu 0xfffe
	v_add3_u32 v14, s9, s7, v14
	s_cselect_b32 s7, s42, s39
	s_ashr_i32 s39, s38, 31
	s_wait_alu 0xfffe
	s_xor_b32 s7, s7, s27
	v_add_nc_u32_e32 v35, s6, v34
	s_wait_alu 0xfffe
	s_sub_co_i32 s42, s7, s27
	v_and_b32_e32 v32, 12, v49
	s_ashr_i32 s43, s42, 31
	v_ashrrev_i32_e32 v54, 31, v33
	s_cmp_lg_u64 s[14:15], 0
	v_add_nc_u32_e32 v37, 31, v9
	v_add_nc_u32_e32 v36, s6, v35
	s_mov_b32 s47, s19
	s_add_nc_u64 s[38:39], s[14:15], s[38:39]
	s_mul_u64 s[40:41], s[40:41], s[42:43]
	s_cselect_b32 s15, -1, 0
	s_lshl_b32 s46, s33, 1
	v_add_nc_u32_e32 v38, 30, v9
	v_lshlrev_b32_e32 v53, 1, v10
	v_add_co_u32 v11, vcc_lo, v13, v33
	s_add_nc_u64 s[40:41], s[40:41], s[46:47]
	s_wait_alu 0xfffd
	v_add_co_ci_u32_e64 v12, null, v14, v54, vcc_lo
	v_add_co_u32 v62, vcc_lo, v13, v32
	v_mul_lo_u32 v70, s6, v37
	v_add_nc_u32_e32 v37, s6, v36
	s_add_nc_u64 s[38:39], s[38:39], s[40:41]
	v_mul_lo_u32 v71, s6, v38
	s_wait_alu 0xfffd
	v_add_co_ci_u32_e64 v73, null, 0, v14, vcc_lo
	v_add_co_u32 v38, vcc_lo, v13, s36
	v_add_co_u32 v32, s7, s38, v53
	v_add_nc_u32_e32 v61, 29, v9
	s_wait_alu 0xfffd
	v_add_co_ci_u32_e64 v39, null, s37, v14, vcc_lo
	v_add_co_u32 v13, vcc_lo, v62, v33
	s_wait_alu 0xf1ff
	v_add_co_ci_u32_e64 v33, null, s39, 0, s7
	v_add_nc_u32_e32 v40, s6, v37
	s_wait_alu 0xfffd
	v_add_co_ci_u32_e64 v14, null, v73, v54, vcc_lo
	v_add_co_u32 v32, vcc_lo, v32, 2
	v_add_nc_u32_e32 v74, 28, v9
	v_add_nc_u32_e32 v76, 27, v9
	s_wait_alu 0xfffd
	v_add_co_ci_u32_e64 v33, null, 0, v33, vcc_lo
	v_mul_lo_u32 v75, s6, v61
	v_add_co_u32 v61, vcc_lo, v62, s36
	v_ashrrev_i32_e32 v104, 31, v63
	v_add_nc_u32_e32 v41, s6, v40
	s_wait_alu 0xfffd
	v_add_co_ci_u32_e64 v62, null, s37, v73, vcc_lo
	v_add_co_u32 v106, vcc_lo, v38, v63
	v_mul_lo_u32 v73, s6, v74
	v_mul_lo_u32 v74, s6, v76
	v_ashrrev_i32_e32 v76, 31, v70
	s_wait_alu 0xfffd
	v_add_co_ci_u32_e64 v107, null, v39, v104, vcc_lo
	v_add_co_u32 v108, vcc_lo, v61, v63
	v_add_nc_u32_e32 v42, s6, v41
	s_wait_alu 0xfffd
	v_add_co_ci_u32_e64 v104, null, v62, v104, vcc_lo
	v_add_co_u32 v109, vcc_lo, v61, v70
	v_ashrrev_i32_e32 v77, 31, v71
	s_wait_alu 0xfffd
	v_add_co_ci_u32_e64 v110, null, v62, v76, vcc_lo
	v_add_co_u32 v111, vcc_lo, v38, v70
	v_add_nc_u32_e32 v50, s6, v42
	v_add_nc_u32_e32 v79, 26, v9
	s_wait_alu 0xfffd
	v_add_co_ci_u32_e64 v76, null, v39, v76, vcc_lo
	v_add_co_u32 v112, vcc_lo, v61, v71
	v_ashrrev_i32_e32 v78, 31, v75
	s_wait_alu 0xfffd
	v_add_co_ci_u32_e64 v113, null, v62, v77, vcc_lo
	v_add_co_u32 v114, vcc_lo, v38, v71
	v_add_nc_u32_e32 v80, 25, v9
	s_wait_alu 0xfffd
	v_add_co_ci_u32_e64 v115, null, v39, v77, vcc_lo
	v_add_co_u32 v116, vcc_lo, v61, v75
	v_add_nc_u32_e32 v51, s6, v50
	v_ashrrev_i32_e32 v82, 31, v73
	v_mul_lo_u32 v79, s6, v79
	s_wait_alu 0xfffd
	v_add_co_ci_u32_e64 v117, null, v62, v78, vcc_lo
	v_add_co_u32 v118, vcc_lo, v38, v75
	v_add_nc_u32_e32 v81, 24, v9
	s_wait_alu 0xfffd
	v_add_co_ci_u32_e64 v119, null, v39, v78, vcc_lo
	v_add_co_u32 v120, vcc_lo, v61, v73
	v_ashrrev_i32_e32 v83, 31, v74
	v_mul_lo_u32 v80, s6, v80
	v_add_nc_u32_e32 v52, s6, v51
	s_wait_alu 0xfffd
	v_add_co_ci_u32_e64 v121, null, v62, v82, vcc_lo
	v_add_co_u32 v122, vcc_lo, v38, v73
	v_add_nc_u32_e32 v84, 23, v9
	s_wait_alu 0xfffd
	v_add_co_ci_u32_e64 v123, null, v39, v82, vcc_lo
	v_add_co_u32 v124, vcc_lo, v61, v74
	v_mul_lo_u32 v81, s6, v81
	v_ashrrev_i32_e32 v89, 31, v79
	s_wait_alu 0xfffd
	v_add_co_ci_u32_e64 v125, null, v62, v83, vcc_lo
	v_add_co_u32 v126, vcc_lo, v38, v74
	v_add_nc_u32_e32 v55, s6, v52
	v_add_nc_u32_e32 v85, 22, v9
	s_wait_alu 0xfffd
	v_add_co_ci_u32_e64 v127, null, v39, v83, vcc_lo
	v_add_co_u32 v128, vcc_lo, v61, v79
	v_mul_lo_u32 v84, s6, v84
	v_ashrrev_i32_e32 v90, 31, v80
	s_wait_alu 0xfffd
	v_add_co_ci_u32_e64 v129, null, v62, v89, vcc_lo
	v_add_co_u32 v130, vcc_lo, v38, v79
	v_add_nc_u32_e32 v57, s6, v55
	;; [unrolled: 10-line block ×3, first 2 shown]
	s_wait_alu 0xfffd
	v_add_co_ci_u32_e64 v135, null, v39, v90, vcc_lo
	v_add_co_u32 v136, vcc_lo, v61, v81
	v_add_nc_u32_e32 v60, s6, v57
	v_mul_lo_u32 v86, s6, v86
	v_ashrrev_i32_e32 v92, 31, v84
	s_wait_alu 0xfffd
	v_add_co_ci_u32_e64 v137, null, v62, v91, vcc_lo
	v_add_co_u32 v138, vcc_lo, v38, v81
	v_add_nc_u32_e32 v88, 19, v9
	s_wait_alu 0xfffd
	v_add_co_ci_u32_e64 v139, null, v39, v91, vcc_lo
	v_add_co_u32 v140, vcc_lo, v61, v84
	v_mul_lo_u32 v87, s6, v87
	v_ashrrev_i32_e32 v93, 31, v85
	v_add_nc_u32_e32 v65, s6, v60
	s_wait_alu 0xfffd
	v_add_co_ci_u32_e64 v141, null, v62, v92, vcc_lo
	v_add_co_u32 v142, vcc_lo, v38, v84
	s_wait_alu 0xfffd
	v_add_co_ci_u32_e64 v143, null, v39, v92, vcc_lo
	v_add_co_u32 v144, vcc_lo, v61, v85
	v_mul_lo_u32 v88, s6, v88
	v_ashrrev_i32_e32 v94, 31, v86
	s_wait_alu 0xfffd
	v_add_co_ci_u32_e64 v145, null, v62, v93, vcc_lo
	v_add_co_u32 v146, vcc_lo, v38, v85
	v_add_nc_u32_e32 v68, s6, v65
	s_wait_alu 0xfffd
	v_add_co_ci_u32_e64 v147, null, v39, v93, vcc_lo
	v_add_co_u32 v148, vcc_lo, v61, v86
	v_ashrrev_i32_e32 v95, 31, v87
	s_wait_alu 0xfffd
	v_add_co_ci_u32_e64 v149, null, v62, v94, vcc_lo
	v_add_co_u32 v150, vcc_lo, v38, v86
	v_add_nc_u32_e32 v72, s6, v68
	s_wait_alu 0xfffd
	v_add_co_ci_u32_e64 v151, null, v39, v94, vcc_lo
	v_add_co_u32 v152, vcc_lo, v61, v87
	v_ashrrev_i32_e32 v96, 31, v88
	s_wait_alu 0xfffd
	v_add_co_ci_u32_e64 v153, null, v62, v95, vcc_lo
	v_add_co_u32 v154, vcc_lo, v38, v87
	s_wait_alu 0xfffd
	v_add_co_ci_u32_e64 v155, null, v39, v95, vcc_lo
	v_add_co_u32 v156, vcc_lo, v61, v88
	v_ashrrev_i32_e32 v97, 31, v72
	s_wait_alu 0xfffd
	v_add_co_ci_u32_e64 v157, null, v62, v96, vcc_lo
	v_add_co_u32 v158, vcc_lo, v38, v88
	;; [unrolled: 7-line block ×17, first 2 shown]
	v_and_b32_e32 v51, 30, v45
	s_wait_alu 0xfffd
	v_add_co_ci_u32_e64 v212, null, v39, v102, vcc_lo
	v_add_co_u32 v213, vcc_lo, v61, v34
	v_ashrrev_i32_e32 v105, 31, v15
	s_wait_alu 0xfffd
	v_add_co_ci_u32_e64 v214, null, v62, v103, vcc_lo
	v_add_co_u32 v34, vcc_lo, v38, v34
	v_add_nc_u32_e32 v51, 2, v51
	v_xor_b32_e32 v52, 1, v45
	s_wait_alu 0xfffd
	v_add_co_ci_u32_e64 v215, null, v39, v103, vcc_lo
	v_add_co_u32 v216, vcc_lo, v61, v15
	s_wait_alu 0xfffd
	v_add_co_ci_u32_e64 v217, null, v62, v105, vcc_lo
	v_add_co_u32 v15, vcc_lo, v38, v15
	s_wait_alu 0xfffd
	v_add_co_ci_u32_e64 v38, null, v39, v105, vcc_lo
	v_cmp_lt_i32_e32 vcc_lo, v52, v51
	v_xor_b32_e32 v53, 8, v45
	v_mul_lo_u32 v10, v10, s8
	v_xor_b32_e32 v54, 16, v45
	s_mul_u64 s[4:5], s[4:5], s[26:27]
	s_wait_alu 0xfffd
	v_cndmask_b32_e32 v39, v45, v52, vcc_lo
	v_xor_b32_e32 v52, 2, v45
	s_wait_alu 0xfffe
	v_add_co_u32 v8, s7, s4, v8
	s_wait_alu 0xf1ff
	v_add_co_ci_u32_e64 v62, null, s5, 0, s7
	v_lshlrev_b32_e32 v51, 2, v39
	v_xor_b32_e32 v39, 4, v45
	v_cmp_gt_i32_e32 vcc_lo, 32, v52
	v_add_nc_u32_e32 v61, s8, v10
	s_add_nc_u64 s[40:41], s[10:11], s[34:35]
	s_add_nc_u64 s[36:37], s[12:13], s[36:37]
	s_lshl_b32 s18, s18, 7
	s_wait_alu 0xfffd
	v_cndmask_b32_e32 v52, v45, v52, vcc_lo
	v_cmp_gt_i32_e32 vcc_lo, 32, v39
	s_mul_i32 s27, s6, s33
	s_mul_i32 s38, s8, s33
	s_wait_alu 0xfffd
	v_dual_cndmask_b32 v39, v45, v39 :: v_dual_lshlrev_b32 v52, 2, v52
	v_cmp_gt_i32_e32 vcc_lo, 32, v53
	s_wait_alu 0xfffd
	v_cndmask_b32_e32 v55, v45, v53, vcc_lo
	v_cmp_gt_i32_e32 vcc_lo, 32, v54
	v_lshlrev_b32_e32 v53, 2, v39
	v_ashrrev_i32_e32 v39, 31, v61
	s_wait_alu 0xfffd
	v_cndmask_b32_e32 v56, v45, v54, vcc_lo
	v_lshlrev_b32_e32 v54, 2, v55
	s_delay_alu instid0(VALU_DEP_2) | instskip(SKIP_4) | instid1(VALU_DEP_2)
	v_lshlrev_b32_e32 v55, 2, v56
	v_lshlrev_b32_e32 v56, 1, v9
	v_add_co_u32 v9, vcc_lo, v8, v61
	s_wait_alu 0xfffd
	v_add_co_ci_u32_e64 v58, null, v62, v39, vcc_lo
	v_add_co_u32 v57, vcc_lo, s40, v9
	s_wait_alu 0xfffd
	s_delay_alu instid0(VALU_DEP_2)
	v_add_co_ci_u32_e64 v58, null, s41, v58, vcc_lo
	s_wait_alu 0xfffe
	v_add_co_u32 v59, vcc_lo, s36, v11
	s_wait_alu 0xfffd
	v_add_co_ci_u32_e64 v60, null, s37, v12, vcc_lo
	v_add_co_u32 v8, vcc_lo, v8, s34
	s_add_nc_u64 s[40:41], s[40:41], s[4:5]
	s_wait_alu 0xfffd
	v_add_co_ci_u32_e64 v9, null, s35, v62, vcc_lo
	v_ashrrev_i32_e32 v11, 31, v10
	s_wait_alu 0xfffe
	v_add_co_u32 v61, vcc_lo, s40, v61
	s_wait_alu 0xfffd
	v_add_co_ci_u32_e64 v62, null, s41, v39, vcc_lo
	v_add_co_u32 v8, vcc_lo, v8, v10
	s_wait_alu 0xfffd
	v_add_co_ci_u32_e64 v9, null, v9, v11, vcc_lo
	;; [unrolled: 3-line block ×7, first 2 shown]
	s_add_nc_u64 s[4:5], s[4:5], s[34:35]
	v_add_co_u32 v69, vcc_lo, v8, 2
	s_wait_alu 0xfffe
	s_add_nc_u64 s[4:5], s[10:11], s[4:5]
	s_wait_alu 0xfffd
	v_add_co_ci_u32_e64 v70, null, 0, v9, vcc_lo
	s_wait_alu 0xfffe
	v_add_co_u32 v8, vcc_lo, s4, v10
	s_wait_alu 0xfffd
	v_add_co_ci_u32_e64 v9, null, s5, v11, vcc_lo
	v_add_co_u32 v10, vcc_lo, s12, v109
	s_wait_alu 0xfffd
	v_add_co_ci_u32_e64 v11, null, s13, v110, vcc_lo
	;; [unrolled: 3-line block ×92, first 2 shown]
	v_dual_mov_b32 v50, 0 :: v_dual_and_b32 v193, 4, v44
	v_mov_b32_e32 v196, 0xfeffffff
	v_dual_mov_b32 v194, 0 :: v_dual_mov_b32 v195, 0
	s_mul_i32 s36, s18, s8
	s_mul_i32 s37, s18, s6
	s_lshl_b64 s[34:35], s[18:19], 1
.LBB14_11:                              ; =>This Inner Loop Header: Depth=1
	v_add_co_u32 v8, vcc_lo, v71, s38
	s_wait_alu 0xfffd
	v_add_co_ci_u32_e64 v9, null, 0, v72, vcc_lo
	v_add_co_u32 v10, vcc_lo, v63, s38
	s_wait_alu 0xfffd
	v_add_co_ci_u32_e64 v11, null, 0, v64, vcc_lo
	global_load_b32 v14, v[8:9], off offset:-60
	s_and_b32 vcc_lo, exec_lo, s15
	s_clause 0x1
	global_load_b32 v12, v[10:11], off offset:4
	global_load_b32 v34, v[10:11], off offset:12
	s_wait_loadcnt 0x2
	v_cvt_f32_f16_e32 v15, v14
	v_lshrrev_b32_e32 v14, 16, v14
	s_delay_alu instid0(VALU_DEP_1) | instskip(SKIP_3) | instid1(VALU_DEP_3)
	v_cvt_f32_f16_e32 v14, v14
	s_wait_loadcnt 0x1
	v_and_b32_e32 v13, 0xf0f0f0f, v12
	v_lshrrev_b32_e32 v12, 4, v12
	v_mul_f32_e32 v14, v1, v14
	s_delay_alu instid0(VALU_DEP_3) | instskip(NEXT) | instid1(VALU_DEP_3)
	v_dot4_i32_iu8 v13, v13, v16, 0 neg_lo:[1,1,0]
	v_dual_mul_f32 v15, v0, v15 :: v_dual_and_b32 v12, 0xf0f0f0f, v12
	s_delay_alu instid0(VALU_DEP_3) | instskip(NEXT) | instid1(VALU_DEP_3)
	v_mul_f32_e32 v14, 0x3e000000, v14
	v_cvt_f32_i32_e32 v13, v13
	s_delay_alu instid0(VALU_DEP_3) | instskip(NEXT) | instid1(VALU_DEP_2)
	v_dot4_i32_iu8 v12, v12, v18, 0 neg_lo:[1,1,0]
	v_fma_f32 v13, v15, v13, v14
	s_delay_alu instid0(VALU_DEP_2) | instskip(NEXT) | instid1(VALU_DEP_2)
	v_cvt_f32_i32_e32 v12, v12
	v_add_f32_e32 v13, 0, v13
	s_delay_alu instid0(VALU_DEP_2) | instskip(SKIP_2) | instid1(VALU_DEP_1)
	v_fma_f32 v12, v15, v12, v14
	s_wait_loadcnt 0x0
	v_and_b32_e32 v35, 0xf0f0f0f, v34
	v_dot4_i32_iu8 v35, v35, v17, 0 neg_lo:[1,1,0]
	s_delay_alu instid0(VALU_DEP_1) | instskip(NEXT) | instid1(VALU_DEP_1)
	v_cvt_f32_i32_e32 v35, v35
	v_fma_f32 v35, v15, v35, v14
	s_delay_alu instid0(VALU_DEP_1) | instskip(NEXT) | instid1(VALU_DEP_1)
	v_add_f32_e32 v13, v13, v35
	v_add_f32_e32 v12, v13, v12
	v_lshrrev_b32_e32 v13, 4, v34
	s_delay_alu instid0(VALU_DEP_1) | instskip(NEXT) | instid1(VALU_DEP_1)
	v_and_b32_e32 v13, 0xf0f0f0f, v13
	v_dot4_i32_iu8 v13, v13, v19, 0 neg_lo:[1,1,0]
	s_delay_alu instid0(VALU_DEP_1) | instskip(NEXT) | instid1(VALU_DEP_1)
	v_cvt_f32_i32_e32 v13, v13
	v_fmac_f32_e32 v14, v15, v13
	global_load_b32 v15, v[8:9], off offset:-40
	global_load_b32 v13, v[10:11], off offset:24
	s_wait_loadcnt 0x1
	v_cvt_f32_f16_e32 v34, v15
	v_lshrrev_b32_e32 v15, 16, v15
	s_delay_alu instid0(VALU_DEP_2) | instskip(NEXT) | instid1(VALU_DEP_2)
	v_mul_f32_e32 v34, v2, v34
	v_cvt_f32_f16_e32 v15, v15
	s_delay_alu instid0(VALU_DEP_1) | instskip(NEXT) | instid1(VALU_DEP_1)
	v_mul_f32_e32 v15, v3, v15
	v_dual_mul_f32 v15, 0x3e000000, v15 :: v_dual_add_f32 v12, v12, v14
	s_wait_loadcnt 0x0
	v_and_b32_e32 v14, 0xf0f0f0f, v13
	v_lshrrev_b32_e32 v13, 4, v13
	s_delay_alu instid0(VALU_DEP_2) | instskip(NEXT) | instid1(VALU_DEP_2)
	v_dot4_i32_iu8 v14, v14, v20, 0 neg_lo:[1,1,0]
	v_and_b32_e32 v13, 0xf0f0f0f, v13
	s_delay_alu instid0(VALU_DEP_2) | instskip(NEXT) | instid1(VALU_DEP_2)
	v_cvt_f32_i32_e32 v14, v14
	v_dot4_i32_iu8 v13, v13, v22, 0 neg_lo:[1,1,0]
	s_delay_alu instid0(VALU_DEP_2) | instskip(NEXT) | instid1(VALU_DEP_2)
	v_fma_f32 v14, v34, v14, v15
	v_cvt_f32_i32_e32 v13, v13
	s_delay_alu instid0(VALU_DEP_2) | instskip(SKIP_4) | instid1(VALU_DEP_1)
	v_add_f32_e32 v12, v12, v14
	global_load_b32 v14, v[10:11], off offset:32
	v_fma_f32 v13, v34, v13, v15
	s_wait_loadcnt 0x0
	v_and_b32_e32 v35, 0xf0f0f0f, v14
	v_dot4_i32_iu8 v35, v35, v21, 0 neg_lo:[1,1,0]
	s_delay_alu instid0(VALU_DEP_1) | instskip(NEXT) | instid1(VALU_DEP_1)
	v_cvt_f32_i32_e32 v35, v35
	v_fma_f32 v35, v34, v35, v15
	s_delay_alu instid0(VALU_DEP_1) | instskip(NEXT) | instid1(VALU_DEP_1)
	v_add_f32_e32 v12, v12, v35
	v_add_f32_e32 v12, v12, v13
	v_lshrrev_b32_e32 v13, 4, v14
	s_delay_alu instid0(VALU_DEP_1) | instskip(NEXT) | instid1(VALU_DEP_1)
	v_and_b32_e32 v13, 0xf0f0f0f, v13
	v_dot4_i32_iu8 v13, v13, v23, 0 neg_lo:[1,1,0]
	s_delay_alu instid0(VALU_DEP_1) | instskip(NEXT) | instid1(VALU_DEP_1)
	v_cvt_f32_i32_e32 v13, v13
	v_fmac_f32_e32 v15, v34, v13
	global_load_b32 v13, v[10:11], off offset:44
	v_add_f32_e32 v12, v12, v15
	s_clause 0x1
	global_load_b32 v15, v[8:9], off offset:-20
	global_load_b32 v8, v[8:9], off
	s_wait_loadcnt 0x2
	v_and_b32_e32 v14, 0xf0f0f0f, v13
	v_lshrrev_b32_e32 v13, 4, v13
	s_wait_loadcnt 0x1
	v_cvt_f32_f16_e32 v34, v15
	v_lshrrev_b32_e32 v15, 16, v15
	v_dot4_i32_iu8 v14, v14, v24, 0 neg_lo:[1,1,0]
	v_and_b32_e32 v13, 0xf0f0f0f, v13
	s_wait_loadcnt 0x0
	v_cvt_f32_f16_e32 v9, v8
	v_lshrrev_b32_e32 v8, 16, v8
	v_cvt_f32_f16_e32 v15, v15
	v_mul_f32_e32 v34, v4, v34
	v_cvt_f32_i32_e32 v14, v14
	v_dot4_i32_iu8 v13, v13, v26, 0 neg_lo:[1,1,0]
	v_cvt_f32_f16_e32 v8, v8
	v_mul_f32_e32 v15, v5, v15
	s_delay_alu instid0(VALU_DEP_3) | instskip(NEXT) | instid1(VALU_DEP_2)
	v_cvt_f32_i32_e32 v13, v13
	v_dual_mul_f32 v8, v7, v8 :: v_dual_mul_f32 v15, 0x3e000000, v15
	s_delay_alu instid0(VALU_DEP_1) | instskip(NEXT) | instid1(VALU_DEP_2)
	v_dual_mul_f32 v9, v6, v9 :: v_dual_mul_f32 v8, 0x3e000000, v8
	v_fma_f32 v14, v34, v14, v15
	s_delay_alu instid0(VALU_DEP_1) | instskip(SKIP_4) | instid1(VALU_DEP_1)
	v_add_f32_e32 v12, v12, v14
	global_load_b32 v14, v[10:11], off offset:52
	v_fma_f32 v13, v34, v13, v15
	s_wait_loadcnt 0x0
	v_and_b32_e32 v35, 0xf0f0f0f, v14
	v_dot4_i32_iu8 v35, v35, v25, 0 neg_lo:[1,1,0]
	s_delay_alu instid0(VALU_DEP_1) | instskip(NEXT) | instid1(VALU_DEP_1)
	v_cvt_f32_i32_e32 v35, v35
	v_fma_f32 v35, v34, v35, v15
	s_delay_alu instid0(VALU_DEP_1) | instskip(NEXT) | instid1(VALU_DEP_1)
	v_add_f32_e32 v12, v12, v35
	v_add_f32_e32 v12, v12, v13
	v_lshrrev_b32_e32 v13, 4, v14
	s_delay_alu instid0(VALU_DEP_1) | instskip(NEXT) | instid1(VALU_DEP_1)
	v_and_b32_e32 v13, 0xf0f0f0f, v13
	v_dot4_i32_iu8 v13, v13, v27, 0 neg_lo:[1,1,0]
	s_delay_alu instid0(VALU_DEP_1) | instskip(NEXT) | instid1(VALU_DEP_1)
	v_cvt_f32_i32_e32 v13, v13
	v_fmac_f32_e32 v15, v34, v13
	s_clause 0x1
	global_load_b32 v13, v[10:11], off offset:64
	global_load_b32 v10, v[10:11], off offset:72
	v_add_f32_e32 v12, v12, v15
	s_wait_loadcnt 0x1
	v_and_b32_e32 v14, 0xf0f0f0f, v13
	s_wait_loadcnt 0x0
	v_and_b32_e32 v11, 0xf0f0f0f, v10
	v_lshrrev_b32_e32 v10, 4, v10
	s_delay_alu instid0(VALU_DEP_3) | instskip(NEXT) | instid1(VALU_DEP_3)
	v_dot4_i32_iu8 v14, v14, v28, 0 neg_lo:[1,1,0]
	v_dot4_i32_iu8 v11, v11, v29, 0 neg_lo:[1,1,0]
	s_delay_alu instid0(VALU_DEP_3) | instskip(NEXT) | instid1(VALU_DEP_3)
	v_and_b32_e32 v10, 0xf0f0f0f, v10
	v_cvt_f32_i32_e32 v14, v14
	s_delay_alu instid0(VALU_DEP_3) | instskip(NEXT) | instid1(VALU_DEP_3)
	v_cvt_f32_i32_e32 v11, v11
	v_dot4_i32_iu8 v10, v10, v31, 0 neg_lo:[1,1,0]
	s_delay_alu instid0(VALU_DEP_3) | instskip(NEXT) | instid1(VALU_DEP_3)
	v_fma_f32 v14, v9, v14, v8
	v_fma_f32 v11, v9, v11, v8
	s_delay_alu instid0(VALU_DEP_3) | instskip(NEXT) | instid1(VALU_DEP_3)
	v_cvt_f32_i32_e32 v10, v10
	v_add_f32_e32 v12, v12, v14
	s_delay_alu instid0(VALU_DEP_1) | instskip(SKIP_1) | instid1(VALU_DEP_1)
	v_add_f32_e32 v11, v12, v11
	v_lshrrev_b32_e32 v12, 4, v13
	v_and_b32_e32 v12, 0xf0f0f0f, v12
	s_delay_alu instid0(VALU_DEP_1) | instskip(NEXT) | instid1(VALU_DEP_1)
	v_dot4_i32_iu8 v12, v12, v30, 0 neg_lo:[1,1,0]
	v_cvt_f32_i32_e32 v12, v12
	s_delay_alu instid0(VALU_DEP_1) | instskip(NEXT) | instid1(VALU_DEP_1)
	v_fma_f32 v12, v9, v12, v8
	v_dual_fmac_f32 v8, v9, v10 :: v_dual_add_f32 v11, v11, v12
	s_delay_alu instid0(VALU_DEP_1)
	v_add_f32_e32 v8, v11, v8
	ds_bpermute_b32 v9, v51, v8
	s_wait_dscnt 0x0
	v_add_f32_e32 v8, v8, v9
	s_wait_alu 0xfffe
	s_cbranch_vccz .LBB14_13
; %bb.12:                               ;   in Loop: Header=BB14_11 Depth=1
	global_load_u16 v9, v[32:33], off offset:-2
	s_wait_loadcnt 0x0
	v_fma_mix_f32 v8, v46, v9, v8 op_sel_hi:[0,1,0]
.LBB14_13:                              ;   in Loop: Header=BB14_11 Depth=1
	v_add_co_u32 v9, vcc_lo, v61, s38
	s_wait_alu 0xfffd
	v_add_co_ci_u32_e64 v10, null, 0, v62, vcc_lo
	v_add_co_u32 v11, vcc_lo, v57, s38
	s_wait_alu 0xfffd
	v_add_co_ci_u32_e64 v12, null, 0, v58, vcc_lo
	global_load_b32 v15, v[9:10], off
	s_and_not1_b32 vcc_lo, exec_lo, s15
	s_clause 0x1
	global_load_b32 v13, v[11:12], off offset:4
	global_load_b32 v35, v[11:12], off offset:12
	s_wait_loadcnt 0x2
	v_cvt_f32_f16_e32 v34, v15
	v_lshrrev_b32_e32 v15, 16, v15
	s_delay_alu instid0(VALU_DEP_1) | instskip(SKIP_3) | instid1(VALU_DEP_3)
	v_cvt_f32_f16_e32 v15, v15
	s_wait_loadcnt 0x1
	v_and_b32_e32 v14, 0xf0f0f0f, v13
	v_lshrrev_b32_e32 v13, 4, v13
	v_mul_f32_e32 v15, v1, v15
	s_delay_alu instid0(VALU_DEP_3) | instskip(NEXT) | instid1(VALU_DEP_3)
	v_dot4_i32_iu8 v14, v14, v16, 0 neg_lo:[1,1,0]
	v_dual_mul_f32 v34, v0, v34 :: v_dual_and_b32 v13, 0xf0f0f0f, v13
	s_delay_alu instid0(VALU_DEP_3) | instskip(NEXT) | instid1(VALU_DEP_3)
	v_mul_f32_e32 v15, 0x3e000000, v15
	v_cvt_f32_i32_e32 v14, v14
	s_delay_alu instid0(VALU_DEP_3) | instskip(NEXT) | instid1(VALU_DEP_2)
	v_dot4_i32_iu8 v13, v13, v18, 0 neg_lo:[1,1,0]
	v_fma_f32 v14, v34, v14, v15
	s_delay_alu instid0(VALU_DEP_2) | instskip(NEXT) | instid1(VALU_DEP_2)
	v_cvt_f32_i32_e32 v13, v13
	v_add_f32_e32 v14, 0, v14
	s_delay_alu instid0(VALU_DEP_2) | instskip(SKIP_2) | instid1(VALU_DEP_1)
	v_fma_f32 v13, v34, v13, v15
	s_wait_loadcnt 0x0
	v_and_b32_e32 v36, 0xf0f0f0f, v35
	v_dot4_i32_iu8 v36, v36, v17, 0 neg_lo:[1,1,0]
	s_delay_alu instid0(VALU_DEP_1) | instskip(NEXT) | instid1(VALU_DEP_1)
	v_cvt_f32_i32_e32 v36, v36
	v_fma_f32 v36, v34, v36, v15
	s_delay_alu instid0(VALU_DEP_1) | instskip(NEXT) | instid1(VALU_DEP_1)
	v_add_f32_e32 v14, v14, v36
	v_add_f32_e32 v13, v14, v13
	v_lshrrev_b32_e32 v14, 4, v35
	s_delay_alu instid0(VALU_DEP_1) | instskip(NEXT) | instid1(VALU_DEP_1)
	v_and_b32_e32 v14, 0xf0f0f0f, v14
	v_dot4_i32_iu8 v14, v14, v19, 0 neg_lo:[1,1,0]
	s_delay_alu instid0(VALU_DEP_1) | instskip(NEXT) | instid1(VALU_DEP_1)
	v_cvt_f32_i32_e32 v14, v14
	v_fmac_f32_e32 v15, v34, v14
	global_load_b32 v34, v[9:10], off offset:20
	global_load_b32 v14, v[11:12], off offset:24
	v_add_f32_e32 v13, v13, v15
	s_wait_loadcnt 0x1
	v_cvt_f32_f16_e32 v35, v34
	v_lshrrev_b32_e32 v34, 16, v34
	s_wait_loadcnt 0x0
	v_and_b32_e32 v15, 0xf0f0f0f, v14
	v_lshrrev_b32_e32 v14, 4, v14
	v_mul_f32_e32 v35, v2, v35
	v_cvt_f32_f16_e32 v34, v34
	s_delay_alu instid0(VALU_DEP_4) | instskip(NEXT) | instid1(VALU_DEP_4)
	v_dot4_i32_iu8 v15, v15, v20, 0 neg_lo:[1,1,0]
	v_and_b32_e32 v14, 0xf0f0f0f, v14
	s_delay_alu instid0(VALU_DEP_3) | instskip(NEXT) | instid1(VALU_DEP_3)
	v_mul_f32_e32 v34, v3, v34
	v_cvt_f32_i32_e32 v15, v15
	s_delay_alu instid0(VALU_DEP_3) | instskip(NEXT) | instid1(VALU_DEP_3)
	v_dot4_i32_iu8 v14, v14, v22, 0 neg_lo:[1,1,0]
	v_mul_f32_e32 v34, 0x3e000000, v34
	s_delay_alu instid0(VALU_DEP_2) | instskip(NEXT) | instid1(VALU_DEP_2)
	v_cvt_f32_i32_e32 v14, v14
	v_fma_f32 v15, v35, v15, v34
	s_delay_alu instid0(VALU_DEP_1) | instskip(SKIP_3) | instid1(VALU_DEP_1)
	v_add_f32_e32 v13, v13, v15
	global_load_b32 v15, v[11:12], off offset:32
	s_wait_loadcnt 0x0
	v_and_b32_e32 v36, 0xf0f0f0f, v15
	v_dot4_i32_iu8 v36, v36, v21, 0 neg_lo:[1,1,0]
	s_delay_alu instid0(VALU_DEP_1) | instskip(NEXT) | instid1(VALU_DEP_1)
	v_cvt_f32_i32_e32 v36, v36
	v_fma_f32 v36, v35, v36, v34
	s_delay_alu instid0(VALU_DEP_1) | instskip(SKIP_1) | instid1(VALU_DEP_1)
	v_add_f32_e32 v13, v13, v36
	v_fma_f32 v14, v35, v14, v34
	v_add_f32_e32 v13, v13, v14
	v_lshrrev_b32_e32 v14, 4, v15
	s_delay_alu instid0(VALU_DEP_1) | instskip(NEXT) | instid1(VALU_DEP_1)
	v_and_b32_e32 v14, 0xf0f0f0f, v14
	v_dot4_i32_iu8 v14, v14, v23, 0 neg_lo:[1,1,0]
	s_delay_alu instid0(VALU_DEP_1) | instskip(NEXT) | instid1(VALU_DEP_1)
	v_cvt_f32_i32_e32 v14, v14
	v_fmac_f32_e32 v34, v35, v14
	global_load_b32 v14, v[11:12], off offset:44
	v_add_f32_e32 v13, v13, v34
	s_clause 0x1
	global_load_b32 v34, v[9:10], off offset:40
	global_load_b32 v9, v[9:10], off offset:60
	s_wait_loadcnt 0x2
	v_and_b32_e32 v15, 0xf0f0f0f, v14
	v_lshrrev_b32_e32 v14, 4, v14
	s_wait_loadcnt 0x1
	v_cvt_f32_f16_e32 v35, v34
	v_lshrrev_b32_e32 v34, 16, v34
	s_wait_loadcnt 0x0
	v_cvt_f32_f16_e32 v10, v9
	v_lshrrev_b32_e32 v9, 16, v9
	v_dot4_i32_iu8 v15, v15, v24, 0 neg_lo:[1,1,0]
	v_and_b32_e32 v14, 0xf0f0f0f, v14
	v_cvt_f32_f16_e32 v34, v34
	v_mul_f32_e32 v35, v4, v35
	v_cvt_f32_f16_e32 v9, v9
	v_cvt_f32_i32_e32 v15, v15
	v_dot4_i32_iu8 v14, v14, v26, 0 neg_lo:[1,1,0]
	v_mul_f32_e32 v10, v6, v10
	s_delay_alu instid0(VALU_DEP_4) | instskip(NEXT) | instid1(VALU_DEP_3)
	v_dual_mul_f32 v34, v5, v34 :: v_dual_mul_f32 v9, v7, v9
	v_cvt_f32_i32_e32 v14, v14
	s_delay_alu instid0(VALU_DEP_2) | instskip(NEXT) | instid1(VALU_DEP_1)
	v_dual_mul_f32 v34, 0x3e000000, v34 :: v_dual_mul_f32 v9, 0x3e000000, v9
	v_fma_f32 v15, v35, v15, v34
	s_delay_alu instid0(VALU_DEP_3) | instskip(NEXT) | instid1(VALU_DEP_2)
	v_fma_f32 v14, v35, v14, v34
	v_add_f32_e32 v13, v13, v15
	global_load_b32 v15, v[11:12], off offset:52
	s_wait_loadcnt 0x0
	v_and_b32_e32 v36, 0xf0f0f0f, v15
	s_delay_alu instid0(VALU_DEP_1) | instskip(NEXT) | instid1(VALU_DEP_1)
	v_dot4_i32_iu8 v36, v36, v25, 0 neg_lo:[1,1,0]
	v_cvt_f32_i32_e32 v36, v36
	s_delay_alu instid0(VALU_DEP_1) | instskip(NEXT) | instid1(VALU_DEP_1)
	v_fma_f32 v36, v35, v36, v34
	v_add_f32_e32 v13, v13, v36
	s_delay_alu instid0(VALU_DEP_1) | instskip(SKIP_1) | instid1(VALU_DEP_1)
	v_add_f32_e32 v13, v13, v14
	v_lshrrev_b32_e32 v14, 4, v15
	v_and_b32_e32 v14, 0xf0f0f0f, v14
	s_delay_alu instid0(VALU_DEP_1) | instskip(NEXT) | instid1(VALU_DEP_1)
	v_dot4_i32_iu8 v14, v14, v27, 0 neg_lo:[1,1,0]
	v_cvt_f32_i32_e32 v14, v14
	s_delay_alu instid0(VALU_DEP_1)
	v_fmac_f32_e32 v34, v35, v14
	s_clause 0x1
	global_load_b32 v14, v[11:12], off offset:64
	global_load_b32 v11, v[11:12], off offset:72
	v_add_f32_e32 v13, v13, v34
	s_wait_loadcnt 0x1
	v_and_b32_e32 v15, 0xf0f0f0f, v14
	s_wait_loadcnt 0x0
	v_and_b32_e32 v12, 0xf0f0f0f, v11
	v_lshrrev_b32_e32 v11, 4, v11
	s_delay_alu instid0(VALU_DEP_3) | instskip(NEXT) | instid1(VALU_DEP_3)
	v_dot4_i32_iu8 v15, v15, v28, 0 neg_lo:[1,1,0]
	v_dot4_i32_iu8 v12, v12, v29, 0 neg_lo:[1,1,0]
	s_delay_alu instid0(VALU_DEP_3) | instskip(NEXT) | instid1(VALU_DEP_3)
	v_and_b32_e32 v11, 0xf0f0f0f, v11
	v_cvt_f32_i32_e32 v15, v15
	s_delay_alu instid0(VALU_DEP_3) | instskip(NEXT) | instid1(VALU_DEP_3)
	v_cvt_f32_i32_e32 v12, v12
	v_dot4_i32_iu8 v11, v11, v31, 0 neg_lo:[1,1,0]
	s_delay_alu instid0(VALU_DEP_3) | instskip(NEXT) | instid1(VALU_DEP_3)
	v_fma_f32 v15, v10, v15, v9
	v_fma_f32 v12, v10, v12, v9
	s_delay_alu instid0(VALU_DEP_3) | instskip(NEXT) | instid1(VALU_DEP_3)
	v_cvt_f32_i32_e32 v11, v11
	v_add_f32_e32 v13, v13, v15
	s_delay_alu instid0(VALU_DEP_1) | instskip(SKIP_1) | instid1(VALU_DEP_1)
	v_add_f32_e32 v12, v13, v12
	v_lshrrev_b32_e32 v13, 4, v14
	v_and_b32_e32 v13, 0xf0f0f0f, v13
	s_delay_alu instid0(VALU_DEP_1) | instskip(NEXT) | instid1(VALU_DEP_1)
	v_dot4_i32_iu8 v13, v13, v30, 0 neg_lo:[1,1,0]
	v_cvt_f32_i32_e32 v13, v13
	s_delay_alu instid0(VALU_DEP_1) | instskip(NEXT) | instid1(VALU_DEP_1)
	v_fma_f32 v13, v10, v13, v9
	v_dual_fmac_f32 v9, v10, v11 :: v_dual_add_f32 v12, v12, v13
	s_delay_alu instid0(VALU_DEP_1)
	v_add_f32_e32 v9, v12, v9
	ds_bpermute_b32 v10, v51, v9
	s_wait_dscnt 0x0
	v_add_f32_e32 v9, v9, v10
	s_wait_alu 0xfffe
	s_cbranch_vccnz .LBB14_15
; %bb.14:                               ;   in Loop: Header=BB14_11 Depth=1
	global_load_u16 v10, v[32:33], off
	s_wait_loadcnt 0x0
	v_fma_mix_f32 v9, v46, v10, v9 op_sel_hi:[0,1,0]
.LBB14_15:                              ;   in Loop: Header=BB14_11 Depth=1
	v_add_co_u32 v10, vcc_lo, v65, s27
	s_wait_alu 0xfffd
	v_add_co_ci_u32_e64 v11, null, 0, v66, vcc_lo
	s_delay_alu instid0(VALU_DEP_3)
	v_cndmask_b32_e64 v210, v9, v8, s3
	v_add_co_u32 v41, s12, v191, s27
	global_load_b32 v205, v[10:11], off
	v_add_co_u32 v10, vcc_lo, v59, s27
	s_wait_alu 0xfffd
	v_add_co_ci_u32_e64 v11, null, 0, v60, vcc_lo
	s_wait_alu 0xf1ff
	v_add_co_ci_u32_e64 v42, null, 0, v192, s12
	v_add_co_u32 v40, s11, v185, s27
	global_load_u16 v201, v[10:11], off
	v_add_co_u32 v10, vcc_lo, v69, s27
	s_wait_alu 0xfffd
	v_add_co_ci_u32_e64 v11, null, 0, v70, vcc_lo
	global_load_u16 v213, v[41:42], off
	s_wait_alu 0xf1ff
	v_add_co_ci_u32_e64 v41, null, 0, v186, s11
	global_load_b32 v204, v[10:11], off
	v_add_co_u32 v10, vcc_lo, v189, s27
	s_wait_alu 0xfffd
	v_add_co_ci_u32_e64 v11, null, 0, v190, vcc_lo
	global_load_b32 v214, v[40:41], off
	v_add_co_u32 v197, s13, v67, s27
	global_load_b32 v203, v[10:11], off
	v_dual_add_f32 v10, 0x40051340, v8 :: v_dual_add_f32 v11, 0x40051340, v9
	s_wait_alu 0xf1ff
	v_add_co_ci_u32_e64 v198, null, 0, v68, s13
	v_add_co_u32 v34, s9, v187, s27
	s_delay_alu instid0(VALU_DEP_3)
	v_max3_num_f32 v10, v196, v10, v11
	v_add_co_u32 v14, s7, v183, s27
	v_add_co_u32 v38, s10, v181, s27
	ds_bpermute_b32 v11, v52, v10
	v_add_co_u32 v36, s8, v177, s27
	s_wait_alu 0xf1ff
	v_add_co_ci_u32_e64 v35, null, 0, v188, s9
	v_add_co_ci_u32_e64 v15, null, 0, v184, s7
	;; [unrolled: 1-line block ×4, first 2 shown]
	global_load_u16 v212, v[197:198], off
	v_add_co_u32 v13, s6, v179, s27
	global_load_u16 v207, v[34:35], off
	global_load_b32 v215, v[38:39], off
	global_load_u16 v206, v[14:15], off
	global_load_b32 v209, v[36:37], off
	s_wait_alu 0xf1ff
	v_add_co_ci_u32_e64 v14, null, 0, v180, s6
	v_add_co_u32 v9, s4, v175, s27
	s_wait_dscnt 0x0
	v_max_num_f32_e32 v8, v11, v11
	global_load_u16 v208, v[13:14], off
	v_add_co_u32 v11, s5, v173, s27
	v_add_co_u32 v216, s13, v169, s27
	v_max_num_f32_e32 v10, v10, v8
	v_add_co_u32 v8, vcc_lo, v171, s27
	v_add_co_u32 v218, s12, v167, s27
	ds_bpermute_b32 v12, v53, v10
	v_add_co_u32 v220, s14, v165, s27
	v_add_co_u32 v35, s8, v161, s27
	s_wait_alu 0xf1ff
	v_add_co_ci_u32_e64 v217, null, 0, v170, s13
	v_add_co_ci_u32_e64 v219, null, 0, v168, s12
	;; [unrolled: 1-line block ×4, first 2 shown]
	v_add_co_u32 v34, s7, v163, s27
	global_load_b32 v202, v[216:217], off
	s_add_co_i32 s33, s33, s18
	s_delay_alu instid0(SALU_CYCLE_1) | instskip(SKIP_2) | instid1(VALU_DEP_1)
	s_cmp_ge_i32 s33, s30
	s_wait_dscnt 0x0
	v_max_num_f32_e32 v12, v12, v12
	v_max_num_f32_e32 v42, v10, v12
	v_add_co_ci_u32_e64 v10, null, 0, v176, s4
	v_add_co_ci_u32_e64 v12, null, 0, v174, s5
	ds_bpermute_b32 v40, v54, v42
	global_load_u16 v200, v[9:10], off
	s_wait_alu 0xfffd
	v_add_co_ci_u32_e64 v9, null, 0, v172, vcc_lo
	global_load_b32 v211, v[11:12], off
	global_load_u16 v198, v[8:9], off
	global_load_b32 v199, v[220:221], off
	v_add_co_u32 v11, s4, v159, s27
	s_wait_alu 0xf1ff
	v_add_co_ci_u32_e64 v12, null, 0, v160, s4
	v_add_co_u32 v10, s6, v153, s27
	v_add_co_u32 v8, vcc_lo, v155, s27
	s_wait_dscnt 0x0
	v_max_num_f32_e32 v13, v40, v40
	global_load_u16 v40, v[218:219], off
	global_load_b32 v197, v[35:36], off
	v_add_co_ci_u32_e64 v35, null, 0, v164, s7
	v_max_num_f32_e32 v15, v42, v13
	v_add_co_u32 v13, s5, v157, s27
	global_load_u16 v38, v[34:35], off
	s_wait_alu 0xf1ff
	v_add_co_ci_u32_e64 v14, null, 0, v158, s5
	ds_bpermute_b32 v37, v55, v15
	v_add_co_u32 v35, s5, v149, s27
	s_wait_alu 0xf1ff
	v_add_co_ci_u32_e64 v36, null, 0, v150, s5
	global_load_b32 v42, v[13:14], off
	v_add_co_u32 v13, s4, v151, s27
	s_wait_alu 0xf1ff
	v_add_co_ci_u32_e64 v14, null, 0, v152, s4
	s_wait_dscnt 0x0
	v_max_num_f32_e32 v9, v37, v37
	global_load_u16 v37, v[11:12], off
	v_add_co_ci_u32_e64 v11, null, 0, v154, s6
	v_max_num_f32_e32 v34, v15, v9
	s_wait_alu 0xfffd
	v_add_co_ci_u32_e64 v9, null, 0, v156, vcc_lo
	global_load_b32 v41, v[10:11], off
	global_load_u16 v8, v[8:9], off
	global_load_b32 v9, v[35:36], off
	v_sub_f32_e32 v12, v196, v34
	global_load_u16 v15, v[13:14], off
	v_mul_f32_e32 v10, 0x3fb8aa3b, v12
	s_delay_alu instid0(VALU_DEP_1) | instskip(NEXT) | instid1(VALU_DEP_1)
	v_fma_f32 v35, 0x3fb8aa3b, v12, -v10
	v_fmac_f32_e32 v35, 0x32a5705f, v12
	v_sub_f32_e32 v11, v210, v34
	v_rndne_f32_e32 v36, v10
	s_delay_alu instid0(VALU_DEP_2) | instskip(SKIP_1) | instid1(VALU_DEP_2)
	v_mul_f32_e32 v13, 0x3fb8aa3b, v11
	v_cmp_ngt_f32_e64 s5, 0xc2ce8ed0, v11
	v_rndne_f32_e32 v14, v13
	s_delay_alu instid0(VALU_DEP_4) | instskip(SKIP_1) | instid1(VALU_DEP_2)
	v_sub_f32_e32 v10, v10, v36
	v_cvt_i32_f32_e32 v36, v36
	v_add_f32_e32 v10, v10, v35
	s_delay_alu instid0(VALU_DEP_1) | instskip(NEXT) | instid1(TRANS32_DEP_1)
	v_exp_f32_e32 v10, v10
	v_ldexp_f32 v10, v10, v36
	s_wait_loadcnt 0x19
	v_ashrrev_i32_e32 v35, v193, v205
	s_delay_alu instid0(VALU_DEP_1) | instskip(SKIP_3) | instid1(VALU_DEP_4)
	v_and_b32_e32 v35, 0xf0f0f0f, v35
	v_cmp_ngt_f32_e32 vcc_lo, 0xc2ce8ed0, v12
	v_cmp_nlt_f32_e64 s4, 0x42b17218, v12
	v_fma_f32 v12, 0x3fb8aa3b, v11, -v13
	v_dual_sub_f32 v13, v13, v14 :: v_dual_and_b32 v36, 0xf00, v35
	v_cvt_i32_f32_e32 v14, v14
	s_wait_alu 0xfffd
	v_cndmask_b32_e32 v10, 0, v10, vcc_lo
	v_fmac_f32_e32 v12, 0x32a5705f, v11
	v_cmp_nlt_f32_e32 vcc_lo, 0x42b17218, v11
	s_delay_alu instid0(VALU_DEP_2) | instskip(SKIP_2) | instid1(VALU_DEP_2)
	v_add_f32_e32 v12, v13, v12
	v_lshlrev_b16 v13, 8, v35
	v_lshrrev_b32_e32 v35, 16, v35
	v_add_nc_u16 v13, 0xf800, v13
	s_delay_alu instid0(VALU_DEP_1) | instskip(NEXT) | instid1(VALU_DEP_1)
	v_lshrrev_b16 v13, 8, v13
	v_or_b32_e32 v13, v36, v13
	s_delay_alu instid0(VALU_DEP_4) | instskip(SKIP_2) | instid1(VALU_DEP_3)
	v_lshlrev_b16 v36, 8, v35
	v_and_b32_e32 v35, 0xf00, v35
	v_exp_f32_e32 v12, v12
	v_add_nc_u16 v13, 0xf800, v13
	s_delay_alu instid0(VALU_DEP_3) | instskip(NEXT) | instid1(VALU_DEP_1)
	v_add_nc_u16 v36, 0xf800, v36
	v_lshrrev_b16 v36, 8, v36
	s_delay_alu instid0(TRANS32_DEP_1) | instskip(NEXT) | instid1(VALU_DEP_4)
	v_ldexp_f32 v11, v12, v14
	v_lshrrev_b32_e32 v12, 8, v13
	s_delay_alu instid0(VALU_DEP_3)
	v_or_b32_e32 v35, v35, v36
	s_wait_loadcnt 0x11
	v_ashrrev_i32_e32 v210, v193, v215
	s_wait_alu 0xf1ff
	v_cndmask_b32_e64 v11, 0, v11, s5
	v_bfe_i32 v12, v12, 0, 8
	v_add_nc_u16 v14, 0xf800, v35
	v_cndmask_b32_e64 v35, 0x7f800000, v10, s4
	v_bfe_i32 v10, v13, 0, 8
	s_delay_alu instid0(VALU_DEP_4)
	v_cvt_f16_i16_e32 v12, v12
	s_wait_alu 0xfffd
	v_cndmask_b32_e32 v36, 0x7f800000, v11, vcc_lo
	v_lshrrev_b32_e32 v13, 8, v14
	v_cvt_f16_f32_e32 v39, v35
	v_cvt_f16_i16_e32 v10, v10
	v_bfe_i32 v14, v14, 0, 8
	v_fma_f32 v50, v50, v35, v36
	v_bfe_i32 v13, v13, 0, 8
	v_and_b32_e32 v11, 0xffff, v39
	v_pack_b32_f16 v10, v10, v12
	v_cvt_f16_i16_e32 v14, v14
	v_mul_u32_u24_e32 v39, 0x10001, v201
	v_cvt_f16_i16_e32 v12, v13
	v_cvt_f16_f32_e32 v13, v36
	v_mul_u32_u24_e32 v11, 0x10001, v11
	v_ashrrev_i32_e32 v201, v193, v204
	v_pk_mul_f16 v10, v10, v39
	v_pack_b32_f16 v12, v14, v12
	ds_store_b16 v48, v13
	v_pk_mul_f16 v195, v195, v11
	v_pk_mul_f16 v194, v194, v11
	v_and_b32_e32 v201, 0xf0f0f0f, v201
	v_pk_mul_f16 v39, v12, v39
	ds_load_b128 v[11:14], v56
	s_wait_loadcnt 0xd
	v_ashrrev_i32_e32 v202, v193, v202
	s_wait_dscnt 0x0
	v_and_b32_e32 v196, 0xffff, v11
	v_lshrrev_b32_e32 v11, 16, v11
	s_wait_loadcnt 0xa
	v_mul_u32_u24_e32 v198, 0x10001, v198
	s_wait_loadcnt 0x9
	v_ashrrev_i32_e32 v199, v193, v199
	v_mul_u32_u24_e32 v196, 0x10001, v196
	v_mul_u32_u24_e32 v11, 0x10001, v11
	s_delay_alu instid0(VALU_DEP_2)
	v_pk_fma_f16 v10, v10, v196, v195
	v_pk_fma_f16 v196, v39, v196, v194
	v_add_co_u32 v194, vcc_lo, v145, s27
	s_wait_alu 0xfffd
	v_add_co_ci_u32_e64 v195, null, 0, v146, vcc_lo
	s_wait_loadcnt 0x8
	v_mul_u32_u24_e32 v40, 0x10001, v40
	global_load_b32 v39, v[194:195], off
	v_lshlrev_b16 v194, 8, v201
	v_and_b32_e32 v195, 0xf00, v201
	v_lshrrev_b32_e32 v201, 16, v201
	s_delay_alu instid0(VALU_DEP_3) | instskip(SKIP_2) | instid1(VALU_DEP_2)
	v_add_nc_u16 v194, 0xf800, v194
	s_wait_loadcnt 0x7
	v_mul_u32_u24_e32 v38, 0x10001, v38
	v_lshrrev_b16 v194, 8, v194
	s_wait_loadcnt 0x6
	v_ashrrev_i32_e32 v42, v193, v42
	s_delay_alu instid0(VALU_DEP_2) | instskip(SKIP_1) | instid1(VALU_DEP_3)
	v_or_b32_e32 v194, v195, v194
	v_ashrrev_i32_e32 v195, v193, v203
	v_and_b32_e32 v42, 0xf0f0f0f, v42
	s_delay_alu instid0(VALU_DEP_3) | instskip(NEXT) | instid1(VALU_DEP_3)
	v_add_nc_u16 v194, 0xf800, v194
	v_and_b32_e32 v195, 0xf0f0f0f, v195
	s_delay_alu instid0(VALU_DEP_1) | instskip(SKIP_2) | instid1(VALU_DEP_3)
	v_lshlrev_b16 v203, 8, v195
	v_and_b32_e32 v204, 0xf00, v195
	v_lshrrev_b32_e32 v195, 16, v195
	v_add_nc_u16 v203, 0xf800, v203
	s_delay_alu instid0(VALU_DEP_1)
	v_lshrrev_b16 v203, 8, v203
	s_wait_loadcnt 0x4
	v_ashrrev_i32_e32 v41, v193, v41
	s_wait_loadcnt 0x2
	v_ashrrev_i32_e32 v9, v193, v9
	v_or_b32_e32 v203, v204, v203
	v_lshlrev_b16 v204, 8, v201
	v_and_b32_e32 v201, 0xf00, v201
	v_and_b32_e32 v41, 0xf0f0f0f, v41
	s_wait_loadcnt 0x1
	v_mul_u32_u24_e32 v15, 0x10001, v15
	v_add_nc_u16 v203, 0xf800, v203
	v_add_nc_u16 v204, 0xf800, v204
	s_delay_alu instid0(VALU_DEP_1) | instskip(NEXT) | instid1(VALU_DEP_1)
	v_lshrrev_b16 v204, 8, v204
	v_or_b32_e32 v201, v201, v204
	v_lshlrev_b16 v204, 8, v195
	v_and_b32_e32 v195, 0xf00, v195
	s_delay_alu instid0(VALU_DEP_3) | instskip(NEXT) | instid1(VALU_DEP_3)
	v_add_nc_u16 v201, 0xf800, v201
	v_add_nc_u16 v204, 0xf800, v204
	s_delay_alu instid0(VALU_DEP_1) | instskip(NEXT) | instid1(VALU_DEP_1)
	v_lshrrev_b16 v204, 8, v204
	v_or_b32_e32 v195, v195, v204
	v_lshrrev_b32_e32 v204, 8, v194
	v_bfe_i32 v194, v194, 0, 8
	s_delay_alu instid0(VALU_DEP_3) | instskip(NEXT) | instid1(VALU_DEP_3)
	v_add_nc_u16 v195, 0xf800, v195
	v_bfe_i32 v204, v204, 0, 8
	s_delay_alu instid0(VALU_DEP_3) | instskip(NEXT) | instid1(VALU_DEP_2)
	v_cvt_f16_i16_e64 v194, v194
	v_cvt_f16_i16_e64 v204, v204
	s_delay_alu instid0(VALU_DEP_1) | instskip(SKIP_2) | instid1(VALU_DEP_2)
	v_pack_b32_f16 v194, v194, v204
	v_lshrrev_b32_e32 v204, 8, v203
	v_bfe_i32 v203, v203, 0, 8
	v_bfe_i32 v204, v204, 0, 8
	s_delay_alu instid0(VALU_DEP_2) | instskip(NEXT) | instid1(VALU_DEP_2)
	v_cvt_f16_i16_e64 v203, v203
	v_cvt_f16_i16_e64 v204, v204
	s_delay_alu instid0(VALU_DEP_1) | instskip(SKIP_2) | instid1(VALU_DEP_2)
	v_pack_b32_f16 v203, v203, v204
	v_lshrrev_b32_e32 v204, 8, v201
	v_bfe_i32 v201, v201, 0, 8
	v_bfe_i32 v204, v204, 0, 8
	s_delay_alu instid0(VALU_DEP_2) | instskip(NEXT) | instid1(VALU_DEP_2)
	;; [unrolled: 8-line block ×3, first 2 shown]
	v_cvt_f16_i16_e64 v195, v195
	v_cvt_f16_i16_e64 v204, v204
	s_delay_alu instid0(VALU_DEP_1) | instskip(SKIP_1) | instid1(VALU_DEP_1)
	v_pack_b32_f16 v195, v195, v204
	v_mul_u32_u24_e32 v204, 0x10001, v212
	v_pk_mul_f16 v194, v194, v204
	v_pk_mul_f16 v201, v201, v204
	v_mul_u32_u24_e32 v204, 0x10001, v213
	s_delay_alu instid0(VALU_DEP_3) | instskip(SKIP_1) | instid1(VALU_DEP_3)
	v_pk_fma_f16 v194, v194, v11, v10
	v_and_b32_e32 v10, 0xffff, v12
	v_pk_mul_f16 v203, v203, v204
	v_pk_mul_f16 v195, v195, v204
	v_ashrrev_i32_e32 v204, v193, v214
	v_pk_fma_f16 v196, v201, v11, v196
	v_mul_u32_u24_e32 v205, 0x10001, v10
	v_add_co_u32 v10, vcc_lo, v141, s27
	s_delay_alu instid0(VALU_DEP_4)
	v_and_b32_e32 v204, 0xf0f0f0f, v204
	s_wait_alu 0xfffd
	v_add_co_ci_u32_e64 v11, null, 0, v142, vcc_lo
	v_pk_fma_f16 v201, v203, v205, v194
	v_ashrrev_i32_e32 v203, v193, v209
	v_lshlrev_b16 v194, 8, v204
	v_and_b32_e32 v209, 0xf0f0f0f, v210
	v_pk_fma_f16 v195, v195, v205, v196
	v_and_b32_e32 v205, 0xf00, v204
	v_and_b32_e32 v203, 0xf0f0f0f, v203
	v_add_nc_u16 v194, 0xf800, v194
	v_lshlrev_b16 v196, 8, v209
	v_lshrrev_b32_e32 v204, 16, v204
	v_lshrrev_b32_e32 v12, 16, v12
	s_delay_alu instid0(VALU_DEP_4) | instskip(NEXT) | instid1(VALU_DEP_4)
	v_lshrrev_b16 v210, 8, v194
	v_add_nc_u16 v196, 0xf800, v196
	global_load_b32 v194, v[10:11], off
	v_lshlrev_b16 v10, 8, v203
	v_mul_u32_u24_e32 v12, 0x10001, v12
	v_or_b32_e32 v11, v205, v210
	v_and_b32_e32 v205, 0xf00, v209
	v_lshrrev_b16 v196, 8, v196
	v_add_nc_u16 v10, 0xf800, v10
	v_ashrrev_i32_e32 v210, v193, v211
	v_lshrrev_b32_e32 v209, 16, v209
	v_add_nc_u16 v11, 0xf800, v11
	v_or_b32_e32 v196, v205, v196
	v_and_b32_e32 v205, 0xf00, v203
	v_lshrrev_b16 v10, 8, v10
	v_and_b32_e32 v210, 0xf0f0f0f, v210
	v_lshrrev_b32_e32 v203, 16, v203
	v_add_nc_u16 v196, 0xf800, v196
	s_delay_alu instid0(VALU_DEP_4) | instskip(NEXT) | instid1(VALU_DEP_4)
	v_or_b32_e32 v10, v205, v10
	v_lshlrev_b16 v205, 8, v210
	v_and_b32_e32 v211, 0xf00, v210
	v_lshrrev_b32_e32 v210, 16, v210
	s_delay_alu instid0(VALU_DEP_4) | instskip(NEXT) | instid1(VALU_DEP_4)
	v_add_nc_u16 v10, 0xf800, v10
	v_add_nc_u16 v205, 0xf800, v205
	s_delay_alu instid0(VALU_DEP_1) | instskip(NEXT) | instid1(VALU_DEP_1)
	v_lshrrev_b16 v205, 8, v205
	v_or_b32_e32 v205, v211, v205
	v_lshlrev_b16 v211, 8, v204
	v_and_b32_e32 v204, 0xf00, v204
	s_delay_alu instid0(VALU_DEP_3) | instskip(NEXT) | instid1(VALU_DEP_3)
	v_add_nc_u16 v205, 0xf800, v205
	v_add_nc_u16 v211, 0xf800, v211
	s_delay_alu instid0(VALU_DEP_1) | instskip(NEXT) | instid1(VALU_DEP_1)
	v_lshrrev_b16 v211, 8, v211
	v_or_b32_e32 v204, v204, v211
	v_lshlrev_b16 v211, 8, v209
	v_and_b32_e32 v209, 0xf00, v209
	s_delay_alu instid0(VALU_DEP_3) | instskip(NEXT) | instid1(VALU_DEP_3)
	v_add_nc_u16 v204, 0xf800, v204
	v_add_nc_u16 v211, 0xf800, v211
	s_delay_alu instid0(VALU_DEP_1) | instskip(NEXT) | instid1(VALU_DEP_1)
	v_lshrrev_b16 v211, 8, v211
	v_or_b32_e32 v209, v209, v211
	v_lshlrev_b16 v211, 8, v203
	v_and_b32_e32 v203, 0xf00, v203
	s_delay_alu instid0(VALU_DEP_3) | instskip(NEXT) | instid1(VALU_DEP_3)
	v_add_nc_u16 v209, 0xf800, v209
	v_add_nc_u16 v211, 0xf800, v211
	s_delay_alu instid0(VALU_DEP_1) | instskip(NEXT) | instid1(VALU_DEP_1)
	v_lshrrev_b16 v211, 8, v211
	v_or_b32_e32 v203, v203, v211
	v_lshlrev_b16 v211, 8, v210
	v_and_b32_e32 v210, 0xf00, v210
	s_delay_alu instid0(VALU_DEP_3) | instskip(NEXT) | instid1(VALU_DEP_3)
	v_add_nc_u16 v203, 0xf800, v203
	v_add_nc_u16 v211, 0xf800, v211
	s_delay_alu instid0(VALU_DEP_1) | instskip(NEXT) | instid1(VALU_DEP_1)
	v_lshrrev_b16 v211, 8, v211
	v_or_b32_e32 v210, v210, v211
	v_lshrrev_b32_e32 v211, 8, v11
	v_bfe_i32 v11, v11, 0, 8
	s_delay_alu instid0(VALU_DEP_2) | instskip(NEXT) | instid1(VALU_DEP_2)
	v_bfe_i32 v211, v211, 0, 8
	v_cvt_f16_i16_e32 v11, v11
	s_delay_alu instid0(VALU_DEP_2) | instskip(NEXT) | instid1(VALU_DEP_1)
	v_cvt_f16_i16_e64 v211, v211
	v_pack_b32_f16 v11, v11, v211
	v_lshrrev_b32_e32 v211, 8, v196
	v_bfe_i32 v196, v196, 0, 8
	s_delay_alu instid0(VALU_DEP_2) | instskip(NEXT) | instid1(VALU_DEP_2)
	v_bfe_i32 v211, v211, 0, 8
	v_cvt_f16_i16_e64 v196, v196
	s_delay_alu instid0(VALU_DEP_2) | instskip(NEXT) | instid1(VALU_DEP_1)
	v_cvt_f16_i16_e64 v211, v211
	v_pack_b32_f16 v196, v196, v211
	v_lshrrev_b32_e32 v211, 8, v10
	v_bfe_i32 v10, v10, 0, 8
	s_delay_alu instid0(VALU_DEP_2) | instskip(NEXT) | instid1(VALU_DEP_2)
	v_bfe_i32 v211, v211, 0, 8
	v_cvt_f16_i16_e32 v10, v10
	s_delay_alu instid0(VALU_DEP_2) | instskip(NEXT) | instid1(VALU_DEP_1)
	v_cvt_f16_i16_e64 v211, v211
	v_pack_b32_f16 v10, v10, v211
	v_lshrrev_b32_e32 v211, 8, v204
	v_bfe_i32 v204, v204, 0, 8
	s_wait_loadcnt 0x1
	v_ashrrev_i32_e32 v39, v193, v39
	s_delay_alu instid0(VALU_DEP_3) | instskip(NEXT) | instid1(VALU_DEP_3)
	v_bfe_i32 v211, v211, 0, 8
	v_cvt_f16_i16_e64 v204, v204
	s_delay_alu instid0(VALU_DEP_3) | instskip(NEXT) | instid1(VALU_DEP_3)
	v_and_b32_e32 v39, 0xf0f0f0f, v39
	v_cvt_f16_i16_e64 v211, v211
	s_delay_alu instid0(VALU_DEP_1) | instskip(SKIP_2) | instid1(VALU_DEP_2)
	v_pack_b32_f16 v204, v204, v211
	v_lshrrev_b32_e32 v211, 8, v209
	v_bfe_i32 v209, v209, 0, 8
	v_bfe_i32 v211, v211, 0, 8
	s_delay_alu instid0(VALU_DEP_2) | instskip(NEXT) | instid1(VALU_DEP_2)
	v_cvt_f16_i16_e64 v209, v209
	v_cvt_f16_i16_e64 v211, v211
	s_delay_alu instid0(VALU_DEP_1) | instskip(SKIP_2) | instid1(VALU_DEP_2)
	v_pack_b32_f16 v209, v209, v211
	v_lshrrev_b32_e32 v211, 8, v203
	v_bfe_i32 v203, v203, 0, 8
	v_bfe_i32 v211, v211, 0, 8
	s_delay_alu instid0(VALU_DEP_2) | instskip(NEXT) | instid1(VALU_DEP_2)
	v_cvt_f16_i16_e64 v203, v203
	v_cvt_f16_i16_e64 v211, v211
	s_delay_alu instid0(VALU_DEP_1) | instskip(SKIP_1) | instid1(VALU_DEP_1)
	v_pack_b32_f16 v211, v203, v211
	v_mul_u32_u24_e32 v203, 0x10001, v207
	v_pk_mul_f16 v11, v11, v203
	v_pk_mul_f16 v203, v204, v203
	v_mul_u32_u24_e32 v204, 0x10001, v206
	v_mul_u32_u24_e32 v206, 0x10001, v208
	v_lshrrev_b32_e32 v208, 16, v14
	v_pk_fma_f16 v11, v11, v12, v201
	v_and_b32_e32 v201, 0xffff, v13
	v_lshrrev_b32_e32 v13, 16, v13
	v_pk_fma_f16 v12, v203, v12, v195
	v_pk_mul_f16 v195, v196, v204
	v_pk_mul_f16 v196, v209, v204
	v_mul_u32_u24_e32 v201, 0x10001, v201
	v_mul_u32_u24_e32 v207, 0x10001, v13
	v_lshrrev_b32_e32 v13, 8, v205
	v_add_co_u32 v203, vcc_lo, v147, s27
	s_wait_alu 0xfffd
	v_add_co_ci_u32_e64 v204, null, 0, v148, vcc_lo
	v_pk_fma_f16 v11, v195, v201, v11
	v_pk_mul_f16 v10, v10, v206
	v_pk_mul_f16 v195, v211, v206
	v_pk_fma_f16 v201, v196, v201, v12
	v_bfe_i32 v205, v205, 0, 8
	v_bfe_i32 v206, v13, 0, 8
	v_pk_fma_f16 v196, v10, v207, v11
	v_and_b32_e32 v14, 0xffff, v14
	v_pk_fma_f16 v207, v195, v207, v201
	v_cvt_f16_i16_e64 v201, v205
	v_cvt_f16_i16_e64 v205, v206
	global_load_u16 v195, v[203:204], off
	v_mul_u32_u24_e32 v204, 0x10001, v200
	v_add_co_u32 v200, vcc_lo, v137, s27
	v_pack_b32_f16 v205, v201, v205
	s_wait_alu 0xfffd
	v_add_co_ci_u32_e64 v201, null, 0, v138, vcc_lo
	v_add_nc_u16 v203, 0xf800, v210
	v_and_b32_e32 v210, 0xf0f0f0f, v202
	v_add_co_u32 v202, vcc_lo, v143, s27
	global_load_b32 v201, v[200:201], off
	v_lshrrev_b32_e32 v206, 8, v203
	v_bfe_i32 v209, v203, 0, 8
	s_wait_alu 0xfffd
	v_add_co_ci_u32_e64 v203, null, 0, v144, vcc_lo
	v_lshlrev_b16 v211, 8, v210
	v_lshrrev_b32_e32 v200, 16, v210
	v_bfe_i32 v206, v206, 0, 8
	global_load_u16 v202, v[202:203], off
	v_and_b32_e32 v210, 0xf00, v210
	v_add_nc_u16 v203, 0xf800, v211
	v_lshlrev_b16 v211, 8, v200
	v_cvt_f16_i16_e64 v209, v209
	v_cvt_f16_i16_e64 v206, v206
	v_mul_u32_u24_e32 v14, 0x10001, v14
	v_lshrrev_b16 v203, 8, v203
	v_add_nc_u16 v211, 0xf800, v211
	v_pk_mul_f16 v205, v205, v204
	v_pack_b32_f16 v206, v209, v206
	v_and_b32_e32 v200, 0xf00, v200
	v_or_b32_e32 v203, v210, v203
	v_lshrrev_b16 v209, 8, v211
	v_pk_fma_f16 v196, v205, v14, v196
	v_and_b32_e32 v205, 0xf0f0f0f, v199
	v_pk_mul_f16 v204, v206, v204
	v_add_nc_u16 v203, 0xf800, v203
	v_or_b32_e32 v200, v200, v209
	ds_load_b128 v[10:13], v56 offset:16
	v_lshrrev_b32_e32 v212, 16, v205
	v_pk_fma_f16 v14, v204, v14, v207
	v_lshrrev_b32_e32 v199, 8, v203
	v_bfe_i32 v203, v203, 0, 8
	v_add_nc_u16 v206, 0xf800, v200
	v_lshlrev_b16 v200, 8, v205
	v_mul_u32_u24_e32 v207, 0x10001, v208
	v_bfe_i32 v208, v199, 0, 8
	v_add_co_u32 v199, vcc_lo, v139, s27
	v_cvt_f16_i16_e64 v209, v203
	v_add_nc_u16 v211, 0xf800, v200
	s_wait_alu 0xfffd
	v_add_co_ci_u32_e64 v200, null, 0, v140, vcc_lo
	v_add_co_u32 v203, vcc_lo, v133, s27
	s_wait_alu 0xfffd
	v_add_co_ci_u32_e64 v204, null, 0, v134, vcc_lo
	global_load_u16 v199, v[199:200], off
	v_lshrrev_b32_e32 v210, 8, v206
	v_and_b32_e32 v205, 0xf00, v205
	global_load_b32 v200, v[203:204], off
	v_lshrrev_b16 v211, 8, v211
	v_bfe_i32 v203, v206, 0, 8
	v_bfe_i32 v204, v210, 0, 8
	v_cvt_f16_i16_e64 v206, v208
	v_lshlrev_b16 v208, 8, v212
	v_or_b32_e32 v205, v205, v211
	v_cvt_f16_i16_e64 v203, v203
	v_cvt_f16_i16_e64 v204, v204
	v_pack_b32_f16 v206, v209, v206
	v_add_nc_u16 v208, 0xf800, v208
	v_add_nc_u16 v205, 0xf800, v205
	s_delay_alu instid0(VALU_DEP_4) | instskip(SKIP_1) | instid1(VALU_DEP_4)
	v_pack_b32_f16 v203, v203, v204
	v_and_b32_e32 v204, 0xf00, v212
	v_lshrrev_b16 v208, 8, v208
	s_delay_alu instid0(VALU_DEP_4)
	v_lshrrev_b32_e32 v209, 8, v205
	v_pk_mul_f16 v206, v206, v198
	v_pk_mul_f16 v198, v203, v198
	v_bfe_i32 v203, v205, 0, 8
	v_or_b32_e32 v204, v204, v208
	v_bfe_i32 v205, v209, 0, 8
	v_pk_fma_f16 v206, v206, v207, v196
	v_ashrrev_i32_e32 v196, v193, v197
	v_cvt_f16_i16_e64 v197, v203
	v_add_nc_u16 v204, 0xf800, v204
	v_cvt_f16_i16_e64 v203, v205
	v_pk_fma_f16 v198, v198, v207, v14
	v_and_b32_e32 v205, 0xf0f0f0f, v196
	v_add_co_u32 v196, vcc_lo, v135, s27
	s_delay_alu instid0(VALU_DEP_4)
	v_pack_b32_f16 v203, v197, v203
	v_lshrrev_b32_e32 v14, 8, v204
	s_wait_alu 0xfffd
	v_add_co_ci_u32_e64 v197, null, 0, v136, vcc_lo
	v_lshrrev_b32_e32 v208, 16, v205
	v_lshlrev_b16 v209, 8, v205
	v_bfe_i32 v210, v14, 0, 8
	global_load_u16 v14, v[196:197], off
	v_add_co_u32 v196, vcc_lo, v129, s27
	v_lshlrev_b16 v211, 8, v208
	s_wait_alu 0xfffd
	v_add_co_ci_u32_e64 v197, null, 0, v130, vcc_lo
	v_bfe_i32 v204, v204, 0, 8
	v_add_nc_u16 v209, 0xf800, v209
	v_add_nc_u16 v211, 0xf800, v211
	global_load_b32 v196, v[196:197], off
	v_cvt_f16_i16_e64 v210, v210
	v_cvt_f16_i16_e64 v204, v204
	v_and_b32_e32 v205, 0xf00, v205
	v_lshrrev_b16 v209, 8, v209
	v_and_b32_e32 v197, 0xf00, v208
	v_lshrrev_b16 v208, 8, v211
	s_wait_dscnt 0x0
	v_lshrrev_b32_e32 v207, 16, v10
	v_and_b32_e32 v10, 0xffff, v10
	v_or_b32_e32 v205, v205, v209
	v_pack_b32_f16 v204, v204, v210
	v_or_b32_e32 v197, v197, v208
	v_pk_mul_f16 v203, v203, v40
	v_mul_u32_u24_e32 v10, 0x10001, v10
	v_add_nc_u16 v205, 0xf800, v205
	v_pk_mul_f16 v40, v204, v40
	v_add_nc_u16 v197, 0xf800, v197
	v_lshlrev_b16 v208, 8, v42
	v_pk_fma_f16 v203, v203, v10, v206
	v_lshrrev_b32_e32 v206, 8, v205
	v_pk_fma_f16 v10, v40, v10, v198
	v_lshrrev_b32_e32 v40, 8, v197
	v_bfe_i32 v198, v205, 0, 8
	v_bfe_i32 v197, v197, 0, 8
	;; [unrolled: 1-line block ×3, first 2 shown]
	v_lshrrev_b32_e32 v206, 16, v42
	v_bfe_i32 v40, v40, 0, 8
	v_cvt_f16_i16_e64 v198, v198
	v_cvt_f16_i16_e64 v197, v197
	;; [unrolled: 1-line block ×3, first 2 shown]
	v_and_b32_e32 v42, 0xf00, v42
	v_cvt_f16_i16_e32 v40, v40
	v_lshrrev_b32_e32 v204, 16, v11
	s_wait_loadcnt 0x7
	v_ashrrev_i32_e32 v194, v193, v194
	v_pack_b32_f16 v198, v198, v205
	v_mul_u32_u24_e32 v205, 0x10001, v207
	v_pack_b32_f16 v40, v197, v40
	v_lshlrev_b16 v197, 8, v206
	v_add_nc_u16 v207, 0xf800, v208
	v_pk_mul_f16 v208, v198, v38
	v_and_b32_e32 v206, 0xf00, v206
	v_pk_mul_f16 v40, v40, v38
	v_add_nc_u16 v38, 0xf800, v197
	v_add_co_u32 v197, vcc_lo, v125, s27
	s_wait_alu 0xfffd
	v_add_co_ci_u32_e64 v198, null, 0, v126, vcc_lo
	v_lshrrev_b16 v207, 8, v207
	v_pk_fma_f16 v203, v208, v205, v203
	v_lshrrev_b16 v208, 8, v38
	global_load_b32 v38, v[197:198], off
	v_add_co_u32 v197, vcc_lo, v131, s27
	v_or_b32_e32 v42, v42, v207
	s_wait_alu 0xfffd
	v_add_co_ci_u32_e64 v198, null, 0, v132, vcc_lo
	v_pk_fma_f16 v205, v40, v205, v10
	v_or_b32_e32 v10, v206, v208
	v_add_nc_u16 v42, 0xf800, v42
	global_load_u16 v40, v[197:198], off
	v_and_b32_e32 v198, 0xffff, v11
	v_lshlrev_b16 v207, 8, v41
	v_add_nc_u16 v10, 0xf800, v10
	v_lshrrev_b32_e32 v197, 8, v42
	v_bfe_i32 v11, v42, 0, 8
	v_lshrrev_b32_e32 v206, 16, v41
	v_and_b32_e32 v41, 0xf00, v41
	v_mul_u32_u24_e32 v204, 0x10001, v204
	v_bfe_i32 v42, v197, 0, 8
	v_mul_u32_u24_e32 v197, 0x10001, v37
	v_cvt_f16_i16_e32 v11, v11
	v_lshrrev_b32_e32 v37, 8, v10
	v_bfe_i32 v10, v10, 0, 8
	v_cvt_f16_i16_e32 v42, v42
	v_lshlrev_b16 v208, 8, v206
	v_and_b32_e32 v206, 0xf00, v206
	v_bfe_i32 v37, v37, 0, 8
	v_and_b32_e32 v194, 0xf0f0f0f, v194
	v_pack_b32_f16 v42, v11, v42
	v_add_nc_u16 v11, 0xf800, v207
	v_cvt_f16_i16_e64 v207, v10
	v_add_co_u32 v10, vcc_lo, v121, s27
	v_cvt_f16_i16_e32 v37, v37
	s_delay_alu instid0(VALU_DEP_4)
	v_lshrrev_b16 v209, 8, v11
	s_wait_alu 0xfffd
	v_add_co_ci_u32_e64 v11, null, 0, v122, vcc_lo
	v_add_nc_u16 v208, 0xf800, v208
	v_pack_b32_f16 v207, v207, v37
	v_or_b32_e32 v41, v41, v209
	global_load_b32 v37, v[10:11], off
	v_mul_u32_u24_e32 v10, 0x10001, v198
	v_lshrrev_b16 v208, 8, v208
	v_pk_mul_f16 v11, v42, v197
	v_add_nc_u16 v41, 0xf800, v41
	v_pk_mul_f16 v197, v207, v197
	s_delay_alu instid0(VALU_DEP_4) | instskip(NEXT) | instid1(VALU_DEP_4)
	v_or_b32_e32 v42, v206, v208
	v_pk_fma_f16 v203, v11, v10, v203
	s_delay_alu instid0(VALU_DEP_4) | instskip(NEXT) | instid1(VALU_DEP_4)
	v_lshrrev_b32_e32 v11, 8, v41
	v_pk_fma_f16 v205, v197, v10, v205
	v_and_b32_e32 v197, 0xf0f0f0f, v9
	v_add_nc_u16 v42, 0xf800, v42
	v_bfe_i32 v9, v41, 0, 8
	v_bfe_i32 v10, v11, 0, 8
	s_delay_alu instid0(VALU_DEP_4) | instskip(NEXT) | instid1(VALU_DEP_4)
	v_lshlrev_b16 v208, 8, v197
	v_lshrrev_b32_e32 v11, 8, v42
	v_bfe_i32 v41, v42, 0, 8
	v_lshrrev_b32_e32 v42, 16, v197
	v_cvt_f16_i16_e64 v198, v9
	v_add_co_u32 v9, vcc_lo, v127, s27
	v_cvt_f16_i16_e64 v206, v10
	v_cvt_f16_i16_e64 v207, v41
	v_lshlrev_b16 v41, 8, v42
	s_wait_alu 0xfffd
	v_add_co_ci_u32_e64 v10, null, 0, v128, vcc_lo
	v_add_nc_u16 v208, 0xf800, v208
	v_bfe_i32 v11, v11, 0, 8
	v_add_nc_u16 v209, 0xf800, v41
	global_load_u16 v41, v[9:10], off
	v_and_b32_e32 v10, 0xf00, v197
	v_lshrrev_b16 v197, 8, v208
	v_mul_u32_u24_e32 v208, 0x10001, v8
	v_cvt_f16_i16_e32 v11, v11
	v_and_b32_e32 v42, 0xf00, v42
	v_lshrrev_b16 v9, 8, v209
	v_or_b32_e32 v8, v10, v197
	v_add_co_u32 v197, vcc_lo, v117, s27
	v_pack_b32_f16 v206, v198, v206
	s_wait_alu 0xfffd
	v_add_co_ci_u32_e64 v198, null, 0, v118, vcc_lo
	v_pack_b32_f16 v207, v207, v11
	v_or_b32_e32 v209, v42, v9
	v_add_nc_u16 v210, 0xf800, v8
	global_load_b32 v42, v[197:198], off
	v_pk_mul_f16 v206, v206, v208
	v_pk_mul_f16 v198, v207, v208
	v_add_nc_u16 v208, 0xf800, v209
	v_lshrrev_b32_e32 v197, 8, v210
	v_bfe_i32 v207, v210, 0, 8
	v_pk_fma_f16 v203, v206, v204, v203
	v_pk_fma_f16 v204, v198, v204, v205
	v_lshrrev_b32_e32 v209, 16, v39
	v_bfe_i32 v197, v197, 0, 8
	v_cvt_f16_i16_e64 v206, v207
	v_lshrrev_b32_e32 v207, 8, v208
	v_bfe_i32 v208, v208, 0, 8
	v_lshlrev_b16 v205, 8, v209
	v_cvt_f16_i16_e64 v197, v197
	ds_load_b128 v[8:11], v56 offset:32
	v_bfe_i32 v198, v207, 0, 8
	v_lshlrev_b16 v207, 8, v39
	v_add_nc_u16 v205, 0xf800, v205
	v_pack_b32_f16 v197, v206, v197
	v_cvt_f16_i16_e64 v206, v208
	v_cvt_f16_i16_e64 v198, v198
	v_and_b32_e32 v208, 0xffff, v12
	v_add_nc_u16 v207, 0xf800, v207
	v_lshrrev_b16 v205, 8, v205
	v_and_b32_e32 v39, 0xf00, v39
	v_pack_b32_f16 v198, v206, v198
	v_and_b32_e32 v206, 0xf00, v209
	v_pk_mul_f16 v209, v197, v15
	v_add_co_u32 v197, vcc_lo, v123, s27
	v_mul_u32_u24_e32 v208, 0x10001, v208
	v_pk_mul_f16 v15, v198, v15
	s_wait_alu 0xfffd
	v_add_co_ci_u32_e64 v198, null, 0, v124, vcc_lo
	v_lshrrev_b16 v207, 8, v207
	v_or_b32_e32 v205, v206, v205
	v_pk_fma_f16 v204, v15, v208, v204
	global_load_u16 v15, v[197:198], off
	v_add_co_u32 v197, vcc_lo, v113, s27
	v_or_b32_e32 v39, v39, v207
	v_add_nc_u16 v205, 0xf800, v205
	v_pk_fma_f16 v206, v209, v208, v203
	s_wait_alu 0xfffd
	v_add_co_ci_u32_e64 v198, null, 0, v114, vcc_lo
	v_add_nc_u16 v39, 0xf800, v39
	v_lshrrev_b32_e32 v208, 8, v205
	v_lshrrev_b32_e32 v12, 16, v12
	global_load_b32 v203, v[197:198], off
	v_bfe_i32 v198, v205, 0, 8
	v_lshrrev_b32_e32 v207, 8, v39
	v_bfe_i32 v39, v39, 0, 8
	v_bfe_i32 v205, v208, 0, 8
	v_lshlrev_b16 v208, 8, v194
	v_cvt_f16_i16_e64 v198, v198
	v_bfe_i32 v197, v207, 0, 8
	v_cvt_f16_i16_e32 v39, v39
	v_cvt_f16_i16_e64 v205, v205
	v_lshrrev_b32_e32 v207, 16, v194
	v_add_nc_u16 v208, 0xf800, v208
	v_cvt_f16_i16_e64 v197, v197
	v_mul_u32_u24_e32 v209, 0x10001, v12
	v_and_b32_e32 v194, 0xf00, v194
	s_delay_alu instid0(VALU_DEP_3)
	v_pack_b32_f16 v39, v39, v197
	v_pack_b32_f16 v197, v198, v205
	v_lshlrev_b16 v198, 8, v207
	v_and_b32_e32 v207, 0xf00, v207
	v_lshrrev_b32_e32 v205, 16, v13
	v_and_b32_e32 v13, 0xffff, v13
	s_delay_alu instid0(VALU_DEP_4) | instskip(SKIP_3) | instid1(VALU_DEP_3)
	v_add_nc_u16 v12, 0xf800, v198
	v_lshrrev_b16 v198, 8, v208
	s_wait_loadcnt 0xd
	v_mul_u32_u24_e32 v195, 0x10001, v195
	v_lshrrev_b16 v12, 8, v12
	s_delay_alu instid0(VALU_DEP_3) | instskip(SKIP_1) | instid1(VALU_DEP_4)
	v_or_b32_e32 v194, v194, v198
	v_mul_u32_u24_e32 v198, 0x10001, v13
	v_pk_mul_f16 v39, v39, v195
	v_pk_mul_f16 v197, v197, v195
	v_or_b32_e32 v195, v207, v12
	v_add_co_u32 v12, vcc_lo, v119, s27
	s_wait_alu 0xfffd
	v_add_co_ci_u32_e64 v13, null, 0, v120, vcc_lo
	v_pk_fma_f16 v39, v39, v209, v206
	v_add_nc_u16 v206, 0xf800, v194
	s_wait_loadcnt 0xc
	v_ashrrev_i32_e32 v194, v193, v201
	global_load_u16 v12, v[12:13], off
	v_add_nc_u16 v201, 0xf800, v195
	v_pk_fma_f16 v197, v197, v209, v204
	v_lshrrev_b32_e32 v207, 8, v206
	v_and_b32_e32 v13, 0xf0f0f0f, v194
	v_add_co_u32 v194, vcc_lo, v109, s27
	s_wait_alu 0xfffd
	v_add_co_ci_u32_e64 v195, null, 0, v110, vcc_lo
	v_bfe_i32 v206, v206, 0, 8
	v_lshlrev_b16 v208, 8, v13
	v_lshrrev_b32_e32 v210, 8, v201
	global_load_b32 v211, v[194:195], off
	v_lshrrev_b32_e32 v194, 16, v13
	v_cvt_f16_i16_e64 v195, v206
	v_add_nc_u16 v206, 0xf800, v208
	v_bfe_i32 v208, v210, 0, 8
	v_bfe_i32 v207, v207, 0, 8
	v_lshlrev_b16 v210, 8, v194
	v_and_b32_e32 v13, 0xf00, v13
	v_lshrrev_b16 v206, 8, v206
	v_and_b32_e32 v194, 0xf00, v194
	v_cvt_f16_i16_e64 v207, v207
	v_add_nc_u16 v210, 0xf800, v210
	s_wait_loadcnt 0xd
	v_mul_u32_u24_e32 v202, 0x10001, v202
	v_or_b32_e32 v13, v13, v206
	v_bfe_i32 v201, v201, 0, 8
	v_pack_b32_f16 v195, v195, v207
	v_lshrrev_b16 v206, 8, v210
	v_mul_u32_u24_e32 v204, 0x10001, v205
	v_cvt_f16_i16_e64 v208, v208
	v_cvt_f16_i16_e64 v201, v201
	v_pk_mul_f16 v195, v195, v202
	v_or_b32_e32 v194, v194, v206
	v_add_nc_u16 v13, 0xf800, v13
	s_delay_alu instid0(VALU_DEP_4) | instskip(NEXT) | instid1(VALU_DEP_4)
	v_pack_b32_f16 v201, v201, v208
	v_pk_fma_f16 v39, v195, v198, v39
	s_delay_alu instid0(VALU_DEP_4)
	v_add_nc_u16 v205, 0xf800, v194
	v_add_co_u32 v194, vcc_lo, v115, s27
	s_wait_alu 0xfffd
	v_add_co_ci_u32_e64 v195, null, 0, v116, vcc_lo
	v_pk_mul_f16 v201, v201, v202
	v_lshrrev_b32_e32 v202, 8, v13
	s_wait_loadcnt 0xb
	v_ashrrev_i32_e32 v200, v193, v200
	global_load_u16 v207, v[194:195], off
	v_add_co_u32 v194, vcc_lo, v105, s27
	s_wait_alu 0xfffd
	v_add_co_ci_u32_e64 v195, null, 0, v106, vcc_lo
	v_and_b32_e32 v200, 0xf0f0f0f, v200
	v_bfe_i32 v202, v202, 0, 8
	v_bfe_i32 v13, v13, 0, 8
	global_load_b32 v210, v[194:195], off
	v_lshrrev_b32_e32 v206, 8, v205
	v_lshlrev_b16 v208, 8, v200
	v_cvt_f16_i16_e64 v202, v202
	v_cvt_f16_i16_e32 v13, v13
	v_bfe_i32 v205, v205, 0, 8
	v_bfe_i32 v206, v206, 0, 8
	v_lshrrev_b32_e32 v209, 16, v200
	v_add_nc_u16 v195, 0xf800, v208
	v_mul_u32_u24_e32 v199, 0x10001, v199
	v_cvt_f16_i16_e64 v194, v205
	v_cvt_f16_i16_e64 v205, v206
	v_pack_b32_f16 v13, v13, v202
	v_lshlrev_b16 v202, 8, v209
	v_and_b32_e32 v200, 0xf00, v200
	v_lshrrev_b16 v195, 8, v195
	v_pack_b32_f16 v194, v194, v205
	v_pk_mul_f16 v13, v13, v199
	v_pk_fma_f16 v197, v201, v198, v197
	v_add_nc_u16 v198, 0xf800, v202
	v_or_b32_e32 v195, v200, v195
	v_pk_mul_f16 v199, v194, v199
	v_pk_fma_f16 v39, v13, v204, v39
	v_and_b32_e32 v13, 0xf00, v209
	v_lshrrev_b16 v198, 8, v198
	v_add_co_u32 v194, vcc_lo, v111, s27
	v_add_nc_u16 v200, 0xf800, v195
	s_wait_alu 0xfffd
	v_add_co_ci_u32_e64 v195, null, 0, v112, vcc_lo
	v_or_b32_e32 v13, v13, v198
	v_pk_fma_f16 v197, v199, v204, v197
	v_lshrrev_b32_e32 v198, 8, v200
	global_load_u16 v204, v[194:195], off
	v_bfe_i32 v194, v200, 0, 8
	v_add_nc_u16 v195, 0xf800, v13
	v_add_co_u32 v13, vcc_lo, v101, s27
	s_wait_loadcnt 0xd
	v_mul_u32_u24_e32 v200, 0x10001, v14
	s_wait_alu 0xfffd
	v_add_co_ci_u32_e64 v14, null, 0, v102, vcc_lo
	s_wait_loadcnt 0xc
	v_ashrrev_i32_e32 v196, v193, v196
	v_lshrrev_b32_e32 v201, 8, v195
	v_bfe_i32 v195, v195, 0, 8
	global_load_b32 v202, v[13:14], off
	v_add_co_u32 v13, vcc_lo, v107, s27
	v_and_b32_e32 v196, 0xf0f0f0f, v196
	s_wait_alu 0xfffd
	v_add_co_ci_u32_e64 v14, null, 0, v108, vcc_lo
	v_bfe_i32 v206, v201, 0, 8
	v_bfe_i32 v198, v198, 0, 8
	v_lshlrev_b16 v205, 8, v196
	global_load_u16 v201, v[13:14], off
	v_lshrrev_b32_e32 v208, 16, v196
	v_and_b32_e32 v196, 0xf00, v196
	v_cvt_f16_i16_e64 v195, v195
	v_add_nc_u16 v13, 0xf800, v205
	v_cvt_f16_i16_e64 v14, v206
	v_cvt_f16_i16_e64 v194, v194
	;; [unrolled: 1-line block ×3, first 2 shown]
	s_wait_dscnt 0x0
	v_and_b32_e32 v199, 0xffff, v8
	v_lshrrev_b16 v13, 8, v13
	v_pack_b32_f16 v14, v195, v14
	v_lshrrev_b32_e32 v8, 16, v8
	v_pack_b32_f16 v194, v194, v198
	v_lshlrev_b16 v198, 8, v208
	v_or_b32_e32 v13, v196, v13
	v_pk_mul_f16 v196, v14, v200
	v_mul_u32_u24_e32 v199, 0x10001, v199
	v_pk_mul_f16 v194, v194, v200
	v_add_nc_u16 v195, 0xf800, v198
	v_add_nc_u16 v206, 0xf800, v13
	v_add_co_u32 v13, vcc_lo, v97, s27
	s_wait_alu 0xfffd
	v_add_co_ci_u32_e64 v14, null, 0, v98, vcc_lo
	v_and_b32_e32 v198, 0xf00, v208
	v_lshrrev_b16 v205, 8, v195
	v_pk_fma_f16 v39, v194, v199, v39
	global_load_b32 v200, v[13:14], off
	v_add_co_u32 v194, vcc_lo, v103, s27
	s_wait_alu 0xfffd
	v_add_co_ci_u32_e64 v195, null, 0, v104, vcc_lo
	v_lshrrev_b32_e32 v13, 8, v206
	v_or_b32_e32 v14, v198, v205
	v_pk_fma_f16 v196, v196, v199, v197
	s_wait_loadcnt 0xe
	v_ashrrev_i32_e32 v38, v193, v38
	global_load_u16 v199, v[194:195], off
	v_bfe_i32 v194, v206, 0, 8
	v_bfe_i32 v13, v13, 0, 8
	v_add_nc_u16 v14, 0xf800, v14
	v_and_b32_e32 v38, 0xf0f0f0f, v38
	v_mul_u32_u24_e32 v8, 0x10001, v8
	v_cvt_f16_i16_e64 v194, v194
	v_cvt_f16_i16_e32 v13, v13
	v_lshrrev_b32_e32 v195, 8, v14
	v_bfe_i32 v14, v14, 0, 8
	v_lshlrev_b16 v197, 8, v38
	v_lshrrev_b32_e32 v205, 16, v38
	v_pack_b32_f16 v194, v194, v13
	v_add_co_u32 v13, vcc_lo, v93, s27
	v_cvt_f16_i16_e64 v198, v14
	v_add_nc_u16 v197, 0xf800, v197
	s_wait_alu 0xfffd
	v_add_co_ci_u32_e64 v14, null, 0, v94, vcc_lo
	v_bfe_i32 v195, v195, 0, 8
	v_and_b32_e32 v38, 0xf00, v38
	v_lshrrev_b16 v208, 8, v197
	global_load_b32 v197, v[13:14], off
	v_lshlrev_b16 v206, 8, v205
	v_cvt_f16_i16_e64 v195, v195
	v_add_co_u32 v13, vcc_lo, v99, s27
	s_wait_loadcnt 0xf
	v_mul_u32_u24_e32 v40, 0x10001, v40
	s_wait_alu 0xfffd
	v_add_co_ci_u32_e64 v14, null, 0, v100, vcc_lo
	v_or_b32_e32 v38, v38, v208
	v_pack_b32_f16 v195, v198, v195
	v_add_nc_u16 v206, 0xf800, v206
	v_pk_mul_f16 v194, v194, v40
	global_load_u16 v198, v[13:14], off
	v_add_nc_u16 v13, 0xf800, v38
	v_pk_mul_f16 v14, v195, v40
	v_and_b32_e32 v38, 0xf00, v205
	v_lshrrev_b16 v40, 8, v206
	v_pk_fma_f16 v39, v194, v8, v39
	v_lshrrev_b32_e32 v194, 8, v13
	v_bfe_i32 v13, v13, 0, 8
	s_wait_loadcnt 0xf
	v_ashrrev_i32_e32 v37, v193, v37
	v_pk_fma_f16 v8, v14, v8, v196
	v_or_b32_e32 v14, v38, v40
	v_bfe_i32 v38, v194, 0, 8
	v_cvt_f16_i16_e64 v205, v13
	v_add_co_u32 v13, vcc_lo, v89, s27
	v_and_b32_e32 v40, 0xf0f0f0f, v37
	v_add_nc_u16 v195, 0xf800, v14
	s_wait_alu 0xfffd
	v_add_co_ci_u32_e64 v14, null, 0, v90, vcc_lo
	v_cvt_f16_i16_e64 v206, v38
	v_lshlrev_b16 v37, 8, v40
	v_lshrrev_b32_e32 v208, 8, v195
	global_load_b32 v196, v[13:14], off
	v_and_b32_e32 v13, 0xf00, v40
	v_and_b32_e32 v194, 0xffff, v9
	v_add_nc_u16 v209, 0xf800, v37
	v_add_co_u32 v37, vcc_lo, v95, s27
	s_wait_alu 0xfffd
	v_add_co_ci_u32_e64 v38, null, 0, v96, vcc_lo
	s_delay_alu instid0(VALU_DEP_3)
	v_lshrrev_b16 v14, 8, v209
	v_bfe_i32 v209, v195, 0, 8
	v_bfe_i32 v208, v208, 0, 8
	global_load_u16 v195, v[37:38], off
	v_lshrrev_b32_e32 v37, 16, v40
	v_or_b32_e32 v13, v13, v14
	v_cvt_f16_i16_e64 v14, v209
	v_cvt_f16_i16_e64 v38, v208
	s_wait_loadcnt 0x10
	v_mul_u32_u24_e32 v40, 0x10001, v41
	v_lshlrev_b16 v41, 8, v37
	v_add_nc_u16 v13, 0xf800, v13
	v_pack_b32_f16 v205, v205, v206
	v_pack_b32_f16 v14, v14, v38
	v_mul_u32_u24_e32 v38, 0x10001, v194
	v_add_nc_u16 v41, 0xf800, v41
	v_lshrrev_b32_e32 v194, 8, v13
	v_bfe_i32 v206, v13, 0, 8
	v_add_co_u32 v13, vcc_lo, v85, s27
	v_pk_mul_f16 v205, v205, v40
	v_pk_mul_f16 v40, v14, v40
	v_and_b32_e32 v37, 0xf00, v37
	v_lshrrev_b16 v41, 8, v41
	v_bfe_i32 v194, v194, 0, 8
	s_wait_alu 0xfffd
	v_add_co_ci_u32_e64 v14, null, 0, v86, vcc_lo
	s_wait_loadcnt 0xf
	v_ashrrev_i32_e32 v42, v193, v42
	v_or_b32_e32 v37, v37, v41
	v_cvt_f16_i16_e64 v41, v206
	v_cvt_f16_i16_e64 v206, v194
	global_load_b32 v194, v[13:14], off
	v_add_co_u32 v13, vcc_lo, v91, s27
	v_and_b32_e32 v42, 0xf0f0f0f, v42
	s_wait_alu 0xfffd
	v_add_co_ci_u32_e64 v14, null, 0, v92, vcc_lo
	v_pk_fma_f16 v40, v40, v38, v8
	v_add_nc_u16 v8, 0xf800, v37
	v_add_co_u32 v37, vcc_lo, v81, s27
	v_pk_fma_f16 v205, v205, v38, v39
	v_pack_b32_f16 v206, v41, v206
	v_lshrrev_b32_e32 v208, 16, v42
	s_wait_alu 0xfffd
	v_add_co_ci_u32_e64 v38, null, 0, v82, vcc_lo
	global_load_u16 v41, v[13:14], off
	v_lshlrev_b16 v13, 8, v42
	v_lshlrev_b16 v212, 8, v208
	global_load_b32 v39, v[37:38], off
	v_lshrrev_b32_e32 v209, 8, v8
	v_and_b32_e32 v42, 0xf00, v42
	v_add_nc_u16 v13, 0xf800, v13
	v_add_nc_u16 v14, 0xf800, v212
	v_bfe_i32 v8, v8, 0, 8
	v_bfe_i32 v37, v209, 0, 8
	v_and_b32_e32 v38, 0xf00, v208
	v_lshrrev_b16 v13, 8, v13
	v_lshrrev_b16 v14, 8, v14
	v_lshrrev_b32_e32 v9, 16, v9
	v_cvt_f16_i16_e64 v209, v8
	v_cvt_f16_i16_e32 v37, v37
	v_or_b32_e32 v13, v42, v13
	v_or_b32_e32 v14, v38, v14
	v_add_co_u32 v8, vcc_lo, v87, s27
	v_mul_u32_u24_e32 v208, 0x10001, v9
	s_wait_alu 0xfffd
	v_add_co_ci_u32_e64 v9, null, 0, v88, vcc_lo
	v_add_nc_u16 v13, 0xf800, v13
	s_wait_loadcnt 0x11
	v_mul_u32_u24_e32 v15, 0x10001, v15
	v_pack_b32_f16 v37, v209, v37
	v_add_nc_u16 v14, 0xf800, v14
	global_load_u16 v42, v[8:9], off
	v_lshrrev_b32_e32 v9, 8, v13
	v_pk_mul_f16 v8, v206, v15
	v_pk_mul_f16 v15, v37, v15
	v_lshrrev_b32_e32 v37, 8, v14
	v_bfe_i32 v13, v13, 0, 8
	v_bfe_i32 v9, v9, 0, 8
	;; [unrolled: 1-line block ×3, first 2 shown]
	s_wait_loadcnt 0x11
	v_ashrrev_i32_e32 v38, v193, v203
	v_bfe_i32 v37, v37, 0, 8
	v_cvt_f16_i16_e32 v13, v13
	v_cvt_f16_i16_e32 v9, v9
	;; [unrolled: 1-line block ×3, first 2 shown]
	v_pk_fma_f16 v15, v15, v208, v40
	v_cvt_f16_i16_e32 v37, v37
	v_pk_fma_f16 v205, v8, v208, v205
	v_pack_b32_f16 v206, v13, v9
	v_add_co_u32 v13, s4, v77, s27
	s_delay_alu instid0(VALU_DEP_4)
	v_pack_b32_f16 v37, v14, v37
	s_wait_alu 0xf1ff
	v_add_co_ci_u32_e64 v14, null, 0, v78, s4
	v_add_co_u32 v8, vcc_lo, v83, s27
	v_and_b32_e32 v38, 0xf0f0f0f, v38
	global_load_b32 v40, v[13:14], off
	s_wait_alu 0xfffd
	v_add_co_ci_u32_e64 v9, null, 0, v84, vcc_lo
	v_lshlrev_b16 v203, 8, v38
	v_lshrrev_b32_e32 v208, 16, v38
	v_and_b32_e32 v209, 0xf00, v38
	global_load_u16 v38, v[8:9], off
	v_add_co_u32 v8, vcc_lo, v73, s27
	s_wait_alu 0xfffd
	v_add_co_ci_u32_e64 v9, null, 0, v74, vcc_lo
	v_add_nc_u16 v203, 0xf800, v203
	v_lshlrev_b16 v14, 8, v208
	global_load_b32 v9, v[8:9], off
	s_wait_loadcnt 0x13
	v_mul_u32_u24_e32 v12, 0x10001, v12
	v_lshrrev_b16 v13, 8, v203
	v_add_nc_u16 v14, 0xf800, v14
	v_and_b32_e32 v8, 0xffff, v10
	v_lshrrev_b32_e32 v10, 16, v10
	v_pk_mul_f16 v203, v206, v12
	v_or_b32_e32 v13, v209, v13
	v_and_b32_e32 v206, 0xf00, v208
	v_lshrrev_b16 v14, 8, v14
	v_pk_mul_f16 v12, v37, v12
	v_mul_u32_u24_e32 v8, 0x10001, v8
	v_add_nc_u16 v13, 0xf800, v13
	s_wait_loadcnt 0x12
	v_ashrrev_i32_e32 v208, v193, v211
	v_or_b32_e32 v14, v206, v14
	v_mul_u32_u24_e32 v10, 0x10001, v10
	v_pk_fma_f16 v15, v12, v8, v15
	v_lshrrev_b32_e32 v37, 8, v13
	v_bfe_i32 v13, v13, 0, 8
	v_add_co_u32 v12, vcc_lo, v79, s27
	v_pk_fma_f16 v203, v203, v8, v205
	s_delay_alu instid0(VALU_DEP_4)
	v_bfe_i32 v37, v37, 0, 8
	v_and_b32_e32 v205, 0xf0f0f0f, v208
	v_add_nc_u16 v8, 0xf800, v14
	v_cvt_f16_i16_e32 v14, v13
	s_wait_alu 0xfffd
	v_add_co_ci_u32_e64 v13, null, 0, v80, vcc_lo
	v_cvt_f16_i16_e32 v37, v37
	v_lshrrev_b32_e32 v208, 8, v8
	v_lshrrev_b32_e32 v206, 16, v205
	v_bfe_i32 v8, v8, 0, 8
	s_delay_alu instid0(VALU_DEP_4)
	v_pack_b32_f16 v14, v14, v37
	global_load_u16 v37, v[12:13], off
	v_lshlrev_b16 v12, 8, v205
	v_bfe_i32 v13, v208, 0, 8
	v_lshlrev_b16 v209, 8, v206
	v_cvt_f16_i16_e32 v8, v8
	v_and_b32_e32 v205, 0xf00, v205
	v_add_nc_u16 v12, 0xf800, v12
	v_cvt_f16_i16_e32 v13, v13
	v_add_nc_u16 v208, 0xf800, v209
	v_and_b32_e32 v206, 0xf00, v206
	s_delay_alu instid0(VALU_DEP_4) | instskip(NEXT) | instid1(VALU_DEP_4)
	v_lshrrev_b16 v12, 8, v12
	v_pack_b32_f16 v209, v8, v13
	s_wait_loadcnt 0x12
	v_mul_u32_u24_e32 v207, 0x10001, v207
	v_lshrrev_b16 v208, 8, v208
	v_or_b32_e32 v8, v205, v12
	v_add_co_u32 v12, vcc_lo, v75, s27
	s_wait_alu 0xfffd
	v_add_co_ci_u32_e64 v13, null, 0, v76, vcc_lo
	s_delay_alu instid0(VALU_DEP_3)
	v_add_nc_u16 v205, 0xf800, v8
	v_or_b32_e32 v206, v206, v208
	v_and_b32_e32 v208, 0xffff, v11
	global_load_u16 v8, v[12:13], off
	v_pk_mul_f16 v13, v14, v207
	v_lshrrev_b32_e32 v12, 8, v205
	s_wait_loadcnt 0x12
	v_ashrrev_i32_e32 v14, v193, v210
	v_bfe_i32 v205, v205, 0, 8
	v_pk_mul_f16 v207, v209, v207
	v_add_nc_u16 v206, 0xf800, v206
	v_bfe_i32 v12, v12, 0, 8
	v_and_b32_e32 v14, 0xf0f0f0f, v14
	v_cvt_f16_i16_e64 v205, v205
	v_pk_fma_f16 v203, v13, v10, v203
	v_pk_fma_f16 v10, v207, v10, v15
	v_cvt_f16_i16_e32 v12, v12
	v_lshrrev_b32_e32 v13, 16, v14
	v_lshrrev_b32_e32 v15, 8, v206
	v_bfe_i32 v206, v206, 0, 8
	v_lshrrev_b32_e32 v11, 16, v11
	v_pack_b32_f16 v12, v205, v12
	v_lshlrev_b16 v205, 8, v14
	v_lshlrev_b16 v207, 8, v13
	v_bfe_i32 v15, v15, 0, 8
	v_cvt_f16_i16_e64 v206, v206
	v_and_b32_e32 v14, 0xf00, v14
	v_add_nc_u16 v205, 0xf800, v205
	v_add_nc_u16 v207, 0xf800, v207
	v_cvt_f16_i16_e32 v15, v15
	v_and_b32_e32 v13, 0xf00, v13
	v_mul_u32_u24_e32 v11, 0x10001, v11
	v_lshrrev_b16 v205, 8, v205
	v_lshrrev_b16 v207, 8, v207
	s_wait_loadcnt 0x11
	v_mul_u32_u24_e32 v209, 0x10001, v204
	v_pack_b32_f16 v15, v206, v15
	v_mul_u32_u24_e32 v204, 0x10001, v208
	v_or_b32_e32 v14, v14, v205
	v_or_b32_e32 v208, v13, v207
	v_pk_mul_f16 v207, v12, v209
	v_pk_mul_f16 v206, v15, v209
	v_add_co_u32 v57, vcc_lo, v57, s36
	v_add_nc_u16 v205, 0xf800, v14
	v_add_nc_u16 v208, 0xf800, v208
	v_pk_fma_f16 v203, v207, v204, v203
	v_pk_fma_f16 v10, v206, v204, v10
	s_wait_loadcnt 0x10
	v_ashrrev_i32_e32 v202, v193, v202
	v_lshrrev_b32_e32 v207, 8, v205
	v_lshrrev_b32_e32 v204, 8, v208
	v_bfe_i32 v205, v205, 0, 8
	ds_load_b128 v[12:15], v56 offset:48
	v_and_b32_e32 v202, 0xf0f0f0f, v202
	v_bfe_i32 v206, v207, 0, 8
	v_bfe_i32 v207, v208, 0, 8
	;; [unrolled: 1-line block ×3, first 2 shown]
	v_cvt_f16_i16_e64 v205, v205
	v_lshlrev_b16 v208, 8, v202
	v_cvt_f16_i16_e64 v206, v206
	v_cvt_f16_i16_e64 v207, v207
	;; [unrolled: 1-line block ×3, first 2 shown]
	v_lshrrev_b32_e32 v209, 16, v202
	s_wait_loadcnt 0xf
	v_mul_u32_u24_e32 v201, 0x10001, v201
	v_pack_b32_f16 v205, v205, v206
	v_add_nc_u16 v206, 0xf800, v208
	v_pack_b32_f16 v204, v207, v204
	v_lshlrev_b16 v207, 8, v209
	v_and_b32_e32 v202, 0xf00, v202
	v_pk_mul_f16 v205, v205, v201
	s_wait_alu 0xfffd
	v_add_co_ci_u32_e64 v58, null, 0, v58, vcc_lo
	v_pk_mul_f16 v201, v204, v201
	v_lshrrev_b16 v204, 8, v206
	v_add_nc_u16 v206, 0xf800, v207
	v_pk_fma_f16 v203, v205, v11, v203
	s_wait_dscnt 0x0
	v_lshrrev_b32_e32 v205, 16, v13
	v_pk_fma_f16 v11, v201, v11, v10
	v_and_b32_e32 v10, 0xf00, v209
	v_or_b32_e32 v201, v202, v204
	v_lshrrev_b16 v202, 8, v206
	v_lshrrev_b32_e32 v204, 16, v12
	s_wait_loadcnt 0xe
	v_ashrrev_i32_e32 v200, v193, v200
	v_and_b32_e32 v12, 0xffff, v12
	v_add_nc_u16 v201, 0xf800, v201
	v_or_b32_e32 v10, v10, v202
	v_and_b32_e32 v13, 0xffff, v13
	v_and_b32_e32 v200, 0xf0f0f0f, v200
	v_mul_u32_u24_e32 v12, 0x10001, v12
	v_lshrrev_b32_e32 v206, 8, v201
	v_add_nc_u16 v10, 0xf800, v10
	v_bfe_i32 v201, v201, 0, 8
	v_lshlrev_b16 v208, 8, v200
	v_lshrrev_b32_e32 v209, 16, v200
	v_bfe_i32 v206, v206, 0, 8
	v_lshrrev_b32_e32 v207, 8, v10
	v_bfe_i32 v10, v10, 0, 8
	v_cvt_f16_i16_e64 v201, v201
	v_add_nc_u16 v208, 0xf800, v208
	v_cvt_f16_i16_e64 v206, v206
	v_bfe_i32 v207, v207, 0, 8
	v_cvt_f16_i16_e32 v10, v10
	v_lshlrev_b16 v210, 8, v209
	s_wait_loadcnt 0xd
	v_mul_u32_u24_e32 v199, 0x10001, v199
	v_pack_b32_f16 v201, v201, v206
	v_cvt_f16_i16_e64 v207, v207
	v_and_b32_e32 v200, 0xf00, v200
	v_lshrrev_b16 v206, 8, v208
	v_add_nc_u16 v208, 0xf800, v210
	v_pk_mul_f16 v201, v201, v199
	v_pack_b32_f16 v10, v10, v207
	v_and_b32_e32 v207, 0xf00, v209
	v_or_b32_e32 v200, v200, v206
	v_lshrrev_b16 v206, 8, v208
	v_pk_fma_f16 v201, v201, v12, v203
	v_pk_mul_f16 v199, v10, v199
	v_mul_u32_u24_e32 v13, 0x10001, v13
	v_add_nc_u16 v200, 0xf800, v200
	v_or_b32_e32 v203, v207, v206
	v_add_co_u32 v32, vcc_lo, v32, s34
	v_pk_fma_f16 v11, v199, v12, v11
	s_wait_loadcnt 0xc
	v_ashrrev_i32_e32 v12, v193, v197
	v_add_nc_u16 v203, 0xf800, v203
	v_mul_u32_u24_e32 v197, 0x10001, v204
	v_lshrrev_b32_e32 v199, 8, v200
	v_bfe_i32 v200, v200, 0, 8
	v_and_b32_e32 v12, 0xf0f0f0f, v12
	v_lshrrev_b32_e32 v204, 8, v203
	v_bfe_i32 v203, v203, 0, 8
	v_bfe_i32 v199, v199, 0, 8
	v_cvt_f16_i16_e64 v200, v200
	v_lshrrev_b32_e32 v207, 16, v12
	v_lshlrev_b16 v206, 8, v12
	v_bfe_i32 v204, v204, 0, 8
	v_cvt_f16_i16_e64 v199, v199
	v_cvt_f16_i16_e64 v203, v203
	v_lshlrev_b16 v208, 8, v207
	v_add_nc_u16 v206, 0xf800, v206
	v_cvt_f16_i16_e64 v204, v204
	s_wait_loadcnt 0xb
	v_mul_u32_u24_e32 v198, 0x10001, v198
	v_and_b32_e32 v12, 0xf00, v12
	v_add_nc_u16 v208, 0xf800, v208
	v_lshrrev_b16 v206, 8, v206
	v_pack_b32_f16 v199, v200, v199
	v_pack_b32_f16 v200, v203, v204
	v_and_b32_e32 v203, 0xf00, v207
	v_lshrrev_b16 v204, 8, v208
	v_or_b32_e32 v12, v12, v206
	v_pk_mul_f16 v199, v199, v198
	v_pk_mul_f16 v198, v200, v198
	s_wait_loadcnt 0xa
	v_ashrrev_i32_e32 v196, v193, v196
	v_or_b32_e32 v200, v203, v204
	v_add_nc_u16 v12, 0xf800, v12
	v_pk_fma_f16 v199, v199, v197, v201
	v_pk_fma_f16 v11, v198, v197, v11
	v_and_b32_e32 v196, 0xf0f0f0f, v196
	v_add_nc_u16 v200, 0xf800, v200
	v_lshrrev_b32_e32 v201, 8, v12
	v_bfe_i32 v12, v12, 0, 8
	s_wait_loadcnt 0x9
	v_mul_u32_u24_e32 v195, 0x10001, v195
	v_lshlrev_b16 v204, 8, v196
	v_lshrrev_b32_e32 v203, 8, v200
	v_bfe_i32 v201, v201, 0, 8
	v_lshrrev_b32_e32 v206, 16, v196
	v_bfe_i32 v200, v200, 0, 8
	v_add_nc_u16 v204, 0xf800, v204
	v_bfe_i32 v203, v203, 0, 8
	v_cvt_f16_i16_e32 v12, v12
	v_cvt_f16_i16_e64 v201, v201
	v_lshlrev_b16 v207, 8, v206
	v_cvt_f16_i16_e64 v200, v200
	v_cvt_f16_i16_e64 v203, v203
	v_and_b32_e32 v196, 0xf00, v196
	v_lshrrev_b16 v204, 8, v204
	v_add_nc_u16 v207, 0xf800, v207
	v_pack_b32_f16 v12, v12, v201
	v_pack_b32_f16 v200, v200, v203
	v_and_b32_e32 v201, 0xf00, v206
	v_or_b32_e32 v196, v196, v204
	v_lshrrev_b16 v203, 8, v207
	v_pk_mul_f16 v12, v12, v195
	v_pk_mul_f16 v195, v200, v195
	s_wait_alu 0xfffd
	v_add_co_ci_u32_e64 v33, null, s35, v33, vcc_lo
	v_add_nc_u16 v196, 0xf800, v196
	v_or_b32_e32 v197, v201, v203
	v_pk_fma_f16 v12, v12, v13, v199
	s_wait_loadcnt 0x8
	v_ashrrev_i32_e32 v194, v193, v194
	v_pk_fma_f16 v11, v195, v13, v11
	v_lshrrev_b32_e32 v13, 8, v196
	v_add_nc_u16 v195, 0xf800, v197
	v_bfe_i32 v196, v196, 0, 8
	v_and_b32_e32 v194, 0xf0f0f0f, v194
	v_add_co_u32 v59, vcc_lo, v59, s37
	v_bfe_i32 v13, v13, 0, 8
	v_lshrrev_b32_e32 v198, 8, v195
	v_cvt_f16_i16_e64 v196, v196
	v_lshlrev_b16 v199, 8, v194
	v_lshrrev_b32_e32 v200, 16, v194
	v_cvt_f16_i16_e32 v13, v13
	s_wait_alu 0xfffd
	v_add_co_ci_u32_e64 v60, null, 0, v60, vcc_lo
	v_add_co_u32 v61, vcc_lo, v61, s36
	v_bfe_i32 v195, v195, 0, 8
	v_bfe_i32 v198, v198, 0, 8
	v_add_nc_u16 v199, 0xf800, v199
	v_lshlrev_b16 v201, 8, v200
	s_wait_loadcnt 0x7
	v_mul_u32_u24_e32 v41, 0x10001, v41
	v_pack_b32_f16 v13, v196, v13
	s_wait_alu 0xfffd
	v_add_co_ci_u32_e64 v62, null, 0, v62, vcc_lo
	v_add_co_u32 v63, vcc_lo, v63, s36
	s_wait_alu 0xfffd
	v_add_co_ci_u32_e64 v64, null, 0, v64, vcc_lo
	v_add_co_u32 v65, vcc_lo, v65, s37
	;; [unrolled: 3-line block ×3, first 2 shown]
	v_mul_u32_u24_e32 v197, 0x10001, v205
	v_cvt_f16_i16_e64 v195, v195
	v_cvt_f16_i16_e64 v198, v198
	v_and_b32_e32 v194, 0xf00, v194
	v_lshrrev_b16 v199, 8, v199
	v_add_nc_u16 v201, 0xf800, v201
	v_pk_mul_f16 v13, v13, v41
	s_wait_loadcnt 0x6
	v_ashrrev_i32_e32 v39, v193, v39
	s_wait_alu 0xfffd
	v_add_co_ci_u32_e64 v68, null, 0, v68, vcc_lo
	v_add_co_u32 v69, vcc_lo, v69, s37
	s_wait_alu 0xfffd
	v_add_co_ci_u32_e64 v70, null, 0, v70, vcc_lo
	v_add_co_u32 v71, vcc_lo, v71, s36
	v_pack_b32_f16 v195, v195, v198
	v_or_b32_e32 v194, v194, v199
	v_and_b32_e32 v196, 0xf00, v200
	v_lshrrev_b16 v198, 8, v201
	v_pk_fma_f16 v12, v13, v197, v12
	v_and_b32_e32 v13, 0xf0f0f0f, v39
	s_wait_alu 0xfffd
	v_add_co_ci_u32_e64 v72, null, 0, v72, vcc_lo
	v_add_co_u32 v73, vcc_lo, v73, s37
	s_wait_alu 0xfffd
	v_add_co_ci_u32_e64 v74, null, 0, v74, vcc_lo
	v_add_co_u32 v75, vcc_lo, v75, s37
	;; [unrolled: 3-line block ×3, first 2 shown]
	v_add_nc_u16 v194, 0xf800, v194
	v_pk_mul_f16 v41, v195, v41
	v_or_b32_e32 v195, v196, v198
	v_lshrrev_b32_e32 v196, 16, v13
	s_wait_alu 0xfffd
	v_add_co_ci_u32_e64 v78, null, 0, v78, vcc_lo
	v_add_co_u32 v79, vcc_lo, v79, s37
	s_wait_alu 0xfffd
	v_add_co_ci_u32_e64 v80, null, 0, v80, vcc_lo
	v_add_co_u32 v81, vcc_lo, v81, s37
	v_lshrrev_b32_e32 v39, 8, v194
	v_lshlrev_b16 v198, 8, v13
	v_lshlrev_b16 v199, 8, v196
	s_wait_alu 0xfffd
	v_add_co_ci_u32_e64 v82, null, 0, v82, vcc_lo
	v_add_co_u32 v83, vcc_lo, v83, s37
	s_wait_alu 0xfffd
	v_add_co_ci_u32_e64 v84, null, 0, v84, vcc_lo
	v_add_co_u32 v85, vcc_lo, v85, s37
	;; [unrolled: 3-line block ×3, first 2 shown]
	v_bfe_i32 v194, v194, 0, 8
	v_bfe_i32 v39, v39, 0, 8
	v_add_nc_u16 v198, 0xf800, v198
	v_add_nc_u16 v199, 0xf800, v199
	s_wait_alu 0xfffd
	v_add_co_ci_u32_e64 v88, null, 0, v88, vcc_lo
	v_add_co_u32 v89, vcc_lo, v89, s37
	s_wait_alu 0xfffd
	v_add_co_ci_u32_e64 v90, null, 0, v90, vcc_lo
	v_add_co_u32 v91, vcc_lo, v91, s37
	v_add_nc_u16 v195, 0xf800, v195
	v_cvt_f16_i16_e64 v194, v194
	v_cvt_f16_i16_e32 v39, v39
	v_and_b32_e32 v13, 0xf00, v13
	v_lshrrev_b16 v198, 8, v198
	v_and_b32_e32 v196, 0xf00, v196
	v_lshrrev_b16 v199, 8, v199
	s_wait_alu 0xfffd
	v_add_co_ci_u32_e64 v92, null, 0, v92, vcc_lo
	v_add_co_u32 v93, vcc_lo, v93, s37
	s_wait_alu 0xfffd
	v_add_co_ci_u32_e64 v94, null, 0, v94, vcc_lo
	v_add_co_u32 v95, vcc_lo, v95, s37
	;; [unrolled: 3-line block ×3, first 2 shown]
	v_lshrrev_b32_e32 v202, 16, v14
	v_and_b32_e32 v14, 0xffff, v14
	s_wait_loadcnt 0x5
	v_mul_u32_u24_e32 v42, 0x10001, v42
	v_lshrrev_b32_e32 v200, 8, v195
	v_or_b32_e32 v13, v13, v198
	v_pack_b32_f16 v39, v194, v39
	v_or_b32_e32 v194, v196, v199
	s_wait_alu 0xfffd
	v_add_co_ci_u32_e64 v98, null, 0, v98, vcc_lo
	v_add_co_u32 v99, vcc_lo, v99, s37
	s_wait_alu 0xfffd
	v_add_co_ci_u32_e64 v100, null, 0, v100, vcc_lo
	v_add_co_u32 v101, vcc_lo, v101, s37
	v_bfe_i32 v195, v195, 0, 8
	v_bfe_i32 v200, v200, 0, 8
	v_mul_u32_u24_e32 v14, 0x10001, v14
	v_add_nc_u16 v13, 0xf800, v13
	v_pk_mul_f16 v39, v39, v42
	v_add_nc_u16 v194, 0xf800, v194
	s_wait_alu 0xfffd
	v_add_co_ci_u32_e64 v102, null, 0, v102, vcc_lo
	v_add_co_u32 v103, vcc_lo, v103, s37
	s_wait_alu 0xfffd
	v_add_co_ci_u32_e64 v104, null, 0, v104, vcc_lo
	v_add_co_u32 v105, vcc_lo, v105, s37
	;; [unrolled: 3-line block ×3, first 2 shown]
	v_cvt_f16_i16_e64 v195, v195
	v_cvt_f16_i16_e64 v198, v200
	v_pk_fma_f16 v11, v41, v197, v11
	v_lshrrev_b32_e32 v41, 8, v13
	v_pk_fma_f16 v12, v39, v14, v12
	v_lshrrev_b32_e32 v39, 8, v194
	s_wait_alu 0xfffd
	v_add_co_ci_u32_e64 v108, null, 0, v108, vcc_lo
	v_add_co_u32 v109, vcc_lo, v109, s37
	s_wait_alu 0xfffd
	v_add_co_ci_u32_e64 v110, null, 0, v110, vcc_lo
	v_add_co_u32 v111, vcc_lo, v111, s37
	v_pack_b32_f16 v195, v195, v198
	v_bfe_i32 v13, v13, 0, 8
	v_bfe_i32 v41, v41, 0, 8
	;; [unrolled: 1-line block ×3, first 2 shown]
	s_wait_loadcnt 0x4
	v_ashrrev_i32_e32 v40, v193, v40
	v_bfe_i32 v39, v39, 0, 8
	s_wait_alu 0xfffd
	v_add_co_ci_u32_e64 v112, null, 0, v112, vcc_lo
	v_add_co_u32 v113, vcc_lo, v113, s37
	s_wait_alu 0xfffd
	v_add_co_ci_u32_e64 v114, null, 0, v114, vcc_lo
	v_add_co_u32 v115, vcc_lo, v115, s37
	;; [unrolled: 3-line block ×3, first 2 shown]
	v_pk_mul_f16 v42, v195, v42
	v_cvt_f16_i16_e32 v13, v13
	v_cvt_f16_i16_e32 v41, v41
	v_cvt_f16_i16_e64 v194, v194
	v_and_b32_e32 v40, 0xf0f0f0f, v40
	v_cvt_f16_i16_e32 v39, v39
	s_wait_alu 0xfffd
	v_add_co_ci_u32_e64 v118, null, 0, v118, vcc_lo
	v_add_co_u32 v119, vcc_lo, v119, s37
	s_wait_alu 0xfffd
	v_add_co_ci_u32_e64 v120, null, 0, v120, vcc_lo
	v_add_co_u32 v121, vcc_lo, v121, s37
	v_pk_fma_f16 v11, v42, v14, v11
	s_wait_loadcnt 0x3
	v_mul_u32_u24_e32 v14, 0x10001, v38
	v_pack_b32_f16 v13, v13, v41
	v_lshrrev_b32_e32 v38, 16, v40
	v_pack_b32_f16 v39, v194, v39
	v_lshlrev_b16 v41, 8, v40
	s_wait_alu 0xfffd
	v_add_co_ci_u32_e64 v122, null, 0, v122, vcc_lo
	v_add_co_u32 v123, vcc_lo, v123, s37
	s_wait_alu 0xfffd
	v_add_co_ci_u32_e64 v124, null, 0, v124, vcc_lo
	v_add_co_u32 v125, vcc_lo, v125, s37
	;; [unrolled: 3-line block ×3, first 2 shown]
	v_mul_u32_u24_e32 v42, 0x10001, v202
	v_pk_mul_f16 v13, v13, v14
	v_lshlrev_b16 v194, 8, v38
	v_pk_mul_f16 v14, v39, v14
	v_add_nc_u16 v39, 0xf800, v41
	s_wait_loadcnt 0x2
	v_ashrrev_i32_e32 v9, v193, v9
	s_wait_alu 0xfffd
	v_add_co_ci_u32_e64 v128, null, 0, v128, vcc_lo
	v_add_co_u32 v129, vcc_lo, v129, s37
	s_wait_alu 0xfffd
	v_add_co_ci_u32_e64 v130, null, 0, v130, vcc_lo
	v_add_co_u32 v131, vcc_lo, v131, s37
	v_pk_fma_f16 v12, v13, v42, v12
	v_add_nc_u16 v13, 0xf800, v194
	v_and_b32_e32 v40, 0xf00, v40
	v_lshrrev_b16 v39, 8, v39
	v_and_b32_e32 v9, 0xf0f0f0f, v9
	s_wait_alu 0xfffd
	v_add_co_ci_u32_e64 v132, null, 0, v132, vcc_lo
	v_add_co_u32 v133, vcc_lo, v133, s37
	s_wait_alu 0xfffd
	v_add_co_ci_u32_e64 v134, null, 0, v134, vcc_lo
	v_add_co_u32 v135, vcc_lo, v135, s37
	;; [unrolled: 3-line block ×3, first 2 shown]
	v_and_b32_e32 v38, 0xf00, v38
	v_lshrrev_b16 v13, 8, v13
	v_pk_fma_f16 v11, v14, v42, v11
	v_or_b32_e32 v14, v40, v39
	v_lshrrev_b32_e32 v39, 16, v9
	s_wait_alu 0xfffd
	v_add_co_ci_u32_e64 v138, null, 0, v138, vcc_lo
	v_add_co_u32 v139, vcc_lo, v139, s37
	s_wait_alu 0xfffd
	v_add_co_ci_u32_e64 v140, null, 0, v140, vcc_lo
	v_add_co_u32 v141, vcc_lo, v141, s37
	v_or_b32_e32 v13, v38, v13
	v_lshlrev_b16 v38, 8, v9
	v_lshlrev_b16 v40, 8, v39
	s_wait_alu 0xfffd
	v_add_co_ci_u32_e64 v142, null, 0, v142, vcc_lo
	v_add_co_u32 v143, vcc_lo, v143, s37
	s_wait_alu 0xfffd
	v_add_co_ci_u32_e64 v144, null, 0, v144, vcc_lo
	v_add_co_u32 v145, vcc_lo, v145, s37
	;; [unrolled: 3-line block ×3, first 2 shown]
	v_add_nc_u16 v14, 0xf800, v14
	v_add_nc_u16 v38, 0xf800, v38
	;; [unrolled: 1-line block ×3, first 2 shown]
	s_wait_alu 0xfffd
	v_add_co_ci_u32_e64 v148, null, 0, v148, vcc_lo
	v_add_co_u32 v149, vcc_lo, v149, s37
	s_wait_alu 0xfffd
	v_add_co_ci_u32_e64 v150, null, 0, v150, vcc_lo
	v_add_co_u32 v151, vcc_lo, v151, s37
	v_lshrrev_b32_e32 v41, 8, v14
	v_and_b32_e32 v9, 0xf00, v9
	v_lshrrev_b16 v38, 8, v38
	v_and_b32_e32 v39, 0xf00, v39
	v_lshrrev_b16 v40, 8, v40
	s_wait_alu 0xfffd
	v_add_co_ci_u32_e64 v152, null, 0, v152, vcc_lo
	v_add_co_u32 v153, vcc_lo, v153, s37
	s_wait_alu 0xfffd
	v_add_co_ci_u32_e64 v154, null, 0, v154, vcc_lo
	v_add_co_u32 v155, vcc_lo, v155, s37
	;; [unrolled: 3-line block ×3, first 2 shown]
	v_add_nc_u16 v13, 0xf800, v13
	v_bfe_i32 v14, v14, 0, 8
	v_bfe_i32 v41, v41, 0, 8
	v_or_b32_e32 v9, v9, v38
	v_or_b32_e32 v38, v39, v40
	s_wait_alu 0xfffd
	v_add_co_ci_u32_e64 v158, null, 0, v158, vcc_lo
	v_add_co_u32 v159, vcc_lo, v159, s37
	s_wait_alu 0xfffd
	v_add_co_ci_u32_e64 v160, null, 0, v160, vcc_lo
	v_add_co_u32 v161, vcc_lo, v161, s37
	v_cvt_f16_i16_e32 v14, v14
	v_lshrrev_b32_e32 v39, 8, v13
	v_cvt_f16_i16_e32 v40, v41
	v_add_nc_u16 v9, 0xf800, v9
	v_add_nc_u16 v38, 0xf800, v38
	s_wait_alu 0xfffd
	v_add_co_ci_u32_e64 v162, null, 0, v162, vcc_lo
	v_add_co_u32 v163, vcc_lo, v163, s37
	s_wait_alu 0xfffd
	v_add_co_ci_u32_e64 v164, null, 0, v164, vcc_lo
	v_add_co_u32 v165, vcc_lo, v165, s37
	;; [unrolled: 3-line block ×3, first 2 shown]
	v_bfe_i32 v13, v13, 0, 8
	v_bfe_i32 v39, v39, 0, 8
	v_pack_b32_f16 v14, v14, v40
	v_lshrrev_b32_e32 v40, 8, v9
	v_lshrrev_b32_e32 v41, 8, v38
	s_wait_alu 0xfffd
	v_add_co_ci_u32_e64 v168, null, 0, v168, vcc_lo
	v_add_co_u32 v169, vcc_lo, v169, s37
	s_wait_alu 0xfffd
	v_add_co_ci_u32_e64 v170, null, 0, v170, vcc_lo
	v_add_co_u32 v171, vcc_lo, v171, s37
	v_cvt_f16_i16_e32 v13, v13
	v_cvt_f16_i16_e32 v39, v39
	v_bfe_i32 v9, v9, 0, 8
	v_bfe_i32 v40, v40, 0, 8
	v_bfe_i32 v38, v38, 0, 8
	v_bfe_i32 v41, v41, 0, 8
	s_wait_alu 0xfffd
	v_add_co_ci_u32_e64 v172, null, 0, v172, vcc_lo
	v_add_co_u32 v173, vcc_lo, v173, s37
	s_wait_alu 0xfffd
	v_add_co_ci_u32_e64 v174, null, 0, v174, vcc_lo
	v_add_co_u32 v175, vcc_lo, v175, s37
	;; [unrolled: 3-line block ×3, first 2 shown]
	v_lshrrev_b32_e32 v10, 16, v15
	v_and_b32_e32 v15, 0xffff, v15
	s_wait_loadcnt 0x1
	v_mul_u32_u24_e32 v37, 0x10001, v37
	v_pack_b32_f16 v13, v13, v39
	v_cvt_f16_i16_e32 v9, v9
	v_cvt_f16_i16_e32 v39, v40
	;; [unrolled: 1-line block ×4, first 2 shown]
	s_wait_alu 0xfffd
	v_add_co_ci_u32_e64 v178, null, 0, v178, vcc_lo
	v_add_co_u32 v179, vcc_lo, v179, s37
	s_wait_alu 0xfffd
	v_add_co_ci_u32_e64 v180, null, 0, v180, vcc_lo
	v_add_co_u32 v181, vcc_lo, v181, s37
	v_mul_u32_u24_e32 v15, 0x10001, v15
	v_pk_mul_f16 v14, v14, v37
	v_pk_mul_f16 v13, v13, v37
	s_wait_loadcnt 0x0
	v_mul_u32_u24_e32 v8, 0x10001, v8
	v_pack_b32_f16 v9, v9, v39
	v_pack_b32_f16 v37, v38, v40
	s_wait_alu 0xfffd
	v_add_co_ci_u32_e64 v182, null, 0, v182, vcc_lo
	v_add_co_u32 v183, vcc_lo, v183, s37
	s_wait_alu 0xfffd
	v_add_co_ci_u32_e64 v184, null, 0, v184, vcc_lo
	v_add_co_u32 v185, vcc_lo, v185, s37
	;; [unrolled: 3-line block ×3, first 2 shown]
	v_pk_fma_f16 v12, v14, v15, v12
	v_pk_fma_f16 v11, v13, v15, v11
	v_mul_u32_u24_e32 v10, 0x10001, v10
	v_pk_mul_f16 v9, v9, v8
	v_pk_mul_f16 v8, v37, v8
	s_wait_alu 0xfffd
	v_add_co_ci_u32_e64 v188, null, 0, v188, vcc_lo
	v_add_co_u32 v189, vcc_lo, v189, s37
	s_wait_alu 0xfffd
	v_add_co_ci_u32_e64 v190, null, 0, v190, vcc_lo
	v_add_co_u32 v191, vcc_lo, v191, s37
	v_pk_fma_f16 v195, v9, v10, v12
	v_pk_fma_f16 v194, v8, v10, v11
	s_wait_alu 0xfffd
	v_add_co_ci_u32_e64 v192, null, 0, v192, vcc_lo
	s_cbranch_scc1 .LBB14_18
; %bb.16:                               ;   in Loop: Header=BB14_11 Depth=1
	v_mov_b32_e32 v196, v34
	s_branch .LBB14_11
.LBB14_17:
	v_dual_mov_b32 v195, 0 :: v_dual_mov_b32 v34, 0xfeffffff
	v_mov_b32_e32 v194, 0
.LBB14_18:
	v_or_b32_e32 v0, s31, v43
	s_cmp_lg_u64 s[16:17], 0
	s_cselect_b32 s3, -1, 0
	s_delay_alu instid0(VALU_DEP_1)
	v_cmp_eq_u32_e32 vcc_lo, 0, v0
	s_wait_alu 0xfffe
	s_and_b32 s4, vcc_lo, s3
	s_wait_alu 0xfffe
	s_and_saveexec_b32 s3, s4
	s_cbranch_execz .LBB14_20
; %bb.19:
	s_lshl_b64 s[4:5], s[28:29], 2
	v_max_num_f32_e32 v0, v34, v34
	s_wait_alu 0xfffe
	s_add_nc_u64 s[4:5], s[16:17], s[4:5]
	s_load_b32 s4, s[4:5], 0x0
	s_wait_kmcnt 0x0
	v_max_num_f32_e64 v1, s4, s4
	s_delay_alu instid0(VALU_DEP_1) | instskip(NEXT) | instid1(VALU_DEP_1)
	v_max_num_f32_e32 v0, v0, v1
	v_sub_f32_e32 v1, v34, v0
	s_delay_alu instid0(VALU_DEP_1) | instskip(NEXT) | instid1(VALU_DEP_1)
	v_mul_f32_e32 v3, 0x3fb8aa3b, v1
	v_rndne_f32_e32 v6, v3
	v_fma_f32 v5, 0x3fb8aa3b, v1, -v3
	s_delay_alu instid0(VALU_DEP_2) | instskip(SKIP_1) | instid1(VALU_DEP_2)
	v_dual_sub_f32 v3, v3, v6 :: v_dual_sub_f32 v2, s4, v0
	v_mov_b32_e32 v34, v0
	v_mul_f32_e32 v4, 0x3fb8aa3b, v2
	s_delay_alu instid0(VALU_DEP_4) | instskip(SKIP_1) | instid1(VALU_DEP_3)
	v_fmac_f32_e32 v5, 0x32a5705f, v1
	v_cmp_ngt_f32_e32 vcc_lo, 0xc2ce8ed0, v1
	v_fma_f32 v7, 0x3fb8aa3b, v2, -v4
	v_rndne_f32_e32 v8, v4
	s_delay_alu instid0(VALU_DEP_1) | instskip(SKIP_3) | instid1(VALU_DEP_4)
	v_dual_fmac_f32 v7, 0x32a5705f, v2 :: v_dual_sub_f32 v4, v4, v8
	v_add_f32_e32 v3, v3, v5
	v_cvt_i32_f32_e32 v5, v6
	v_cvt_i32_f32_e32 v6, v8
	v_add_f32_e32 v4, v4, v7
	s_delay_alu instid0(VALU_DEP_4) | instskip(NEXT) | instid1(VALU_DEP_1)
	v_exp_f32_e32 v3, v3
	v_exp_f32_e32 v4, v4
	s_delay_alu instid0(TRANS32_DEP_2) | instskip(NEXT) | instid1(TRANS32_DEP_1)
	v_ldexp_f32 v3, v3, v5
	v_ldexp_f32 v4, v4, v6
	s_wait_alu 0xfffd
	s_delay_alu instid0(VALU_DEP_2)
	v_cndmask_b32_e32 v3, 0, v3, vcc_lo
	v_cmp_ngt_f32_e32 vcc_lo, 0xc2ce8ed0, v2
	s_wait_alu 0xfffd
	v_cndmask_b32_e32 v4, 0, v4, vcc_lo
	v_cmp_nlt_f32_e32 vcc_lo, 0x42b17218, v1
	s_wait_alu 0xfffd
	v_cndmask_b32_e32 v1, 0x7f800000, v3, vcc_lo
	v_cmp_nlt_f32_e32 vcc_lo, 0x42b17218, v2
	s_wait_alu 0xfffd
	v_cndmask_b32_e32 v2, 0x7f800000, v4, vcc_lo
	v_cmp_eq_u32_e32 vcc_lo, 0, v44
	s_wait_alu 0xfffd
	s_delay_alu instid0(VALU_DEP_2) | instskip(NEXT) | instid1(VALU_DEP_1)
	v_cndmask_b32_e32 v2, 0, v2, vcc_lo
	v_fmac_f32_e32 v2, v50, v1
	s_delay_alu instid0(VALU_DEP_1) | instskip(SKIP_1) | instid1(VALU_DEP_1)
	v_mov_b32_e32 v50, v2
	v_cvt_f16_f32_e32 v3, v1
	v_and_b32_e32 v3, 0xffff, v3
	s_delay_alu instid0(VALU_DEP_1) | instskip(NEXT) | instid1(VALU_DEP_1)
	v_mul_u32_u24_e32 v1, 0x10001, v3
	v_pk_mul_f16 v195, v195, v1
	v_pk_mul_f16 v194, v194, v1
.LBB14_20:
	s_wait_alu 0xfffe
	s_or_b32 exec_lo, exec_lo, s3
	s_and_saveexec_b32 s3, s2
; %bb.21:
	v_dual_mov_b32 v0, 0xfeffffff :: v_dual_mov_b32 v1, 0
	v_add_nc_u32_e32 v2, 0x400, v49
	ds_store_2addr_b32 v2, v0, v1 offset1:32
; %bb.22:
	s_wait_alu 0xfffe
	s_or_b32 exec_lo, exec_lo, s3
	v_cmp_eq_u32_e32 vcc_lo, 0, v44
	v_lshlrev_b32_e32 v2, 2, v43
	s_wait_loadcnt_dscnt 0x0
	s_barrier_signal -1
	s_barrier_wait -1
	global_inv scope:SCOPE_SE
	s_and_saveexec_b32 s2, vcc_lo
; %bb.23:
	ds_store_b32 v2, v34 offset:1024
; %bb.24:
	s_wait_alu 0xfffe
	s_or_b32 exec_lo, exec_lo, s2
	s_wait_loadcnt_dscnt 0x0
	s_barrier_signal -1
	s_barrier_wait -1
	global_inv scope:SCOPE_SE
	ds_load_b32 v0, v49 offset:1024
	v_xor_b32_e32 v1, 16, v45
	v_xor_b32_e32 v4, 8, v45
	s_load_b32 s1, s[0:1], 0xd4
	v_lshlrev_b32_e32 v11, 3, v44
	s_delay_alu instid0(VALU_DEP_3) | instskip(NEXT) | instid1(VALU_DEP_2)
	v_cmp_gt_i32_e64 s2, 32, v1
	v_lshl_add_u32 v11, v43, 8, v11
	s_wait_alu 0xf1ff
	s_delay_alu instid0(VALU_DEP_2) | instskip(SKIP_1) | instid1(VALU_DEP_2)
	v_cndmask_b32_e64 v1, v45, v1, s2
	v_cmp_gt_i32_e64 s2, 32, v4
	v_lshlrev_b32_e32 v1, 2, v1
	s_wait_alu 0xf1ff
	s_delay_alu instid0(VALU_DEP_2) | instskip(SKIP_4) | instid1(VALU_DEP_1)
	v_cndmask_b32_e64 v4, v45, v4, s2
	s_wait_dscnt 0x0
	ds_bpermute_b32 v3, v1, v0
	s_wait_dscnt 0x0
	v_dual_max_num_f32 v0, v0, v0 :: v_dual_max_num_f32 v5, v3, v3
	v_dual_max_num_f32 v0, v0, v5 :: v_dual_lshlrev_b32 v3, 2, v4
	v_xor_b32_e32 v5, 4, v45
	ds_bpermute_b32 v4, v3, v0
	v_cmp_gt_i32_e64 s2, 32, v5
	s_wait_alu 0xf1ff
	s_delay_alu instid0(VALU_DEP_1) | instskip(SKIP_2) | instid1(VALU_DEP_2)
	v_cndmask_b32_e64 v5, v45, v5, s2
	s_wait_dscnt 0x0
	v_max_num_f32_e32 v6, v4, v4
	v_lshlrev_b32_e32 v4, 2, v5
	s_delay_alu instid0(VALU_DEP_2) | instskip(SKIP_4) | instid1(VALU_DEP_1)
	v_max_num_f32_e32 v0, v0, v6
	v_xor_b32_e32 v6, 2, v45
	ds_bpermute_b32 v5, v4, v0
	v_cmp_gt_i32_e64 s2, 32, v6
	s_wait_alu 0xf1ff
	v_cndmask_b32_e64 v6, v45, v6, s2
	s_wait_dscnt 0x0
	v_max_num_f32_e32 v7, v5, v5
	s_delay_alu instid0(VALU_DEP_1) | instskip(SKIP_4) | instid1(VALU_DEP_1)
	v_dual_max_num_f32 v0, v0, v7 :: v_dual_lshlrev_b32 v5, 2, v6
	v_xor_b32_e32 v7, 1, v45
	ds_bpermute_b32 v6, v5, v0
	v_cmp_gt_i32_e64 s2, 32, v7
	s_wait_alu 0xf1ff
	v_cndmask_b32_e64 v7, v45, v7, s2
	s_wait_dscnt 0x0
	v_max_num_f32_e32 v8, v6, v6
	s_delay_alu instid0(VALU_DEP_2) | instskip(NEXT) | instid1(VALU_DEP_2)
	v_lshlrev_b32_e32 v6, 2, v7
	v_max_num_f32_e32 v0, v0, v8
	ds_bpermute_b32 v7, v6, v0
	s_wait_dscnt 0x0
	v_max_num_f32_e32 v7, v7, v7
	s_delay_alu instid0(VALU_DEP_1) | instskip(NEXT) | instid1(VALU_DEP_1)
	v_max_num_f32_e32 v0, v0, v7
	v_sub_f32_e32 v7, v34, v0
	s_delay_alu instid0(VALU_DEP_1) | instskip(SKIP_1) | instid1(VALU_DEP_2)
	v_mul_f32_e32 v8, 0x3fb8aa3b, v7
	v_cmp_ngt_f32_e64 s2, 0xc2ce8ed0, v7
	v_fma_f32 v9, 0x3fb8aa3b, v7, -v8
	v_rndne_f32_e32 v10, v8
	s_delay_alu instid0(VALU_DEP_1) | instskip(NEXT) | instid1(VALU_DEP_1)
	v_dual_fmamk_f32 v9, v7, 0x32a5705f, v9 :: v_dual_sub_f32 v8, v8, v10
	v_add_f32_e32 v8, v8, v9
	v_cvt_i32_f32_e32 v9, v10
	s_delay_alu instid0(VALU_DEP_2) | instskip(NEXT) | instid1(TRANS32_DEP_1)
	v_exp_f32_e32 v8, v8
	v_ldexp_f32 v8, v8, v9
	s_wait_alu 0xf1ff
	s_delay_alu instid0(VALU_DEP_1) | instskip(SKIP_2) | instid1(VALU_DEP_1)
	v_cndmask_b32_e64 v8, 0, v8, s2
	v_cmp_nlt_f32_e64 s2, 0x42b17218, v7
	s_wait_alu 0xf1ff
	v_cndmask_b32_e64 v8, 0x7f800000, v8, s2
	s_delay_alu instid0(VALU_DEP_1)
	v_mul_f32_e32 v7, v50, v8
	ds_bpermute_b32 v7, v1, v7
	s_wait_dscnt 0x0
	v_fmac_f32_e32 v7, v50, v8
	ds_bpermute_b32 v9, v3, v7
	s_wait_dscnt 0x0
	v_add_f32_e32 v7, v7, v9
	ds_bpermute_b32 v9, v4, v7
	s_wait_dscnt 0x0
	v_add_f32_e32 v7, v7, v9
	;; [unrolled: 3-line block ×3, first 2 shown]
	v_cvt_f16_f32_e32 v9, v8
	ds_bpermute_b32 v8, v6, v7
	v_and_b32_e32 v9, 0xffff, v9
	s_delay_alu instid0(VALU_DEP_1) | instskip(NEXT) | instid1(VALU_DEP_1)
	v_mul_u32_u24_e32 v10, 0x10001, v9
	v_pk_mul_f16 v9, v195, v10
	v_pk_mul_f16 v10, v194, v10
	ds_store_b64 v11, v[9:10]
	s_and_saveexec_b32 s0, vcc_lo
	s_cbranch_execz .LBB14_26
; %bb.25:
	s_wait_dscnt 0x1
	v_add_f32_e32 v7, v7, v8
	ds_store_b32 v2, v7 offset:1152
.LBB14_26:
	s_or_b32 exec_lo, exec_lo, s0
	s_wait_loadcnt_dscnt 0x0
	s_barrier_signal -1
	s_barrier_wait -1
	global_inv scope:SCOPE_SE
	ds_load_b32 v2, v49 offset:1152
	ds_load_u16 v7, v48 offset:768
	s_mul_i32 s0, s26, s24
	s_mov_b32 s3, 0
	s_add_co_i32 s0, s0, ttmp9
	s_delay_alu instid0(SALU_CYCLE_1) | instskip(NEXT) | instid1(SALU_CYCLE_1)
	s_mul_i32 s0, s0, s25
	s_add_co_i32 s0, s0, s28
	s_wait_kmcnt 0x0
	s_mul_i32 s0, s1, s0
	s_delay_alu instid0(SALU_CYCLE_1)
	s_add_co_i32 s2, s0, s31
	s_cmp_eq_u32 s1, 1
	s_wait_dscnt 0x1
	ds_bpermute_b32 v1, v1, v2
	s_wait_dscnt 0x0
	v_add_f32_e32 v1, v2, v1
	ds_bpermute_b32 v2, v3, v1
	s_wait_dscnt 0x0
	v_add_f32_e32 v1, v1, v2
	ds_bpermute_b32 v2, v4, v1
	s_wait_dscnt 0x0
	v_add_f32_e32 v1, v1, v2
	ds_bpermute_b32 v2, v5, v1
	ds_load_u16 v3, v48
	ds_load_u16 v4, v48 offset:256
	ds_load_u16 v5, v48 offset:512
	s_wait_dscnt 0x1
	v_cvt_f32_f16_e32 v4, v4
	v_add_f32_e32 v1, v1, v2
	v_cvt_f32_f16_e32 v2, v3
	s_wait_dscnt 0x0
	v_cvt_f32_f16_e32 v5, v5
	ds_bpermute_b32 v3, v6, v1
	v_add_f32_e32 v2, 0, v2
	s_delay_alu instid0(VALU_DEP_1) | instskip(SKIP_1) | instid1(VALU_DEP_2)
	v_add_f32_e32 v2, v2, v4
	v_cvt_f32_f16_e32 v4, v7
	v_add_f32_e32 v2, v2, v5
	s_wait_dscnt 0x0
	s_delay_alu instid0(VALU_DEP_1) | instskip(NEXT) | instid1(VALU_DEP_1)
	v_dual_add_f32 v6, v2, v4 :: v_dual_add_f32 v1, v1, v3
	v_div_scale_f32 v2, null, v1, v1, v6
	s_delay_alu instid0(VALU_DEP_1) | instskip(NEXT) | instid1(TRANS32_DEP_1)
	v_rcp_f32_e32 v4, v2
	v_fma_f32 v3, -v2, v4, 1.0
	s_delay_alu instid0(VALU_DEP_1) | instskip(SKIP_1) | instid1(VALU_DEP_1)
	v_fmac_f32_e32 v4, v3, v4
	v_div_scale_f32 v5, vcc_lo, v6, v1, v6
	v_mul_f32_e32 v7, v5, v4
	s_delay_alu instid0(VALU_DEP_1) | instskip(NEXT) | instid1(VALU_DEP_1)
	v_fma_f32 v3, -v2, v7, v5
	v_fmac_f32_e32 v7, v3, v4
	v_mov_b32_e32 v3, 0
	s_delay_alu instid0(VALU_DEP_2) | instskip(SKIP_3) | instid1(VALU_DEP_2)
	v_fma_f32 v5, -v2, v7, v5
	s_wait_alu 0xfffe
	v_lshl_or_b32 v2, s2, 7, v47
	s_wait_alu 0xfffd
	v_div_fmas_f32 v7, v5, v4, v7
	s_delay_alu instid0(VALU_DEP_2) | instskip(SKIP_1) | instid1(VALU_DEP_3)
	v_lshlrev_b64_e32 v[4:5], 2, v[2:3]
	v_cmp_eq_u32_e32 vcc_lo, 0, v47
	v_div_fixup_f32 v2, v7, v1, v6
	s_delay_alu instid0(VALU_DEP_3) | instskip(NEXT) | instid1(VALU_DEP_1)
	v_add_co_u32 v4, s0, s20, v4
	v_add_co_ci_u32_e64 v5, null, s21, v5, s0
	s_cselect_b32 s0, -1, 0
	s_cmp_lg_u32 s1, 1
	s_wait_alu 0xfffe
	v_cndmask_b32_e64 v2, v6, v2, s0
	s_cselect_b32 s0, -1, 0
	s_wait_alu 0xfffe
	s_and_b32 s0, vcc_lo, s0
	global_store_b32 v[4:5], v2, off
	s_wait_alu 0xfffe
	s_and_saveexec_b32 s1, s0
	s_cbranch_execz .LBB14_28
; %bb.27:
	s_lshl_b64 s[0:1], s[2:3], 3
	s_wait_alu 0xfffe
	s_add_nc_u64 s[0:1], s[22:23], s[0:1]
	global_store_b64 v3, v[0:1], s[0:1]
.LBB14_28:
	s_nop 0
	s_sendmsg sendmsg(MSG_DEALLOC_VGPRS)
	s_endpgm
	.section	.rodata,"a",@progbits
	.p2align	6, 0x0
	.amdhsa_kernel _ZL18flash_attn_ext_vecILi128ELi1EL9ggml_type3ELS0_2ELb0EEvPKcS2_S2_S2_S2_PKiPfP15HIP_vector_typeIfLj2EEffffjfiS6_IjLj3EEiiiiiiiiiiiliiliiiiil
		.amdhsa_group_segment_fixed_size 1280
		.amdhsa_private_segment_fixed_size 0
		.amdhsa_kernarg_size 464
		.amdhsa_user_sgpr_count 2
		.amdhsa_user_sgpr_dispatch_ptr 0
		.amdhsa_user_sgpr_queue_ptr 0
		.amdhsa_user_sgpr_kernarg_segment_ptr 1
		.amdhsa_user_sgpr_dispatch_id 0
		.amdhsa_user_sgpr_private_segment_size 0
		.amdhsa_wavefront_size32 1
		.amdhsa_uses_dynamic_stack 0
		.amdhsa_enable_private_segment 0
		.amdhsa_system_sgpr_workgroup_id_x 1
		.amdhsa_system_sgpr_workgroup_id_y 1
		.amdhsa_system_sgpr_workgroup_id_z 1
		.amdhsa_system_sgpr_workgroup_info 0
		.amdhsa_system_vgpr_workitem_id 1
		.amdhsa_next_free_vgpr 222
		.amdhsa_next_free_sgpr 55
		.amdhsa_reserve_vcc 1
		.amdhsa_float_round_mode_32 0
		.amdhsa_float_round_mode_16_64 0
		.amdhsa_float_denorm_mode_32 3
		.amdhsa_float_denorm_mode_16_64 3
		.amdhsa_fp16_overflow 0
		.amdhsa_workgroup_processor_mode 1
		.amdhsa_memory_ordered 1
		.amdhsa_forward_progress 1
		.amdhsa_inst_pref_size 188
		.amdhsa_round_robin_scheduling 0
		.amdhsa_exception_fp_ieee_invalid_op 0
		.amdhsa_exception_fp_denorm_src 0
		.amdhsa_exception_fp_ieee_div_zero 0
		.amdhsa_exception_fp_ieee_overflow 0
		.amdhsa_exception_fp_ieee_underflow 0
		.amdhsa_exception_fp_ieee_inexact 0
		.amdhsa_exception_int_div_zero 0
	.end_amdhsa_kernel
	.section	.text._ZL18flash_attn_ext_vecILi128ELi1EL9ggml_type3ELS0_2ELb0EEvPKcS2_S2_S2_S2_PKiPfP15HIP_vector_typeIfLj2EEffffjfiS6_IjLj3EEiiiiiiiiiiiliiliiiiil,"axG",@progbits,_ZL18flash_attn_ext_vecILi128ELi1EL9ggml_type3ELS0_2ELb0EEvPKcS2_S2_S2_S2_PKiPfP15HIP_vector_typeIfLj2EEffffjfiS6_IjLj3EEiiiiiiiiiiiliiliiiiil,comdat
.Lfunc_end14:
	.size	_ZL18flash_attn_ext_vecILi128ELi1EL9ggml_type3ELS0_2ELb0EEvPKcS2_S2_S2_S2_PKiPfP15HIP_vector_typeIfLj2EEffffjfiS6_IjLj3EEiiiiiiiiiiiliiliiiiil, .Lfunc_end14-_ZL18flash_attn_ext_vecILi128ELi1EL9ggml_type3ELS0_2ELb0EEvPKcS2_S2_S2_S2_PKiPfP15HIP_vector_typeIfLj2EEffffjfiS6_IjLj3EEiiiiiiiiiiiliiliiiiil
                                        ; -- End function
	.set _ZL18flash_attn_ext_vecILi128ELi1EL9ggml_type3ELS0_2ELb0EEvPKcS2_S2_S2_S2_PKiPfP15HIP_vector_typeIfLj2EEffffjfiS6_IjLj3EEiiiiiiiiiiiliiliiiiil.num_vgpr, 222
	.set _ZL18flash_attn_ext_vecILi128ELi1EL9ggml_type3ELS0_2ELb0EEvPKcS2_S2_S2_S2_PKiPfP15HIP_vector_typeIfLj2EEffffjfiS6_IjLj3EEiiiiiiiiiiiliiliiiiil.num_agpr, 0
	.set _ZL18flash_attn_ext_vecILi128ELi1EL9ggml_type3ELS0_2ELb0EEvPKcS2_S2_S2_S2_PKiPfP15HIP_vector_typeIfLj2EEffffjfiS6_IjLj3EEiiiiiiiiiiiliiliiiiil.numbered_sgpr, 55
	.set _ZL18flash_attn_ext_vecILi128ELi1EL9ggml_type3ELS0_2ELb0EEvPKcS2_S2_S2_S2_PKiPfP15HIP_vector_typeIfLj2EEffffjfiS6_IjLj3EEiiiiiiiiiiiliiliiiiil.num_named_barrier, 0
	.set _ZL18flash_attn_ext_vecILi128ELi1EL9ggml_type3ELS0_2ELb0EEvPKcS2_S2_S2_S2_PKiPfP15HIP_vector_typeIfLj2EEffffjfiS6_IjLj3EEiiiiiiiiiiiliiliiiiil.private_seg_size, 0
	.set _ZL18flash_attn_ext_vecILi128ELi1EL9ggml_type3ELS0_2ELb0EEvPKcS2_S2_S2_S2_PKiPfP15HIP_vector_typeIfLj2EEffffjfiS6_IjLj3EEiiiiiiiiiiiliiliiiiil.uses_vcc, 1
	.set _ZL18flash_attn_ext_vecILi128ELi1EL9ggml_type3ELS0_2ELb0EEvPKcS2_S2_S2_S2_PKiPfP15HIP_vector_typeIfLj2EEffffjfiS6_IjLj3EEiiiiiiiiiiiliiliiiiil.uses_flat_scratch, 0
	.set _ZL18flash_attn_ext_vecILi128ELi1EL9ggml_type3ELS0_2ELb0EEvPKcS2_S2_S2_S2_PKiPfP15HIP_vector_typeIfLj2EEffffjfiS6_IjLj3EEiiiiiiiiiiiliiliiiiil.has_dyn_sized_stack, 0
	.set _ZL18flash_attn_ext_vecILi128ELi1EL9ggml_type3ELS0_2ELb0EEvPKcS2_S2_S2_S2_PKiPfP15HIP_vector_typeIfLj2EEffffjfiS6_IjLj3EEiiiiiiiiiiiliiliiiiil.has_recursion, 0
	.set _ZL18flash_attn_ext_vecILi128ELi1EL9ggml_type3ELS0_2ELb0EEvPKcS2_S2_S2_S2_PKiPfP15HIP_vector_typeIfLj2EEffffjfiS6_IjLj3EEiiiiiiiiiiiliiliiiiil.has_indirect_call, 0
	.section	.AMDGPU.csdata,"",@progbits
; Kernel info:
; codeLenInByte = 23984
; TotalNumSgprs: 57
; NumVgprs: 222
; ScratchSize: 0
; MemoryBound: 0
; FloatMode: 240
; IeeeMode: 1
; LDSByteSize: 1280 bytes/workgroup (compile time only)
; SGPRBlocks: 0
; VGPRBlocks: 27
; NumSGPRsForWavesPerEU: 57
; NumVGPRsForWavesPerEU: 222
; Occupancy: 6
; WaveLimiterHint : 0
; COMPUTE_PGM_RSRC2:SCRATCH_EN: 0
; COMPUTE_PGM_RSRC2:USER_SGPR: 2
; COMPUTE_PGM_RSRC2:TRAP_HANDLER: 0
; COMPUTE_PGM_RSRC2:TGID_X_EN: 1
; COMPUTE_PGM_RSRC2:TGID_Y_EN: 1
; COMPUTE_PGM_RSRC2:TGID_Z_EN: 1
; COMPUTE_PGM_RSRC2:TIDIG_COMP_CNT: 1
	.section	.text._ZL33flash_attn_stream_k_fixup_uniformILi128ELi1ELi1EEvPfPK15HIP_vector_typeIfLj2EEiiiiiiS1_IjLj3EES5_S5_,"axG",@progbits,_ZL33flash_attn_stream_k_fixup_uniformILi128ELi1ELi1EEvPfPK15HIP_vector_typeIfLj2EEiiiiiiS1_IjLj3EES5_S5_,comdat
	.globl	_ZL33flash_attn_stream_k_fixup_uniformILi128ELi1ELi1EEvPfPK15HIP_vector_typeIfLj2EEiiiiiiS1_IjLj3EES5_S5_ ; -- Begin function _ZL33flash_attn_stream_k_fixup_uniformILi128ELi1ELi1EEvPfPK15HIP_vector_typeIfLj2EEiiiiiiS1_IjLj3EES5_S5_
	.p2align	8
	.type	_ZL33flash_attn_stream_k_fixup_uniformILi128ELi1ELi1EEvPfPK15HIP_vector_typeIfLj2EEiiiiiiS1_IjLj3EES5_S5_,@function
_ZL33flash_attn_stream_k_fixup_uniformILi128ELi1ELi1EEvPfPK15HIP_vector_typeIfLj2EEiiiiiiS1_IjLj3EES5_S5_: ; @_ZL33flash_attn_stream_k_fixup_uniformILi128ELi1ELi1EEvPfPK15HIP_vector_typeIfLj2EEiiiiiiS1_IjLj3EES5_S5_
; %bb.0:
	s_clause 0x1
	s_load_b256 s[4:11], s[0:1], 0x1c
	s_load_b128 s[16:19], s[0:1], 0x3c
	s_wait_kmcnt 0x0
	s_mul_hi_u32 s2, s7, ttmp9
	s_and_b32 s7, ttmp7, 0xffff
	s_add_co_i32 s2, ttmp9, s2
	s_delay_alu instid0(SALU_CYCLE_1) | instskip(NEXT) | instid1(SALU_CYCLE_1)
	s_lshr_b32 s12, s2, s8
	s_mul_i32 s2, s12, s9
	s_load_b64 s[8:9], s[0:1], 0x10
	s_sub_co_i32 s2, ttmp9, s2
	s_delay_alu instid0(SALU_CYCLE_1) | instskip(SKIP_2) | instid1(SALU_CYCLE_1)
	s_mul_hi_u32 s3, s2, s10
	s_lshr_b32 s10, ttmp7, 16
	s_add_co_i32 s3, s2, s3
	s_lshr_b32 s11, s3, s11
	s_delay_alu instid0(SALU_CYCLE_1) | instskip(NEXT) | instid1(SALU_CYCLE_1)
	s_mul_i32 s3, s11, s16
	s_sub_co_i32 s2, s2, s3
	s_delay_alu instid0(SALU_CYCLE_1) | instskip(NEXT) | instid1(SALU_CYCLE_1)
	s_mul_hi_u32 s3, s2, s17
	s_add_co_i32 s3, s2, s3
	s_delay_alu instid0(SALU_CYCLE_1) | instskip(NEXT) | instid1(SALU_CYCLE_1)
	s_lshr_b32 s14, s3, s18
	s_mul_i32 s3, s14, s19
	s_delay_alu instid0(SALU_CYCLE_1) | instskip(NEXT) | instid1(SALU_CYCLE_1)
	s_sub_co_i32 s13, s2, s3
	s_add_co_i32 s13, s13, s7
	s_wait_kmcnt 0x0
	s_cmp_lt_i32 s13, s8
	s_cselect_b32 s2, -1, 0
	s_add_co_i32 s14, s14, s10
	s_delay_alu instid0(SALU_CYCLE_1) | instskip(SKIP_1) | instid1(SALU_CYCLE_1)
	s_cmp_lt_i32 s14, s5
	s_cselect_b32 s3, -1, 0
	s_and_b32 s2, s2, s3
	s_delay_alu instid0(SALU_CYCLE_1)
	s_and_not1_b32 vcc_lo, exec_lo, s2
	s_cbranch_vccnz .LBB15_6
; %bb.1:
	s_mul_i32 s12, s12, s8
	s_mul_i32 s11, s11, s5
	s_add_co_i32 s5, s13, s12
	s_load_b128 s[0:3], s[0:1], 0x0
	s_add_co_i32 s8, s14, s11
	s_mul_i32 s5, s5, s9
	s_delay_alu instid0(SALU_CYCLE_1)
	s_add_co_i32 s8, s8, s5
	s_mul_i32 s5, s6, ttmp9
	v_lshl_or_b32 v1, s8, 7, v0
	s_add_co_i32 s8, s7, s10
	s_add_co_i32 s9, s5, s6
	s_wait_alu 0xfffe
	s_add_co_i32 s6, s8, s9
	v_ashrrev_i32_e32 v2, 31, v1
	s_add_co_i32 s10, s9, -2
	s_delay_alu instid0(VALU_DEP_1) | instskip(SKIP_1) | instid1(VALU_DEP_1)
	v_lshlrev_b64_e32 v[1:2], 2, v[1:2]
	s_wait_kmcnt 0x0
	v_add_co_u32 v1, vcc_lo, s0, v1
	s_delay_alu instid0(VALU_DEP_1)
	v_add_co_ci_u32_e64 v2, null, s1, v2, vcc_lo
	s_add_co_i32 s0, s6, -1
	s_wait_alu 0xfffe
	s_ashr_i32 s1, s0, 31
	global_load_b32 v5, v[1:2], off
	s_wait_alu 0xfffe
	s_lshl_b64 s[0:1], s[0:1], 3
	s_cmp_lt_i32 s10, s5
	s_wait_alu 0xfffe
	s_add_nc_u64 s[0:1], s[2:3], s[0:1]
	s_load_b32 s7, s[0:1], 0x4
	s_cbranch_scc1 .LBB15_4
; %bb.2:
	s_load_b32 s0, s[0:1], 0x0
	v_lshl_or_b32 v0, s6, 7, v0
	s_lshl_b32 s10, s4, 2
	s_add_co_i32 s1, s9, -1
	s_ashr_i32 s11, s10, 31
	s_wait_kmcnt 0x0
	v_dual_mov_b32 v6, s7 :: v_dual_add_nc_u32 v3, 0xffffff00, v0
	s_lshl_b64 s[10:11], s[10:11], 2
	s_add_co_i32 s4, s8, s4
	s_add_nc_u64 s[6:7], s[2:3], s[10:11]
.LBB15_3:                               ; =>This Inner Loop Header: Depth=1
	s_delay_alu instid0(VALU_DEP_1)
	v_ashrrev_i32_e32 v4, 31, v3
	s_wait_alu 0xfffe
	s_add_co_i32 s1, s1, -1
	v_mov_b32_e32 v10, v6
	s_wait_alu 0xfffe
	s_add_co_i32 s8, s1, s4
	s_wait_loadcnt 0x0
	v_mov_b32_e32 v9, v5
	v_lshlrev_b64_e32 v[7:8], 2, v[3:4]
	s_wait_alu 0xfffe
	s_ashr_i32 s9, s8, 31
	v_max_num_f32_e64 v4, s0, s0
	s_wait_alu 0xfffe
	s_lshl_b64 s[8:9], s[8:9], 3
	v_add_nc_u32_e32 v3, 0xffffff80, v3
	s_wait_alu 0xfffe
	s_add_nc_u64 s[8:9], s[2:3], s[8:9]
	v_add_co_u32 v7, vcc_lo, s6, v7
	s_wait_alu 0xfffd
	v_add_co_ci_u32_e64 v8, null, s7, v8, vcc_lo
	s_load_b64 s[8:9], s[8:9], 0x0
	v_readfirstlane_b32 s10, v4
	global_load_b32 v0, v[7:8], off
	s_wait_kmcnt 0x0
	v_max_num_f32_e64 v4, s8, s8
	s_delay_alu instid0(VALU_DEP_1) | instskip(SKIP_2) | instid1(SALU_CYCLE_2)
	v_readfirstlane_b32 s11, v4
	s_max_num_f32 s10, s10, s11
	s_wait_alu 0xfffe
	s_sub_f32 s0, s0, s10
	s_sub_f32 s8, s8, s10
	s_wait_alu 0xfffe
	s_delay_alu instid0(SALU_CYCLE_1) | instskip(NEXT) | instid1(SALU_CYCLE_1)
	s_mul_f32 s11, s0, 0x3fb8aa3b
	s_mul_f32 s12, s8, 0x3fb8aa3b
	s_wait_alu 0xfffe
	s_delay_alu instid0(SALU_CYCLE_1)
	s_xor_b32 s13, s11, 0x80000000
	s_rndne_f32 s14, s11
	s_fmamk_f32 s13, s0, 0x3fb8aa3b, s13
	s_cmp_nlt_f32 s0, 0xc2ce8ed0
	s_rndne_f32 s15, s12
	s_wait_alu 0xfffe
	s_sub_f32 s11, s11, s14
	s_fmamk_f32 s13, s0, 0x32a5705f, s13
	s_cvt_i32_f32 s14, s14
	s_cselect_b32 vcc_lo, -1, 0
	s_cmp_ngt_f32 s0, 0x42b17218
	s_wait_alu 0xfffe
	s_add_f32 s11, s11, s13
	s_sub_f32 s13, s12, s15
	s_wait_alu 0xfffe
	s_delay_alu instid0(SALU_CYCLE_1) | instskip(SKIP_1) | instid1(TRANS32_DEP_1)
	v_s_exp_f32 s11, s11
	s_wait_alu 0xf1ff
	v_ldexp_f32 v4, s11, s14
	s_cvt_i32_f32 s11, s15
	s_delay_alu instid0(VALU_DEP_1) | instskip(SKIP_3) | instid1(VALU_DEP_1)
	v_cndmask_b32_e32 v4, 0, v4, vcc_lo
	s_cselect_b32 vcc_lo, -1, 0
	s_cmp_ge_f32 s0, 0xc1a00000
	s_wait_alu 0xfffe
	v_cndmask_b32_e32 v4, 0x7f800000, v4, vcc_lo
	s_cselect_b32 vcc_lo, -1, 0
	s_xor_b32 s0, s12, 0x80000000
	s_cmp_nlt_f32 s8, 0xc2ce8ed0
	s_wait_alu 0xfffe
	s_fmamk_f32 s0, s8, 0x3fb8aa3b, s0
	s_wait_alu 0xfffe
	s_delay_alu instid0(SALU_CYCLE_2) | instskip(SKIP_1) | instid1(SALU_CYCLE_2)
	s_fmamk_f32 s0, s8, 0x32a5705f, s0
	s_wait_alu 0xfffe
	s_add_f32 s0, s13, s0
	s_wait_alu 0xfffe
	s_delay_alu instid0(SALU_CYCLE_2) | instskip(SKIP_1) | instid1(TRANS32_DEP_1)
	v_s_exp_f32 s0, s0
	s_wait_alu 0xf1ff
	v_ldexp_f32 v7, s0, s11
	s_cselect_b32 s0, -1, 0
	s_cmp_ngt_f32 s8, 0x42b17218
	s_wait_alu 0xfffe
	s_delay_alu instid0(VALU_DEP_1) | instskip(SKIP_3) | instid1(VALU_DEP_1)
	v_cndmask_b32_e64 v7, 0, v7, s0
	s_cselect_b32 s0, -1, 0
	s_cmp_ge_f32 s8, 0xc1a00000
	s_wait_alu 0xfffe
	v_cndmask_b32_e64 v7, 0x7f800000, v7, s0
	s_cselect_b32 s0, -1, 0
	s_cmp_le_i32 s1, s5
	s_wait_alu 0xfffe
	s_delay_alu instid0(VALU_DEP_1) | instskip(SKIP_2) | instid1(VALU_DEP_1)
	v_cndmask_b32_e64 v7, 0, v7, s0
	s_mov_b32 s0, s10
	s_wait_loadcnt 0x0
	v_dual_mul_f32 v5, v0, v7 :: v_dual_cndmask_b32 v4, 0, v4
	s_delay_alu instid0(VALU_DEP_1) | instskip(NEXT) | instid1(VALU_DEP_1)
	v_dual_mul_f32 v8, s9, v7 :: v_dual_fmac_f32 v5, v9, v4
	v_mov_b32_e32 v6, v8
	s_delay_alu instid0(VALU_DEP_1)
	v_fmac_f32_e32 v6, v10, v4
	s_cbranch_scc0 .LBB15_3
	s_branch .LBB15_5
.LBB15_4:
	s_wait_kmcnt 0x0
	v_mov_b32_e32 v6, s7
.LBB15_5:
	s_wait_loadcnt 0x0
	s_delay_alu instid0(VALU_DEP_1) | instskip(NEXT) | instid1(VALU_DEP_1)
	v_div_scale_f32 v0, null, v6, v6, v5
	v_rcp_f32_e32 v3, v0
	s_delay_alu instid0(TRANS32_DEP_1) | instskip(NEXT) | instid1(VALU_DEP_1)
	v_fma_f32 v4, -v0, v3, 1.0
	v_fmac_f32_e32 v3, v4, v3
	v_div_scale_f32 v4, vcc_lo, v5, v6, v5
	s_delay_alu instid0(VALU_DEP_1) | instskip(NEXT) | instid1(VALU_DEP_1)
	v_mul_f32_e32 v7, v4, v3
	v_fma_f32 v8, -v0, v7, v4
	s_delay_alu instid0(VALU_DEP_1) | instskip(NEXT) | instid1(VALU_DEP_1)
	v_fmac_f32_e32 v7, v8, v3
	v_fma_f32 v0, -v0, v7, v4
	s_wait_alu 0xfffd
	s_delay_alu instid0(VALU_DEP_1) | instskip(NEXT) | instid1(VALU_DEP_1)
	v_div_fmas_f32 v0, v0, v3, v7
	v_div_fixup_f32 v0, v0, v6, v5
	global_store_b32 v[1:2], v0, off
.LBB15_6:
	s_endpgm
	.section	.rodata,"a",@progbits
	.p2align	6, 0x0
	.amdhsa_kernel _ZL33flash_attn_stream_k_fixup_uniformILi128ELi1ELi1EEvPfPK15HIP_vector_typeIfLj2EEiiiiiiS1_IjLj3EES5_S5_
		.amdhsa_group_segment_fixed_size 0
		.amdhsa_private_segment_fixed_size 0
		.amdhsa_kernarg_size 76
		.amdhsa_user_sgpr_count 2
		.amdhsa_user_sgpr_dispatch_ptr 0
		.amdhsa_user_sgpr_queue_ptr 0
		.amdhsa_user_sgpr_kernarg_segment_ptr 1
		.amdhsa_user_sgpr_dispatch_id 0
		.amdhsa_user_sgpr_private_segment_size 0
		.amdhsa_wavefront_size32 1
		.amdhsa_uses_dynamic_stack 0
		.amdhsa_enable_private_segment 0
		.amdhsa_system_sgpr_workgroup_id_x 1
		.amdhsa_system_sgpr_workgroup_id_y 1
		.amdhsa_system_sgpr_workgroup_id_z 1
		.amdhsa_system_sgpr_workgroup_info 0
		.amdhsa_system_vgpr_workitem_id 0
		.amdhsa_next_free_vgpr 11
		.amdhsa_next_free_sgpr 20
		.amdhsa_reserve_vcc 1
		.amdhsa_float_round_mode_32 0
		.amdhsa_float_round_mode_16_64 0
		.amdhsa_float_denorm_mode_32 3
		.amdhsa_float_denorm_mode_16_64 3
		.amdhsa_fp16_overflow 0
		.amdhsa_workgroup_processor_mode 1
		.amdhsa_memory_ordered 1
		.amdhsa_forward_progress 1
		.amdhsa_inst_pref_size 9
		.amdhsa_round_robin_scheduling 0
		.amdhsa_exception_fp_ieee_invalid_op 0
		.amdhsa_exception_fp_denorm_src 0
		.amdhsa_exception_fp_ieee_div_zero 0
		.amdhsa_exception_fp_ieee_overflow 0
		.amdhsa_exception_fp_ieee_underflow 0
		.amdhsa_exception_fp_ieee_inexact 0
		.amdhsa_exception_int_div_zero 0
	.end_amdhsa_kernel
	.section	.text._ZL33flash_attn_stream_k_fixup_uniformILi128ELi1ELi1EEvPfPK15HIP_vector_typeIfLj2EEiiiiiiS1_IjLj3EES5_S5_,"axG",@progbits,_ZL33flash_attn_stream_k_fixup_uniformILi128ELi1ELi1EEvPfPK15HIP_vector_typeIfLj2EEiiiiiiS1_IjLj3EES5_S5_,comdat
.Lfunc_end15:
	.size	_ZL33flash_attn_stream_k_fixup_uniformILi128ELi1ELi1EEvPfPK15HIP_vector_typeIfLj2EEiiiiiiS1_IjLj3EES5_S5_, .Lfunc_end15-_ZL33flash_attn_stream_k_fixup_uniformILi128ELi1ELi1EEvPfPK15HIP_vector_typeIfLj2EEiiiiiiS1_IjLj3EES5_S5_
                                        ; -- End function
	.set _ZL33flash_attn_stream_k_fixup_uniformILi128ELi1ELi1EEvPfPK15HIP_vector_typeIfLj2EEiiiiiiS1_IjLj3EES5_S5_.num_vgpr, 11
	.set _ZL33flash_attn_stream_k_fixup_uniformILi128ELi1ELi1EEvPfPK15HIP_vector_typeIfLj2EEiiiiiiS1_IjLj3EES5_S5_.num_agpr, 0
	.set _ZL33flash_attn_stream_k_fixup_uniformILi128ELi1ELi1EEvPfPK15HIP_vector_typeIfLj2EEiiiiiiS1_IjLj3EES5_S5_.numbered_sgpr, 20
	.set _ZL33flash_attn_stream_k_fixup_uniformILi128ELi1ELi1EEvPfPK15HIP_vector_typeIfLj2EEiiiiiiS1_IjLj3EES5_S5_.num_named_barrier, 0
	.set _ZL33flash_attn_stream_k_fixup_uniformILi128ELi1ELi1EEvPfPK15HIP_vector_typeIfLj2EEiiiiiiS1_IjLj3EES5_S5_.private_seg_size, 0
	.set _ZL33flash_attn_stream_k_fixup_uniformILi128ELi1ELi1EEvPfPK15HIP_vector_typeIfLj2EEiiiiiiS1_IjLj3EES5_S5_.uses_vcc, 1
	.set _ZL33flash_attn_stream_k_fixup_uniformILi128ELi1ELi1EEvPfPK15HIP_vector_typeIfLj2EEiiiiiiS1_IjLj3EES5_S5_.uses_flat_scratch, 0
	.set _ZL33flash_attn_stream_k_fixup_uniformILi128ELi1ELi1EEvPfPK15HIP_vector_typeIfLj2EEiiiiiiS1_IjLj3EES5_S5_.has_dyn_sized_stack, 0
	.set _ZL33flash_attn_stream_k_fixup_uniformILi128ELi1ELi1EEvPfPK15HIP_vector_typeIfLj2EEiiiiiiS1_IjLj3EES5_S5_.has_recursion, 0
	.set _ZL33flash_attn_stream_k_fixup_uniformILi128ELi1ELi1EEvPfPK15HIP_vector_typeIfLj2EEiiiiiiS1_IjLj3EES5_S5_.has_indirect_call, 0
	.section	.AMDGPU.csdata,"",@progbits
; Kernel info:
; codeLenInByte = 1060
; TotalNumSgprs: 22
; NumVgprs: 11
; ScratchSize: 0
; MemoryBound: 0
; FloatMode: 240
; IeeeMode: 1
; LDSByteSize: 0 bytes/workgroup (compile time only)
; SGPRBlocks: 0
; VGPRBlocks: 1
; NumSGPRsForWavesPerEU: 22
; NumVGPRsForWavesPerEU: 11
; Occupancy: 16
; WaveLimiterHint : 0
; COMPUTE_PGM_RSRC2:SCRATCH_EN: 0
; COMPUTE_PGM_RSRC2:USER_SGPR: 2
; COMPUTE_PGM_RSRC2:TRAP_HANDLER: 0
; COMPUTE_PGM_RSRC2:TGID_X_EN: 1
; COMPUTE_PGM_RSRC2:TGID_Y_EN: 1
; COMPUTE_PGM_RSRC2:TGID_Z_EN: 1
; COMPUTE_PGM_RSRC2:TIDIG_COMP_CNT: 0
	.section	.text._ZL33flash_attn_stream_k_fixup_generalILi128ELi1ELi1EEvPfPK15HIP_vector_typeIfLj2EEiiiiS1_IjLj3EES5_S5_S5_,"axG",@progbits,_ZL33flash_attn_stream_k_fixup_generalILi128ELi1ELi1EEvPfPK15HIP_vector_typeIfLj2EEiiiiS1_IjLj3EES5_S5_S5_,comdat
	.globl	_ZL33flash_attn_stream_k_fixup_generalILi128ELi1ELi1EEvPfPK15HIP_vector_typeIfLj2EEiiiiS1_IjLj3EES5_S5_S5_ ; -- Begin function _ZL33flash_attn_stream_k_fixup_generalILi128ELi1ELi1EEvPfPK15HIP_vector_typeIfLj2EEiiiiS1_IjLj3EES5_S5_S5_
	.p2align	8
	.type	_ZL33flash_attn_stream_k_fixup_generalILi128ELi1ELi1EEvPfPK15HIP_vector_typeIfLj2EEiiiiS1_IjLj3EES5_S5_S5_,@function
_ZL33flash_attn_stream_k_fixup_generalILi128ELi1ELi1EEvPfPK15HIP_vector_typeIfLj2EEiiiiS1_IjLj3EES5_S5_S5_: ; @_ZL33flash_attn_stream_k_fixup_generalILi128ELi1ELi1EEvPfPK15HIP_vector_typeIfLj2EEiiiiS1_IjLj3EES5_S5_S5_
; %bb.0:
	s_clause 0x1
	s_load_b128 s[4:7], s[0:1], 0x10
	s_load_b32 s16, s[0:1], 0x50
	s_mov_b32 s2, ttmp9
	s_ashr_i32 s3, ttmp9, 31
	s_mov_b32 s17, 0
	s_delay_alu instid0(SALU_CYCLE_1) | instskip(SKIP_3) | instid1(SALU_CYCLE_1)
	s_mov_b32 s8, s17
	s_wait_kmcnt 0x0
	s_ashr_i32 s19, s7, 31
	s_mov_b32 s18, s7
	s_mul_u64 s[2:3], s[18:19], s[2:3]
	s_delay_alu instid0(SALU_CYCLE_1) | instskip(NEXT) | instid1(SALU_CYCLE_1)
	s_mov_b32 s9, s3
	s_cmp_lg_u64 s[8:9], 0
	s_cbranch_scc0 .LBB16_21
; %bb.1:
	s_add_nc_u64 s[8:9], s[16:17], 0
	s_mov_b32 s15, s17
	s_xor_b64 s[8:9], s[8:9], 0
	s_mov_b32 s23, s17
	s_cvt_f32_u32 s7, s8
	s_cvt_f32_u32 s10, s9
	s_sub_nc_u64 s[12:13], 0, s[8:9]
	s_delay_alu instid0(SALU_CYCLE_2) | instskip(NEXT) | instid1(SALU_CYCLE_3)
	s_fmamk_f32 s7, s10, 0x4f800000, s7
	v_s_rcp_f32 s7, s7
	s_delay_alu instid0(TRANS32_DEP_1) | instskip(SKIP_1) | instid1(SALU_CYCLE_2)
	s_mul_f32 s7, s7, 0x5f7ffffc
	s_wait_alu 0xfffe
	s_mul_f32 s10, s7, 0x2f800000
	s_delay_alu instid0(SALU_CYCLE_3) | instskip(NEXT) | instid1(SALU_CYCLE_3)
	s_trunc_f32 s10, s10
	s_fmamk_f32 s7, s10, 0xcf800000, s7
	s_cvt_u32_f32 s11, s10
	s_wait_alu 0xfffe
	s_delay_alu instid0(SALU_CYCLE_1) | instskip(NEXT) | instid1(SALU_CYCLE_3)
	s_cvt_u32_f32 s10, s7
	s_mul_u64 s[20:21], s[12:13], s[10:11]
	s_delay_alu instid0(SALU_CYCLE_1)
	s_mul_hi_u32 s25, s10, s21
	s_mul_i32 s24, s10, s21
	s_mul_hi_u32 s14, s10, s20
	s_mul_i32 s22, s11, s20
	s_add_nc_u64 s[14:15], s[14:15], s[24:25]
	s_mul_hi_u32 s7, s11, s20
	s_mul_hi_u32 s26, s11, s21
	s_add_co_u32 s14, s14, s22
	s_wait_alu 0xfffe
	s_add_co_ci_u32 s22, s15, s7
	s_mul_i32 s20, s11, s21
	s_add_co_ci_u32 s21, s26, 0
	s_delay_alu instid0(SALU_CYCLE_1)
	s_add_nc_u64 s[14:15], s[22:23], s[20:21]
	s_mov_b32 s21, s17
	s_add_co_u32 s10, s10, s14
	s_cselect_b32 s7, -1, 0
	s_wait_alu 0xfffe
	s_cmp_lg_u32 s7, 0
	s_add_co_ci_u32 s11, s11, s15
	s_mov_b32 s15, s17
	s_mul_u64 s[12:13], s[12:13], s[10:11]
	s_delay_alu instid0(SALU_CYCLE_1)
	s_mul_hi_u32 s23, s10, s13
	s_mul_i32 s22, s10, s13
	s_mul_hi_u32 s14, s10, s12
	s_mul_i32 s20, s11, s12
	s_add_nc_u64 s[14:15], s[14:15], s[22:23]
	s_mul_hi_u32 s7, s11, s12
	s_mul_hi_u32 s24, s11, s13
	s_mul_i32 s12, s11, s13
	s_add_co_u32 s13, s14, s20
	s_wait_alu 0xfffe
	s_add_co_ci_u32 s20, s15, s7
	s_add_co_ci_u32 s13, s24, 0
	s_mov_b32 s15, s17
	s_add_nc_u64 s[12:13], s[20:21], s[12:13]
	s_delay_alu instid0(SALU_CYCLE_1) | instskip(SKIP_1) | instid1(SALU_CYCLE_1)
	s_add_co_u32 s7, s10, s12
	s_cselect_b32 s10, -1, 0
	s_cmp_lg_u32 s10, 0
	s_add_co_ci_u32 s20, s11, s13
	s_ashr_i32 s10, s3, 31
	s_delay_alu instid0(SALU_CYCLE_1) | instskip(NEXT) | instid1(SALU_CYCLE_1)
	s_mov_b32 s11, s10
	s_add_nc_u64 s[12:13], s[2:3], s[10:11]
	s_delay_alu instid0(SALU_CYCLE_1) | instskip(NEXT) | instid1(SALU_CYCLE_1)
	s_xor_b64 s[12:13], s[12:13], s[10:11]
	s_mul_hi_u32 s23, s12, s20
	s_mul_i32 s22, s12, s20
	s_wait_alu 0xfffe
	s_mul_hi_u32 s14, s12, s7
	s_mul_hi_u32 s24, s13, s7
	s_mul_i32 s7, s13, s7
	s_add_nc_u64 s[14:15], s[14:15], s[22:23]
	s_mul_hi_u32 s3, s13, s20
	s_wait_alu 0xfffe
	s_add_co_u32 s7, s14, s7
	s_mul_i32 s22, s13, s20
	s_add_co_ci_u32 s20, s15, s24
	s_add_co_ci_u32 s23, s3, 0
	s_delay_alu instid0(SALU_CYCLE_1) | instskip(NEXT) | instid1(SALU_CYCLE_1)
	s_add_nc_u64 s[14:15], s[20:21], s[22:23]
	s_mul_u64 s[20:21], s[8:9], s[14:15]
	s_delay_alu instid0(SALU_CYCLE_1)
	s_sub_co_u32 s3, s12, s20
	s_cselect_b32 s7, -1, 0
	s_sub_co_i32 s12, s13, s21
	s_wait_alu 0xfffe
	s_cmp_lg_u32 s7, 0
	s_sub_co_ci_u32 s12, s12, s9
	s_sub_co_u32 s20, s3, s8
	s_cselect_b32 s22, -1, 0
	s_delay_alu instid0(SALU_CYCLE_1) | instskip(SKIP_2) | instid1(SALU_CYCLE_1)
	s_cmp_lg_u32 s22, 0
	s_add_nc_u64 s[22:23], s[14:15], 1
	s_sub_co_ci_u32 s12, s12, 0
	s_cmp_ge_u32 s12, s9
	s_cselect_b32 s24, -1, 0
	s_cmp_ge_u32 s20, s8
	s_cselect_b32 s20, -1, 0
	s_cmp_eq_u32 s12, s9
	s_cselect_b32 s12, s20, s24
	s_add_nc_u64 s[24:25], s[14:15], 2
	s_cmp_lg_u32 s12, 0
	s_cselect_b32 s12, s24, s22
	s_cselect_b32 s20, s25, s23
	s_cmp_lg_u32 s7, 0
	s_sub_co_ci_u32 s7, s13, s21
	s_wait_alu 0xfffe
	s_cmp_ge_u32 s7, s9
	s_cselect_b32 s13, -1, 0
	s_cmp_ge_u32 s3, s8
	s_cselect_b32 s3, -1, 0
	s_cmp_eq_u32 s7, s9
	s_cselect_b32 s3, s3, s13
	s_delay_alu instid0(SALU_CYCLE_1) | instskip(SKIP_4) | instid1(SALU_CYCLE_1)
	s_cmp_lg_u32 s3, 0
	s_mov_b32 s3, s17
	s_cselect_b32 s9, s20, s15
	s_cselect_b32 s8, s12, s14
	s_xor_b64 s[10:11], s[10:11], 0
	s_xor_b64 s[8:9], s[8:9], s[10:11]
	s_delay_alu instid0(SALU_CYCLE_1)
	s_sub_nc_u64 s[20:21], s[8:9], s[10:11]
	s_and_not1_b32 vcc_lo, exec_lo, s3
	s_cbranch_vccnz .LBB16_3
.LBB16_2:
	v_cvt_f32_u32_e32 v1, s16
	s_sub_co_i32 s7, 0, s16
	s_delay_alu instid0(VALU_DEP_1) | instskip(NEXT) | instid1(TRANS32_DEP_1)
	v_rcp_iflag_f32_e32 v1, v1
	v_mul_f32_e32 v1, 0x4f7ffffe, v1
	s_delay_alu instid0(VALU_DEP_1) | instskip(NEXT) | instid1(VALU_DEP_1)
	v_cvt_u32_f32_e32 v1, v1
	v_readfirstlane_b32 s3, v1
	s_wait_alu 0xfffe
	s_mul_i32 s7, s7, s3
	s_wait_alu 0xfffe
	s_mul_hi_u32 s7, s3, s7
	s_wait_alu 0xfffe
	s_add_co_i32 s3, s3, s7
	s_delay_alu instid0(SALU_CYCLE_1) | instskip(NEXT) | instid1(SALU_CYCLE_1)
	s_mul_hi_u32 s3, s2, s3
	s_mul_i32 s7, s3, s16
	s_wait_alu 0xfffe
	s_sub_co_i32 s2, s2, s7
	s_add_co_i32 s7, s3, 1
	s_sub_co_i32 s8, s2, s16
	s_cmp_ge_u32 s2, s16
	s_wait_alu 0xfffe
	s_cselect_b32 s3, s7, s3
	s_cselect_b32 s2, s8, s2
	s_add_co_i32 s7, s3, 1
	s_cmp_ge_u32 s2, s16
	s_wait_alu 0xfffe
	s_cselect_b32 s20, s7, s3
.LBB16_3:
	s_add_co_i32 s2, ttmp9, 1
	s_mov_b32 s8, 0
	s_ashr_i32 s3, s2, 31
	s_delay_alu instid0(SALU_CYCLE_1) | instskip(NEXT) | instid1(SALU_CYCLE_1)
	s_mul_u64 s[2:3], s[18:19], s[2:3]
	s_mov_b32 s9, s3
	s_delay_alu instid0(SALU_CYCLE_1)
	s_cmp_lg_u64 s[8:9], 0
	s_cbranch_scc0 .LBB16_22
; %bb.4:
	s_add_nc_u64 s[10:11], s[16:17], 0
	s_mov_b32 s23, s8
	s_xor_b64 s[10:11], s[10:11], 0
	s_mov_b32 s27, s8
	s_cvt_f32_u32 s7, s10
	s_cvt_f32_u32 s9, s11
	s_sub_nc_u64 s[14:15], 0, s[10:11]
	s_wait_alu 0xfffe
	s_delay_alu instid0(SALU_CYCLE_1) | instskip(SKIP_1) | instid1(SALU_CYCLE_2)
	s_fmamk_f32 s7, s9, 0x4f800000, s7
	s_wait_alu 0xfffe
	v_s_rcp_f32 s7, s7
	s_delay_alu instid0(TRANS32_DEP_1) | instskip(SKIP_1) | instid1(SALU_CYCLE_2)
	s_mul_f32 s7, s7, 0x5f7ffffc
	s_wait_alu 0xfffe
	s_mul_f32 s9, s7, 0x2f800000
	s_delay_alu instid0(SALU_CYCLE_3) | instskip(NEXT) | instid1(SALU_CYCLE_3)
	s_trunc_f32 s9, s9
	s_fmamk_f32 s7, s9, 0xcf800000, s7
	s_cvt_u32_f32 s13, s9
	s_wait_alu 0xfffe
	s_delay_alu instid0(SALU_CYCLE_1) | instskip(NEXT) | instid1(SALU_CYCLE_3)
	s_cvt_u32_f32 s12, s7
	s_mul_u64 s[24:25], s[14:15], s[12:13]
	s_delay_alu instid0(SALU_CYCLE_1)
	s_mul_hi_u32 s29, s12, s25
	s_mul_i32 s28, s12, s25
	s_mul_hi_u32 s22, s12, s24
	s_mul_i32 s9, s13, s24
	s_add_nc_u64 s[22:23], s[22:23], s[28:29]
	s_mul_hi_u32 s7, s13, s24
	s_mul_hi_u32 s21, s13, s25
	s_add_co_u32 s9, s22, s9
	s_wait_alu 0xfffe
	s_add_co_ci_u32 s26, s23, s7
	s_mul_i32 s24, s13, s25
	s_add_co_ci_u32 s25, s21, 0
	s_delay_alu instid0(SALU_CYCLE_1)
	s_add_nc_u64 s[22:23], s[26:27], s[24:25]
	s_mov_b32 s25, s8
	s_add_co_u32 s12, s12, s22
	s_cselect_b32 s7, -1, 0
	s_wait_alu 0xfffe
	s_cmp_lg_u32 s7, 0
	s_add_co_ci_u32 s13, s13, s23
	s_mov_b32 s23, s8
	s_mul_u64 s[14:15], s[14:15], s[12:13]
	s_delay_alu instid0(SALU_CYCLE_1)
	s_mul_hi_u32 s27, s12, s15
	s_mul_i32 s26, s12, s15
	s_mul_hi_u32 s22, s12, s14
	s_mul_i32 s9, s13, s14
	s_add_nc_u64 s[22:23], s[22:23], s[26:27]
	s_mul_hi_u32 s7, s13, s14
	s_mul_hi_u32 s21, s13, s15
	s_add_co_u32 s9, s22, s9
	s_wait_alu 0xfffe
	s_add_co_ci_u32 s24, s23, s7
	s_mul_i32 s14, s13, s15
	s_add_co_ci_u32 s15, s21, 0
	s_mov_b32 s23, s8
	s_add_nc_u64 s[14:15], s[24:25], s[14:15]
	s_delay_alu instid0(SALU_CYCLE_1) | instskip(SKIP_1) | instid1(SALU_CYCLE_1)
	s_add_co_u32 s7, s12, s14
	s_cselect_b32 s9, -1, 0
	s_cmp_lg_u32 s9, 0
	s_add_co_ci_u32 s9, s13, s15
	s_ashr_i32 s12, s3, 31
	s_delay_alu instid0(SALU_CYCLE_1) | instskip(NEXT) | instid1(SALU_CYCLE_1)
	s_mov_b32 s13, s12
	s_add_nc_u64 s[14:15], s[2:3], s[12:13]
	s_delay_alu instid0(SALU_CYCLE_1) | instskip(NEXT) | instid1(SALU_CYCLE_1)
	s_xor_b64 s[14:15], s[14:15], s[12:13]
	s_mul_hi_u32 s27, s14, s9
	s_mul_i32 s26, s14, s9
	s_wait_alu 0xfffe
	s_mul_hi_u32 s22, s14, s7
	s_mul_hi_u32 s21, s15, s7
	s_mul_i32 s7, s15, s7
	s_add_nc_u64 s[22:23], s[22:23], s[26:27]
	s_mul_hi_u32 s3, s15, s9
	s_wait_alu 0xfffe
	s_add_co_u32 s7, s22, s7
	s_add_co_ci_u32 s24, s23, s21
	s_mul_i32 s26, s15, s9
	s_add_co_ci_u32 s27, s3, 0
	s_delay_alu instid0(SALU_CYCLE_1) | instskip(NEXT) | instid1(SALU_CYCLE_1)
	s_add_nc_u64 s[22:23], s[24:25], s[26:27]
	s_mul_u64 s[24:25], s[10:11], s[22:23]
	s_add_nc_u64 s[26:27], s[22:23], 1
	s_sub_co_u32 s3, s14, s24
	s_cselect_b32 s7, -1, 0
	s_sub_co_i32 s9, s15, s25
	s_wait_alu 0xfffe
	s_cmp_lg_u32 s7, 0
	s_add_nc_u64 s[28:29], s[22:23], 2
	s_sub_co_ci_u32 s9, s9, s11
	s_sub_co_u32 s14, s3, s10
	s_cselect_b32 s21, -1, 0
	s_delay_alu instid0(SALU_CYCLE_1) | instskip(SKIP_1) | instid1(SALU_CYCLE_1)
	s_cmp_lg_u32 s21, 0
	s_sub_co_ci_u32 s9, s9, 0
	s_cmp_ge_u32 s9, s11
	s_cselect_b32 s21, -1, 0
	s_cmp_ge_u32 s14, s10
	s_cselect_b32 s14, -1, 0
	s_cmp_eq_u32 s9, s11
	s_cselect_b32 s9, s14, s21
	s_delay_alu instid0(SALU_CYCLE_1)
	s_cmp_lg_u32 s9, 0
	s_cselect_b32 s9, s28, s26
	s_cselect_b32 s14, s29, s27
	s_cmp_lg_u32 s7, 0
	s_sub_co_ci_u32 s7, s15, s25
	s_wait_alu 0xfffe
	s_cmp_ge_u32 s7, s11
	s_cselect_b32 s15, -1, 0
	s_cmp_ge_u32 s3, s10
	s_cselect_b32 s3, -1, 0
	s_cmp_eq_u32 s7, s11
	s_cselect_b32 s3, s3, s15
	s_delay_alu instid0(SALU_CYCLE_1) | instskip(SKIP_3) | instid1(SALU_CYCLE_1)
	s_cmp_lg_u32 s3, 0
	s_cselect_b32 s11, s14, s23
	s_cselect_b32 s10, s9, s22
	s_xor_b64 s[12:13], s[12:13], 0
	s_xor_b64 s[10:11], s[10:11], s[12:13]
	s_delay_alu instid0(SALU_CYCLE_1)
	s_sub_nc_u64 s[10:11], s[10:11], s[12:13]
	s_load_b96 s[12:14], s[0:1], 0x44
	s_and_not1_b32 vcc_lo, exec_lo, s8
	s_cbranch_vccnz .LBB16_6
.LBB16_5:
	v_cvt_f32_u32_e32 v1, s16
	s_sub_co_i32 s7, 0, s16
	s_delay_alu instid0(VALU_DEP_1) | instskip(NEXT) | instid1(TRANS32_DEP_1)
	v_rcp_iflag_f32_e32 v1, v1
	v_mul_f32_e32 v1, 0x4f7ffffe, v1
	s_delay_alu instid0(VALU_DEP_1) | instskip(NEXT) | instid1(VALU_DEP_1)
	v_cvt_u32_f32_e32 v1, v1
	v_readfirstlane_b32 s3, v1
	s_wait_alu 0xfffe
	s_mul_i32 s7, s7, s3
	s_wait_alu 0xfffe
	s_mul_hi_u32 s7, s3, s7
	s_wait_alu 0xfffe
	s_add_co_i32 s3, s3, s7
	s_delay_alu instid0(SALU_CYCLE_1) | instskip(NEXT) | instid1(SALU_CYCLE_1)
	s_mul_hi_u32 s3, s2, s3
	s_mul_i32 s7, s3, s16
	s_wait_alu 0xfffe
	s_sub_co_i32 s2, s2, s7
	s_add_co_i32 s7, s3, 1
	s_sub_co_i32 s8, s2, s16
	s_cmp_ge_u32 s2, s16
	s_wait_alu 0xfffe
	s_cselect_b32 s3, s7, s3
	s_cselect_b32 s2, s8, s2
	s_add_co_i32 s7, s3, 1
	s_cmp_ge_u32 s2, s16
	s_wait_alu 0xfffe
	s_cselect_b32 s10, s7, s3
.LBB16_6:
	s_mov_b32 s21, 0
	s_wait_kmcnt 0x0
	s_mov_b32 s22, s12
	s_mov_b32 s23, s21
	s_cmp_eq_u32 s20, s10
	s_mul_u64 s[2:3], s[20:21], s[22:23]
	s_cselect_b32 s7, -1, 0
	s_add_co_i32 s2, s3, s20
	s_mov_b32 s11, s21
	s_lshr_b32 s12, s2, s13
	s_mul_u64 s[2:3], s[10:11], s[22:23]
	s_mul_i32 s2, s12, s14
	s_delay_alu instid0(SALU_CYCLE_1) | instskip(SKIP_2) | instid1(SALU_CYCLE_1)
	s_cmp_eq_u32 s2, s20
	s_cselect_b32 s2, -1, 0
	s_add_co_i32 s3, s3, s10
	s_lshr_b32 s3, s3, s13
	s_delay_alu instid0(SALU_CYCLE_1)
	s_cmp_eq_u32 s12, s3
	s_mul_i32 s3, s3, s14
	s_cselect_b32 s8, -1, 0
	s_cmp_lg_u32 s3, s10
	s_cselect_b32 s3, -1, 0
	s_wait_alu 0xfffe
	s_or_b32 s2, s7, s2
	s_and_b32 s3, s8, s3
	s_delay_alu instid0(SALU_CYCLE_1) | instskip(NEXT) | instid1(SALU_CYCLE_1)
	s_or_b32 s2, s2, s3
	s_and_b32 vcc_lo, exec_lo, s2
	s_cbranch_vccnz .LBB16_24
; %bb.7:
	s_load_b256 s[24:31], s[0:1], 0x20
	s_mov_b32 s3, s21
	s_and_b32 s15, ttmp7, 0xffff
	s_wait_kmcnt 0x0
	s_mov_b32 s2, s24
	s_delay_alu instid0(SALU_CYCLE_1) | instskip(NEXT) | instid1(SALU_CYCLE_1)
	s_mul_u64 s[2:3], s[20:21], s[2:3]
	s_add_co_i32 s2, s3, s20
	s_delay_alu instid0(SALU_CYCLE_1) | instskip(SKIP_4) | instid1(SALU_CYCLE_1)
	s_lshr_b32 s3, s2, s25
	s_load_b32 s2, s[0:1], 0x40
	s_mul_i32 s7, s3, s26
	s_wait_alu 0xfffe
	s_sub_co_i32 s8, s20, s7
	s_mul_hi_u32 s7, s8, s27
	s_wait_alu 0xfffe
	s_add_co_i32 s7, s8, s7
	s_wait_alu 0xfffe
	s_lshr_b32 s7, s7, s28
	s_wait_alu 0xfffe
	s_mul_i32 s9, s7, s29
	s_delay_alu instid0(SALU_CYCLE_1) | instskip(NEXT) | instid1(SALU_CYCLE_1)
	s_sub_co_i32 s8, s8, s9
	s_mul_hi_u32 s9, s8, s30
	s_delay_alu instid0(SALU_CYCLE_1) | instskip(NEXT) | instid1(SALU_CYCLE_1)
	s_add_co_i32 s9, s8, s9
	s_lshr_b32 s24, s9, s31
	s_mov_b32 s9, s21
	s_wait_kmcnt 0x0
	s_mul_i32 s2, s24, s2
	s_delay_alu instid0(SALU_CYCLE_1) | instskip(NEXT) | instid1(SALU_CYCLE_1)
	s_sub_co_i32 s8, s8, s2
	s_mul_u64 s[10:11], s[8:9], s[22:23]
	s_delay_alu instid0(SALU_CYCLE_1) | instskip(NEXT) | instid1(SALU_CYCLE_1)
	s_add_co_i32 s2, s8, s11
	s_lshr_b32 s21, s2, s13
	s_lshr_b32 s2, ttmp7, 16
	s_add_co_i32 s21, s21, s15
	s_delay_alu instid0(SALU_CYCLE_1) | instskip(SKIP_2) | instid1(SALU_CYCLE_1)
	s_cmp_lt_i32 s21, s4
	s_cselect_b32 s8, -1, 0
	s_add_co_i32 s24, s24, s2
	s_cmp_lt_i32 s24, s6
	s_cselect_b32 s9, -1, 0
	s_delay_alu instid0(SALU_CYCLE_1) | instskip(NEXT) | instid1(SALU_CYCLE_1)
	s_and_b32 s8, s8, s9
	s_and_not1_b32 vcc_lo, exec_lo, s8
	s_cbranch_vccnz .LBB16_24
; %bb.8:
	s_mul_i32 s3, s3, s4
	s_load_b128 s[8:11], s[0:1], 0x0
	s_mul_i32 s7, s7, s6
	s_add_co_i32 s0, s21, s3
	s_wait_alu 0xfffe
	s_add_co_i32 s1, s24, s7
	s_mul_i32 s0, s0, s5
	s_add_co_i32 s15, s15, s2
	s_add_co_i32 s1, s1, s0
	v_cvt_f32_u32_e32 v4, s16
	v_lshl_or_b32 v1, s1, 7, v0
	s_add_nc_u64 s[0:1], s[16:17], 0
	s_wait_alu 0xfffe
	s_add_co_i32 s34, ttmp9, -1
	s_xor_b64 s[6:7], s[0:1], 0
	s_add_co_i32 s0, s15, ttmp9
	v_ashrrev_i32_e32 v2, 31, v1
	s_wait_alu 0xfffe
	s_cvt_f32_u32 s1, s6
	s_cvt_f32_u32 s3, s7
	v_rcp_iflag_f32_e32 v4, v4
	s_sub_nc_u64 s[30:31], 0, s[6:7]
	v_lshlrev_b64_e32 v[1:2], 2, v[1:2]
	s_wait_alu 0xfffe
	s_fmamk_f32 s2, s3, 0x4f800000, s1
	s_ashr_i32 s1, s0, 31
	s_wait_alu 0xfffe
	s_lshl_b64 s[0:1], s[0:1], 3
	v_s_rcp_f32 s2, s2
	s_wait_kmcnt 0x0
	v_add_co_u32 v1, vcc_lo, s8, v1
	s_delay_alu instid0(VALU_DEP_1)
	v_add_co_ci_u32_e64 v2, null, s9, v2, vcc_lo
	s_wait_alu 0xfffe
	s_add_nc_u64 s[0:1], s[10:11], s[0:1]
	s_mov_b32 s8, 0
	s_load_b64 s[28:29], s[0:1], 0x0
	global_load_b32 v3, v[1:2], off
	s_mul_f32 s2, s2, 0x5f7ffffc
	v_mul_f32_e32 v4, 0x4f7ffffe, v4
	s_lshl_b32 s0, s16, 2
	s_wait_alu 0xfffe
	s_mul_f32 s1, s2, 0x2f800000
	s_wait_alu 0xfffe
	s_delay_alu instid0(SALU_CYCLE_2)
	s_trunc_f32 s3, s1
	s_mov_b32 s1, s8
	s_wait_alu 0xfffe
	s_lshl_b64 s[0:1], s[0:1], 2
	s_fmamk_f32 s2, s3, 0xcf800000, s2
	s_cvt_u32_f32 s27, s3
	s_wait_alu 0xfffe
	s_add_nc_u64 s[24:25], s[10:11], s[0:1]
	s_cvt_u32_f32 s26, s2
	s_wait_kmcnt 0x0
	v_mov_b32_e32 v5, s29
	v_cvt_u32_f32_e32 v4, v4
.LBB16_9:                               ; =>This Inner Loop Header: Depth=1
	s_wait_alu 0xfffe
	s_ashr_i32 s35, s34, 31
	s_mov_b32 s2, -1
	s_wait_alu 0xfffe
	s_mul_u64 s[0:1], s[34:35], s[18:19]
                                        ; implicit-def: $sgpr38_sgpr39
	s_wait_alu 0xfffe
	s_mov_b32 s9, s1
	s_wait_alu 0xfffe
	s_cmp_lg_u64 s[8:9], 0
	s_cbranch_scc0 .LBB16_11
; %bb.10:                               ;   in Loop: Header=BB16_9 Depth=1
	s_mul_u64 s[2:3], s[30:31], s[26:27]
	s_mov_b32 s37, s8
	s_wait_alu 0xfffe
	s_mul_hi_u32 s5, s26, s3
	s_mul_i32 s4, s26, s3
	s_mul_hi_u32 s36, s26, s2
	s_mul_hi_u32 s9, s27, s2
	s_wait_alu 0xfffe
	s_add_nc_u64 s[4:5], s[36:37], s[4:5]
	s_mul_i32 s2, s27, s2
	s_mul_hi_u32 s17, s27, s3
	s_wait_alu 0xfffe
	s_add_co_u32 s2, s4, s2
	s_add_co_ci_u32 s2, s5, s9
	s_add_co_ci_u32 s5, s17, 0
	s_mul_i32 s4, s27, s3
	s_mov_b32 s3, s8
	s_mov_b32 s39, s8
	s_wait_alu 0xfffe
	s_add_nc_u64 s[2:3], s[2:3], s[4:5]
	s_wait_alu 0xfffe
	s_add_co_u32 s2, s26, s2
	s_cselect_b32 s4, -1, 0
	s_wait_alu 0xfffe
	s_cmp_lg_u32 s4, 0
	s_add_co_ci_u32 s3, s27, s3
	s_wait_alu 0xfffe
	s_mul_u64 s[4:5], s[30:31], s[2:3]
	s_wait_alu 0xfffe
	s_mul_hi_u32 s37, s2, s5
	s_mul_i32 s36, s2, s5
	s_mul_hi_u32 s38, s2, s4
	s_mul_hi_u32 s9, s3, s4
	s_mul_i32 s4, s3, s4
	s_wait_alu 0xfffe
	s_add_nc_u64 s[36:37], s[38:39], s[36:37]
	s_mul_hi_u32 s17, s3, s5
	s_wait_alu 0xfffe
	s_add_co_u32 s4, s36, s4
	s_add_co_ci_u32 s4, s37, s9
	s_add_co_ci_u32 s37, s17, 0
	s_mul_i32 s36, s3, s5
	s_mov_b32 s5, s8
	s_wait_alu 0xfffe
	s_add_nc_u64 s[4:5], s[4:5], s[36:37]
	s_mov_b32 s37, s8
	s_wait_alu 0xfffe
	s_add_co_u32 s9, s2, s4
	s_cselect_b32 s2, -1, 0
	s_wait_alu 0xfffe
	s_cmp_lg_u32 s2, 0
	s_add_co_ci_u32 s17, s3, s5
	s_ashr_i32 s2, s1, 31
	s_wait_alu 0xfffe
	s_mov_b32 s3, s2
	s_wait_alu 0xfffe
	s_add_nc_u64 s[4:5], s[0:1], s[2:3]
	s_wait_alu 0xfffe
	s_xor_b64 s[4:5], s[4:5], s[2:3]
	s_wait_alu 0xfffe
	s_mul_hi_u32 s39, s4, s17
	s_mul_i32 s38, s4, s17
	s_mul_hi_u32 s36, s4, s9
	s_mul_i32 s21, s5, s9
	s_wait_alu 0xfffe
	s_add_nc_u64 s[36:37], s[36:37], s[38:39]
	s_mul_hi_u32 s9, s5, s9
	s_mul_hi_u32 s1, s5, s17
	s_wait_alu 0xfffe
	s_add_co_u32 s21, s36, s21
	s_add_co_ci_u32 s36, s37, s9
	s_add_co_ci_u32 s39, s1, 0
	s_mul_i32 s38, s5, s17
	s_mov_b32 s37, s8
	s_wait_alu 0xfffe
	s_add_nc_u64 s[36:37], s[36:37], s[38:39]
	s_wait_alu 0xfffe
	s_mul_u64 s[38:39], s[6:7], s[36:37]
	s_add_nc_u64 s[40:41], s[36:37], 1
	s_sub_co_u32 s1, s4, s38
	s_cselect_b32 s4, -1, 0
	s_sub_co_i32 s9, s5, s39
	s_wait_alu 0xfffe
	s_cmp_lg_u32 s4, 0
	s_add_nc_u64 s[42:43], s[36:37], 2
	s_sub_co_ci_u32 s9, s9, s7
	s_sub_co_u32 s17, s1, s6
	s_cselect_b32 s21, -1, 0
	s_delay_alu instid0(SALU_CYCLE_1)
	s_cmp_lg_u32 s21, 0
	s_wait_alu 0xfffe
	s_sub_co_ci_u32 s9, s9, 0
	s_wait_alu 0xfffe
	s_cmp_ge_u32 s9, s7
	s_cselect_b32 s21, -1, 0
	s_cmp_ge_u32 s17, s6
	s_cselect_b32 s17, -1, 0
	s_cmp_eq_u32 s9, s7
	s_wait_alu 0xfffe
	s_cselect_b32 s9, s17, s21
	s_wait_alu 0xfffe
	s_cmp_lg_u32 s9, 0
	s_cselect_b32 s9, s42, s40
	s_cselect_b32 s17, s43, s41
	s_cmp_lg_u32 s4, 0
	s_sub_co_ci_u32 s4, s5, s39
	s_wait_alu 0xfffe
	s_cmp_ge_u32 s4, s7
	s_cselect_b32 s5, -1, 0
	s_cmp_ge_u32 s1, s6
	s_cselect_b32 s1, -1, 0
	s_cmp_eq_u32 s4, s7
	s_wait_alu 0xfffe
	s_cselect_b32 s1, s1, s5
	s_wait_alu 0xfffe
	s_cmp_lg_u32 s1, 0
	s_cselect_b32 s5, s17, s37
	s_cselect_b32 s4, s9, s36
	s_xor_b64 s[2:3], s[2:3], 0
	s_wait_alu 0xfffe
	s_xor_b64 s[4:5], s[4:5], s[2:3]
	s_wait_alu 0xfffe
	s_sub_nc_u64 s[38:39], s[4:5], s[2:3]
	s_mov_b32 s2, 0
.LBB16_11:                              ;   in Loop: Header=BB16_9 Depth=1
	s_wait_alu 0xfffe
	s_and_not1_b32 vcc_lo, exec_lo, s2
	s_wait_alu 0xfffe
	s_cbranch_vccnz .LBB16_13
; %bb.12:                               ;   in Loop: Header=BB16_9 Depth=1
	v_readfirstlane_b32 s1, v4
	s_sub_co_i32 s2, 0, s16
	s_wait_alu 0xfffe
	s_mul_i32 s2, s2, s1
	s_wait_alu 0xfffe
	s_mul_hi_u32 s2, s1, s2
	s_wait_alu 0xfffe
	s_add_co_i32 s1, s1, s2
	s_wait_alu 0xfffe
	s_mul_hi_u32 s1, s0, s1
	s_wait_alu 0xfffe
	s_mul_i32 s2, s1, s16
	s_wait_alu 0xfffe
	s_sub_co_i32 s0, s0, s2
	s_add_co_i32 s2, s1, 1
	s_wait_alu 0xfffe
	s_sub_co_i32 s3, s0, s16
	s_cmp_ge_u32 s0, s16
	s_cselect_b32 s1, s2, s1
	s_wait_alu 0xfffe
	s_cselect_b32 s0, s3, s0
	s_add_co_i32 s2, s1, 1
	s_wait_alu 0xfffe
	s_cmp_ge_u32 s0, s16
	s_cselect_b32 s38, s2, s1
.LBB16_13:                              ;   in Loop: Header=BB16_9 Depth=1
	v_readfirstlane_b32 s9, v0
	s_cmp_lg_u32 s20, s38
	s_mov_b32 s0, -1
                                        ; implicit-def: $sgpr21
                                        ; implicit-def: $vgpr6
                                        ; implicit-def: $vgpr7
                                        ; implicit-def: $sgpr17
                                        ; implicit-def: $sgpr29
	s_cbranch_scc1 .LBB16_16
; %bb.14:                               ;   in Loop: Header=BB16_9 Depth=1
	s_wait_alu 0xfffe
	s_and_not1_b32 vcc_lo, exec_lo, s0
	s_wait_alu 0xfffe
	s_cbranch_vccz .LBB16_19
.LBB16_15:                              ;   in Loop: Header=BB16_9 Depth=1
	s_and_not1_b32 vcc_lo, exec_lo, s21
	s_wait_alu 0xfffe
	s_cbranch_vccnz .LBB16_20
	s_branch .LBB16_23
.LBB16_16:                              ;   in Loop: Header=BB16_9 Depth=1
	s_add_co_i32 s40, s34, s15
	s_mov_b32 s1, s8
	s_wait_alu 0xfffe
	s_add_co_i32 s0, s40, s16
	v_max_num_f32_e64 v6, s28, s28
	s_wait_alu 0xfffe
	s_lshl_b64 s[0:1], s[0:1], 3
	s_mov_b32 s39, s8
	s_wait_alu 0xfffe
	s_add_nc_u64 s[0:1], s[10:11], s[0:1]
	s_mul_u64 s[42:43], s[38:39], s[22:23]
	s_load_b64 s[36:37], s[0:1], 0x0
	v_readfirstlane_b32 s0, v6
	s_mov_b32 s29, s20
	s_wait_kmcnt 0x0
	v_max_num_f32_e64 v7, s36, s36
	s_delay_alu instid0(VALU_DEP_1) | instskip(SKIP_2) | instid1(SALU_CYCLE_2)
	v_readfirstlane_b32 s1, v7
	s_max_num_f32 s9, s0, s1
	s_wait_alu 0xfffe
	s_sub_f32 s33, s28, s9
	s_sub_f32 s35, s36, s9
	s_wait_alu 0xfffe
	s_delay_alu instid0(SALU_CYCLE_1)
	s_cmp_nlt_f32 s33, 0xc2ce8ed0
	s_cselect_b32 s0, -1, 0
	s_cmp_ngt_f32 s33, 0x42b17218
	s_cselect_b32 s1, -1, 0
	s_cmp_ge_f32 s33, 0xc1a00000
	s_cselect_b32 s2, -1, 0
	s_cmp_nlt_f32 s35, 0xc2ce8ed0
	s_cselect_b32 s3, -1, 0
	s_cmp_ngt_f32 s35, 0x42b17218
	s_cselect_b32 s4, -1, 0
	s_cmp_ge_f32 s35, 0xc1a00000
	s_cselect_b32 s5, -1, 0
	s_add_co_i32 s17, s43, s38
	s_wait_alu 0xfffe
	s_lshr_b32 s17, s17, s13
	s_wait_alu 0xfffe
	s_mul_i32 s21, s17, s14
	s_delay_alu instid0(SALU_CYCLE_1)
	s_cmp_eq_u32 s21, s38
	s_cselect_b32 s21, -1, 0
	s_cmp_lt_u32 s17, s12
	s_cselect_b32 s17, -1, 0
	s_wait_alu 0xfffe
	s_or_b32 s17, s17, s21
	s_mov_b32 s21, -1
	s_wait_alu 0xfffe
	s_and_b32 vcc_lo, exec_lo, s17
	s_mov_b32 s17, s34
	s_wait_alu 0xfffe
	s_cbranch_vccnz .LBB16_18
; %bb.17:                               ;   in Loop: Header=BB16_9 Depth=1
	s_add_co_i32 s17, s34, -1
	s_mov_b32 s21, 0
	s_mov_b32 s29, s38
.LBB16_18:                              ;   in Loop: Header=BB16_9 Depth=1
	v_lshl_or_b32 v6, s40, 7, v0
	s_mul_f32 s36, s35, 0x3fb8aa3b
	s_mul_f32 s38, s33, 0x3fb8aa3b
	s_wait_alu 0xfffe
	s_delay_alu instid0(SALU_CYCLE_1)
	s_xor_b32 s39, s36, 0x80000000
	v_ashrrev_i32_e32 v7, 31, v6
	s_rndne_f32 s40, s36
	s_fmamk_f32 s39, s35, 0x3fb8aa3b, s39
	s_xor_b32 s41, s38, 0x80000000
	s_rndne_f32 s42, s38
	v_lshlrev_b64_e32 v[6:7], 2, v[6:7]
	s_wait_alu 0xfffe
	s_sub_f32 s36, s36, s40
	s_fmamk_f32 s35, s35, 0x32a5705f, s39
	s_fmamk_f32 s39, s33, 0x3fb8aa3b, s41
	s_sub_f32 s38, s38, s42
	v_add_co_u32 v6, vcc_lo, s24, v6
	s_wait_alu 0xfffd
	v_add_co_ci_u32_e64 v7, null, s25, v7, vcc_lo
	s_wait_alu 0xfffe
	s_add_f32 s35, s36, s35
	s_fmamk_f32 s33, s33, 0x32a5705f, s39
	s_cvt_i32_f32 s36, s40
	global_load_b32 v6, v[6:7], off
	s_wait_alu 0xfffe
	v_s_exp_f32 s35, s35
	s_add_f32 s33, s38, s33
	s_wait_alu 0xfffe
	s_delay_alu instid0(SALU_CYCLE_2) | instskip(NEXT) | instid1(TRANS32_DEP_2)
	v_s_exp_f32 s33, s33
	v_ldexp_f32 v7, s35, s36
	s_cvt_i32_f32 s35, s42
	s_wait_alu 0xf1fe
	s_delay_alu instid0(TRANS32_DEP_1) | instid1(SALU_CYCLE_2)
	v_ldexp_f32 v8, s33, s35
	s_delay_alu instid0(VALU_DEP_2) | instskip(NEXT) | instid1(VALU_DEP_2)
	v_cndmask_b32_e64 v7, 0, v7, s3
	v_cndmask_b32_e64 v8, 0, v8, s0
	s_delay_alu instid0(VALU_DEP_2) | instskip(NEXT) | instid1(VALU_DEP_2)
	v_cndmask_b32_e64 v7, 0x7f800000, v7, s4
	v_cndmask_b32_e64 v8, 0x7f800000, v8, s1
	s_delay_alu instid0(VALU_DEP_2) | instskip(NEXT) | instid1(VALU_DEP_2)
	v_cndmask_b32_e64 v7, 0, v7, s5
	v_cndmask_b32_e64 v8, 0, v8, s2
	s_wait_loadcnt 0x0
	s_delay_alu instid0(VALU_DEP_2) | instskip(SKIP_1) | instid1(VALU_DEP_1)
	v_mul_f32_e32 v6, v6, v7
	v_mul_f32_e32 v7, s37, v7
	v_fmac_f32_e32 v7, v5, v8
	s_delay_alu instid0(VALU_DEP_3)
	v_fmac_f32_e32 v6, v3, v8
	s_cbranch_execnz .LBB16_15
.LBB16_19:                              ;   in Loop: Header=BB16_9 Depth=1
	s_wait_loadcnt 0x0
	v_dual_mov_b32 v7, v5 :: v_dual_mov_b32 v6, v3
	s_add_co_i32 s17, s34, -1
	s_mov_b32 s29, s20
	s_mov_b32 s9, s28
	s_cbranch_execz .LBB16_23
.LBB16_20:                              ;   in Loop: Header=BB16_9 Depth=1
	v_mov_b32_e32 v5, v7
	s_wait_loadcnt 0x0
	v_mov_b32_e32 v3, v6
	s_wait_alu 0xfffe
	s_mov_b32 s20, s29
	s_mov_b32 s34, s17
	;; [unrolled: 1-line block ×3, first 2 shown]
	s_branch .LBB16_9
.LBB16_21:
                                        ; implicit-def: $sgpr20_sgpr21
	s_branch .LBB16_2
.LBB16_22:
                                        ; implicit-def: $sgpr10_sgpr11
	s_load_b96 s[12:14], s[0:1], 0x44
	s_branch .LBB16_5
.LBB16_23:
	v_div_scale_f32 v0, null, v7, v7, v6
	s_wait_loadcnt 0x0
	s_delay_alu instid0(VALU_DEP_1) | instskip(NEXT) | instid1(TRANS32_DEP_1)
	v_rcp_f32_e32 v3, v0
	v_fma_f32 v4, -v0, v3, 1.0
	s_delay_alu instid0(VALU_DEP_1) | instskip(SKIP_1) | instid1(VALU_DEP_1)
	v_fmac_f32_e32 v3, v4, v3
	v_div_scale_f32 v4, vcc_lo, v6, v7, v6
	v_mul_f32_e32 v5, v4, v3
	s_delay_alu instid0(VALU_DEP_1) | instskip(NEXT) | instid1(VALU_DEP_1)
	v_fma_f32 v8, -v0, v5, v4
	v_fmac_f32_e32 v5, v8, v3
	s_delay_alu instid0(VALU_DEP_1) | instskip(SKIP_1) | instid1(VALU_DEP_1)
	v_fma_f32 v0, -v0, v5, v4
	s_wait_alu 0xfffd
	v_div_fmas_f32 v0, v0, v3, v5
	s_delay_alu instid0(VALU_DEP_1)
	v_div_fixup_f32 v0, v0, v7, v6
	global_store_b32 v[1:2], v0, off
.LBB16_24:
	s_endpgm
	.section	.rodata,"a",@progbits
	.p2align	6, 0x0
	.amdhsa_kernel _ZL33flash_attn_stream_k_fixup_generalILi128ELi1ELi1EEvPfPK15HIP_vector_typeIfLj2EEiiiiS1_IjLj3EES5_S5_S5_
		.amdhsa_group_segment_fixed_size 0
		.amdhsa_private_segment_fixed_size 0
		.amdhsa_kernarg_size 336
		.amdhsa_user_sgpr_count 2
		.amdhsa_user_sgpr_dispatch_ptr 0
		.amdhsa_user_sgpr_queue_ptr 0
		.amdhsa_user_sgpr_kernarg_segment_ptr 1
		.amdhsa_user_sgpr_dispatch_id 0
		.amdhsa_user_sgpr_private_segment_size 0
		.amdhsa_wavefront_size32 1
		.amdhsa_uses_dynamic_stack 0
		.amdhsa_enable_private_segment 0
		.amdhsa_system_sgpr_workgroup_id_x 1
		.amdhsa_system_sgpr_workgroup_id_y 1
		.amdhsa_system_sgpr_workgroup_id_z 1
		.amdhsa_system_sgpr_workgroup_info 0
		.amdhsa_system_vgpr_workitem_id 0
		.amdhsa_next_free_vgpr 9
		.amdhsa_next_free_sgpr 44
		.amdhsa_reserve_vcc 1
		.amdhsa_float_round_mode_32 0
		.amdhsa_float_round_mode_16_64 0
		.amdhsa_float_denorm_mode_32 3
		.amdhsa_float_denorm_mode_16_64 3
		.amdhsa_fp16_overflow 0
		.amdhsa_workgroup_processor_mode 1
		.amdhsa_memory_ordered 1
		.amdhsa_forward_progress 1
		.amdhsa_inst_pref_size 28
		.amdhsa_round_robin_scheduling 0
		.amdhsa_exception_fp_ieee_invalid_op 0
		.amdhsa_exception_fp_denorm_src 0
		.amdhsa_exception_fp_ieee_div_zero 0
		.amdhsa_exception_fp_ieee_overflow 0
		.amdhsa_exception_fp_ieee_underflow 0
		.amdhsa_exception_fp_ieee_inexact 0
		.amdhsa_exception_int_div_zero 0
	.end_amdhsa_kernel
	.section	.text._ZL33flash_attn_stream_k_fixup_generalILi128ELi1ELi1EEvPfPK15HIP_vector_typeIfLj2EEiiiiS1_IjLj3EES5_S5_S5_,"axG",@progbits,_ZL33flash_attn_stream_k_fixup_generalILi128ELi1ELi1EEvPfPK15HIP_vector_typeIfLj2EEiiiiS1_IjLj3EES5_S5_S5_,comdat
.Lfunc_end16:
	.size	_ZL33flash_attn_stream_k_fixup_generalILi128ELi1ELi1EEvPfPK15HIP_vector_typeIfLj2EEiiiiS1_IjLj3EES5_S5_S5_, .Lfunc_end16-_ZL33flash_attn_stream_k_fixup_generalILi128ELi1ELi1EEvPfPK15HIP_vector_typeIfLj2EEiiiiS1_IjLj3EES5_S5_S5_
                                        ; -- End function
	.set _ZL33flash_attn_stream_k_fixup_generalILi128ELi1ELi1EEvPfPK15HIP_vector_typeIfLj2EEiiiiS1_IjLj3EES5_S5_S5_.num_vgpr, 9
	.set _ZL33flash_attn_stream_k_fixup_generalILi128ELi1ELi1EEvPfPK15HIP_vector_typeIfLj2EEiiiiS1_IjLj3EES5_S5_S5_.num_agpr, 0
	.set _ZL33flash_attn_stream_k_fixup_generalILi128ELi1ELi1EEvPfPK15HIP_vector_typeIfLj2EEiiiiS1_IjLj3EES5_S5_S5_.numbered_sgpr, 44
	.set _ZL33flash_attn_stream_k_fixup_generalILi128ELi1ELi1EEvPfPK15HIP_vector_typeIfLj2EEiiiiS1_IjLj3EES5_S5_S5_.num_named_barrier, 0
	.set _ZL33flash_attn_stream_k_fixup_generalILi128ELi1ELi1EEvPfPK15HIP_vector_typeIfLj2EEiiiiS1_IjLj3EES5_S5_S5_.private_seg_size, 0
	.set _ZL33flash_attn_stream_k_fixup_generalILi128ELi1ELi1EEvPfPK15HIP_vector_typeIfLj2EEiiiiS1_IjLj3EES5_S5_S5_.uses_vcc, 1
	.set _ZL33flash_attn_stream_k_fixup_generalILi128ELi1ELi1EEvPfPK15HIP_vector_typeIfLj2EEiiiiS1_IjLj3EES5_S5_S5_.uses_flat_scratch, 0
	.set _ZL33flash_attn_stream_k_fixup_generalILi128ELi1ELi1EEvPfPK15HIP_vector_typeIfLj2EEiiiiS1_IjLj3EES5_S5_S5_.has_dyn_sized_stack, 0
	.set _ZL33flash_attn_stream_k_fixup_generalILi128ELi1ELi1EEvPfPK15HIP_vector_typeIfLj2EEiiiiS1_IjLj3EES5_S5_S5_.has_recursion, 0
	.set _ZL33flash_attn_stream_k_fixup_generalILi128ELi1ELi1EEvPfPK15HIP_vector_typeIfLj2EEiiiiS1_IjLj3EES5_S5_S5_.has_indirect_call, 0
	.section	.AMDGPU.csdata,"",@progbits
; Kernel info:
; codeLenInByte = 3512
; TotalNumSgprs: 46
; NumVgprs: 9
; ScratchSize: 0
; MemoryBound: 0
; FloatMode: 240
; IeeeMode: 1
; LDSByteSize: 0 bytes/workgroup (compile time only)
; SGPRBlocks: 0
; VGPRBlocks: 1
; NumSGPRsForWavesPerEU: 46
; NumVGPRsForWavesPerEU: 9
; Occupancy: 16
; WaveLimiterHint : 0
; COMPUTE_PGM_RSRC2:SCRATCH_EN: 0
; COMPUTE_PGM_RSRC2:USER_SGPR: 2
; COMPUTE_PGM_RSRC2:TRAP_HANDLER: 0
; COMPUTE_PGM_RSRC2:TGID_X_EN: 1
; COMPUTE_PGM_RSRC2:TGID_Y_EN: 1
; COMPUTE_PGM_RSRC2:TGID_Z_EN: 1
; COMPUTE_PGM_RSRC2:TIDIG_COMP_CNT: 0
	.section	.text._ZL26flash_attn_combine_resultsILi128EEvPKfPK15HIP_vector_typeIfLj2EEPfi,"axG",@progbits,_ZL26flash_attn_combine_resultsILi128EEvPKfPK15HIP_vector_typeIfLj2EEPfi,comdat
	.globl	_ZL26flash_attn_combine_resultsILi128EEvPKfPK15HIP_vector_typeIfLj2EEPfi ; -- Begin function _ZL26flash_attn_combine_resultsILi128EEvPKfPK15HIP_vector_typeIfLj2EEPfi
	.p2align	8
	.type	_ZL26flash_attn_combine_resultsILi128EEvPKfPK15HIP_vector_typeIfLj2EEPfi,@function
_ZL26flash_attn_combine_resultsILi128EEvPKfPK15HIP_vector_typeIfLj2EEPfi: ; @_ZL26flash_attn_combine_resultsILi128EEvPKfPK15HIP_vector_typeIfLj2EEPfi
; %bb.0:
	s_clause 0x2
	s_load_b64 s[2:3], s[0:1], 0x20
	s_load_b96 s[8:10], s[0:1], 0x10
	s_load_b128 s[4:7], s[0:1], 0x0
	s_lshr_b32 s0, ttmp7, 16
	v_lshlrev_b32_e32 v5, 2, v0
	s_mov_b32 s12, exec_lo
	s_wait_kmcnt 0x0
	s_mul_i32 s0, s2, s0
	s_and_b32 s2, ttmp7, 0xffff
	s_add_co_i32 s0, s0, ttmp9
	s_lshl_b32 s1, s10, 1
	s_mul_i32 s11, s0, s3
	s_delay_alu instid0(SALU_CYCLE_1) | instskip(NEXT) | instid1(SALU_CYCLE_1)
	s_add_co_i32 s11, s11, s2
	s_mul_i32 s2, s11, s10
	v_cmpx_gt_i32_e64 s1, v0
	s_cbranch_execz .LBB17_3
; %bb.1:
	s_ashr_i32 s3, s2, 31
	v_dual_mov_b32 v4, v0 :: v_dual_add_nc_u32 v3, 0, v5
	s_lshl_b64 s[14:15], s[2:3], 3
	s_mov_b32 s3, 0
	s_add_nc_u64 s[6:7], s[6:7], s[14:15]
	s_delay_alu instid0(SALU_CYCLE_1)
	v_add_co_u32 v1, s0, s6, v5
	s_wait_alu 0xf1ff
	v_add_co_ci_u32_e64 v2, null, s7, 0, s0
.LBB17_2:                               ; =>This Inner Loop Header: Depth=1
	global_load_b32 v6, v[1:2], off
	v_add_nc_u32_e32 v4, 0x80, v4
	v_add_co_u32 v1, vcc_lo, 0x200, v1
	s_wait_alu 0xfffd
	v_add_co_ci_u32_e64 v2, null, 0, v2, vcc_lo
	s_delay_alu instid0(VALU_DEP_3)
	v_cmp_le_i32_e64 s0, s1, v4
	s_or_b32 s3, s0, s3
	s_wait_loadcnt 0x0
	ds_store_b32 v3, v6
	v_add_nc_u32_e32 v3, 0x200, v3
	s_and_not1_b32 exec_lo, exec_lo, s3
	s_cbranch_execnz .LBB17_2
.LBB17_3:
	s_or_b32 exec_lo, exec_lo, s12
	v_mov_b32_e32 v1, 0
	s_wait_dscnt 0x0
	s_barrier_signal -1
	s_barrier_wait -1
	global_inv scope:SCOPE_SE
	ds_load_b32 v6, v1
	s_cmp_lt_i32 s10, 2
	s_cbranch_scc1 .LBB17_11
; %bb.4:
	s_add_co_i32 s1, s10, -2
	s_add_co_i32 s0, s10, -1
	s_wait_alu 0xfffe
	s_cmp_lt_u32 s1, 7
	s_cbranch_scc1 .LBB17_8
; %bb.5:
	s_mov_b32 s3, 0
	s_add_co_i32 s1, 0, 8
	s_and_b32 s6, s0, -8
.LBB17_6:                               ; =>This Inner Loop Header: Depth=1
	s_wait_alu 0xfffe
	v_mov_b32_e32 v9, s1
	s_mov_b32 s7, s3
	s_add_co_i32 s3, s3, 8
	s_add_co_i32 s1, s1, 64
	s_cmp_eq_u32 s6, s3
	ds_load_2addr_b32 v[1:2], v9 offset1:2
	ds_load_2addr_b32 v[3:4], v9 offset0:4 offset1:6
	ds_load_2addr_b32 v[7:8], v9 offset0:8 offset1:10
	;; [unrolled: 1-line block ×3, first 2 shown]
	s_wait_dscnt 0x3
	v_max3_num_f32 v1, v6, v1, v2
	s_wait_dscnt 0x2
	s_delay_alu instid0(VALU_DEP_1) | instskip(SKIP_1) | instid1(VALU_DEP_1)
	v_max3_num_f32 v1, v1, v3, v4
	s_wait_dscnt 0x1
	v_max3_num_f32 v1, v1, v7, v8
	s_wait_dscnt 0x0
	s_delay_alu instid0(VALU_DEP_1)
	v_max3_num_f32 v6, v1, v9, v10
	s_cbranch_scc0 .LBB17_6
; %bb.7:
	s_wait_alu 0xfffe
	s_add_co_i32 s1, s7, 9
	s_and_b32 s0, s0, 7
	s_wait_alu 0xfffe
	s_cmp_eq_u32 s0, 0
	s_cbranch_scc0 .LBB17_9
	s_branch .LBB17_11
.LBB17_8:
	s_mov_b32 s1, 1
	s_and_b32 s0, s0, 7
	s_wait_alu 0xfffe
	s_cmp_eq_u32 s0, 0
	s_cbranch_scc1 .LBB17_11
.LBB17_9:
	s_lshl_b32 s1, s1, 3
	s_wait_alu 0xfffe
	s_add_co_i32 s1, s1, 0
.LBB17_10:                              ; =>This Inner Loop Header: Depth=1
	s_wait_dscnt 0x0
	s_wait_alu 0xfffe
	s_delay_alu instid0(VALU_DEP_1)
	v_dual_mov_b32 v1, s1 :: v_dual_max_num_f32 v2, v6, v6
	s_add_co_i32 s0, s0, -1
	s_add_co_i32 s1, s1, 8
	s_wait_alu 0xfffe
	s_cmp_lg_u32 s0, 0
	ds_load_b32 v1, v1
	s_wait_dscnt 0x0
	v_max_num_f32_e32 v1, v1, v1
	s_delay_alu instid0(VALU_DEP_1)
	v_max_num_f32_e32 v6, v2, v1
	s_cbranch_scc1 .LBB17_10
.LBB17_11:
	s_cmp_lt_i32 s10, 1
	s_cbranch_scc1 .LBB17_16
; %bb.12:
	s_lshl_b32 s0, s2, 7
	s_wait_alu 0xfffe
	s_ashr_i32 s1, s0, 31
	s_wait_alu 0xfffe
	s_lshl_b64 s[0:1], s[0:1], 2
	s_cmp_lt_u32 s10, 8
	s_wait_alu 0xfffe
	s_add_nc_u64 s[6:7], s[4:5], s[0:1]
	s_cbranch_scc1 .LBB17_17
; %bb.13:
	v_or_b32_e32 v1, 0x380, v0
	v_dual_mov_b32 v4, 0 :: v_dual_mov_b32 v7, 0
	v_mov_b32_e32 v8, 0
	s_and_b32 s12, s10, 0x7ffffff8
	s_mov_b32 s13, 0
	s_mov_b32 s14, 0
.LBB17_14:                              ; =>This Inner Loop Header: Depth=1
	v_dual_mov_b32 v2, v4 :: v_dual_add_nc_u32 v3, 0xfffffc80, v1
	v_mov_b32_e32 v21, s14
	s_add_co_i32 s13, s13, 8
	s_add_co_i32 s14, s14, 64
	s_delay_alu instid0(VALU_DEP_2) | instskip(SKIP_3) | instid1(VALU_DEP_2)
	v_lshlrev_b64_e32 v[9:10], 2, v[3:4]
	v_add_nc_u32_e32 v3, 0xfffffd00, v1
	v_lshlrev_b64_e32 v[11:12], 2, v[1:2]
	s_cmp_eq_u32 s12, s13
	v_lshlrev_b64_e32 v[13:14], 2, v[3:4]
	s_wait_alu 0xfffe
	v_add_co_u32 v9, vcc_lo, s6, v9
	s_wait_alu 0xfffd
	v_add_co_ci_u32_e64 v10, null, s7, v10, vcc_lo
	v_add_nc_u32_e32 v3, 0xfffffd80, v1
	v_add_co_u32 v13, vcc_lo, s6, v13
	global_load_b32 v25, v[9:10], off
	s_wait_alu 0xfffd
	v_add_co_ci_u32_e64 v14, null, s7, v14, vcc_lo
	v_lshlrev_b64_e32 v[15:16], 2, v[3:4]
	v_add_nc_u32_e32 v3, 0xfffffe00, v1
	global_load_b32 v26, v[13:14], off
	v_add_co_u32 v13, vcc_lo, s6, v15
	s_wait_alu 0xfffd
	v_add_co_ci_u32_e64 v14, null, s7, v16, vcc_lo
	v_lshlrev_b64_e32 v[9:10], 2, v[3:4]
	v_add_nc_u32_e32 v3, 0xfffffe80, v1
	global_load_b32 v27, v[13:14], off
	v_add_co_u32 v9, vcc_lo, s6, v9
	v_lshlrev_b64_e32 v[15:16], 2, v[3:4]
	v_add_nc_u32_e32 v3, 0xffffff00, v1
	s_wait_alu 0xfffd
	v_add_co_ci_u32_e64 v10, null, s7, v10, vcc_lo
	global_load_b32 v28, v[9:10], off
	v_lshlrev_b64_e32 v[13:14], 2, v[3:4]
	v_add_nc_u32_e32 v3, 0xffffff80, v1
	v_add_co_u32 v9, vcc_lo, s6, v15
	s_wait_alu 0xfffd
	v_add_co_ci_u32_e64 v10, null, s7, v16, vcc_lo
	s_delay_alu instid0(VALU_DEP_4)
	v_add_co_u32 v13, vcc_lo, s6, v13
	v_lshlrev_b64_e32 v[2:3], 2, v[3:4]
	s_wait_alu 0xfffd
	v_add_co_ci_u32_e64 v14, null, s7, v14, vcc_lo
	s_clause 0x1
	global_load_b32 v29, v[9:10], off
	global_load_b32 v30, v[13:14], off
	v_add_co_u32 v2, vcc_lo, s6, v2
	s_wait_alu 0xfffd
	v_add_co_ci_u32_e64 v3, null, s7, v3, vcc_lo
	v_add_co_u32 v9, vcc_lo, s6, v11
	s_wait_alu 0xfffd
	v_add_co_ci_u32_e64 v10, null, s7, v12, vcc_lo
	s_clause 0x1
	global_load_b32 v2, v[2:3], off
	global_load_b32 v3, v[9:10], off
	ds_load_2addr_b64 v[9:12], v21 offset1:1
	ds_load_2addr_b64 v[13:16], v21 offset0:2 offset1:3
	ds_load_2addr_b64 v[17:20], v21 offset0:4 offset1:5
	ds_load_2addr_b64 v[21:24], v21 offset0:6 offset1:7
	v_add_nc_u32_e32 v1, 0x400, v1
	s_wait_dscnt 0x1
	v_sub_f32_e32 v19, v19, v6
	v_sub_f32_e32 v11, v11, v6
	s_wait_dscnt 0x0
	v_sub_f32_e32 v23, v23, v6
	s_delay_alu instid0(VALU_DEP_3) | instskip(NEXT) | instid1(VALU_DEP_3)
	v_dual_sub_f32 v13, v13, v6 :: v_dual_mul_f32 v36, 0x3fb8aa3b, v19
	v_mul_f32_e32 v32, 0x3fb8aa3b, v11
	s_delay_alu instid0(VALU_DEP_2) | instskip(SKIP_1) | instid1(VALU_DEP_4)
	v_dual_mul_f32 v38, 0x3fb8aa3b, v23 :: v_dual_mul_f32 v33, 0x3fb8aa3b, v13
	v_cmp_ngt_f32_e32 vcc_lo, 0xc2ce8ed0, v13
	v_xor_b32_e32 v49, 0x80000000, v36
	s_delay_alu instid0(VALU_DEP_4) | instskip(SKIP_4) | instid1(VALU_DEP_4)
	v_xor_b32_e32 v41, 0x80000000, v32
	v_rndne_f32_e32 v42, v32
	v_xor_b32_e32 v43, 0x80000000, v33
	v_rndne_f32_e32 v44, v33
	v_rndne_f32_e32 v50, v36
	v_dual_fmac_f32 v41, 0x3fb8aa3b, v11 :: v_dual_sub_f32 v32, v32, v42
	s_delay_alu instid0(VALU_DEP_4) | instskip(NEXT) | instid1(VALU_DEP_4)
	v_fmac_f32_e32 v43, 0x3fb8aa3b, v13
	v_sub_f32_e32 v33, v33, v44
	v_cvt_i32_f32_e32 v42, v42
	s_delay_alu instid0(VALU_DEP_4) | instskip(SKIP_3) | instid1(VALU_DEP_4)
	v_fmac_f32_e32 v41, 0x32a5705f, v11
	v_sub_f32_e32 v15, v15, v6
	v_fmac_f32_e32 v43, 0x32a5705f, v13
	v_cvt_i32_f32_e32 v44, v44
	v_dual_fmac_f32 v49, 0x3fb8aa3b, v19 :: v_dual_add_f32 v32, v32, v41
	s_delay_alu instid0(VALU_DEP_4) | instskip(NEXT) | instid1(VALU_DEP_4)
	v_dual_sub_f32 v9, v9, v6 :: v_dual_mul_f32 v34, 0x3fb8aa3b, v15
	v_add_f32_e32 v33, v33, v43
	v_cmp_ngt_f32_e64 s0, 0xc2ce8ed0, v15
	s_delay_alu instid0(VALU_DEP_4) | instskip(NEXT) | instid1(VALU_DEP_3)
	v_exp_f32_e32 v32, v32
	v_mul_f32_e32 v31, 0x3fb8aa3b, v9
	v_xor_b32_e32 v45, 0x80000000, v34
	v_rndne_f32_e32 v46, v34
	v_exp_f32_e32 v33, v33
	v_cmp_ngt_f32_e64 s5, 0xc2ce8ed0, v9
	v_xor_b32_e32 v39, 0x80000000, v31
	v_rndne_f32_e32 v40, v31
	v_dual_fmac_f32 v45, 0x3fb8aa3b, v15 :: v_dual_sub_f32 v34, v34, v46
	s_delay_alu instid0(TRANS32_DEP_2) | instskip(NEXT) | instid1(VALU_DEP_4)
	v_ldexp_f32 v32, v32, v42
	v_fmac_f32_e32 v39, 0x3fb8aa3b, v9
	s_delay_alu instid0(VALU_DEP_4)
	v_sub_f32_e32 v31, v31, v40
	v_cvt_i32_f32_e32 v40, v40
	v_fmac_f32_e32 v45, 0x32a5705f, v15
	v_sub_f32_e32 v17, v17, v6
	v_fmac_f32_e32 v39, 0x32a5705f, v9
	v_ldexp_f32 v33, v33, v44
	v_cvt_i32_f32_e32 v46, v46
	v_add_f32_e32 v34, v34, v45
	s_delay_alu instid0(VALU_DEP_4) | instskip(SKIP_2) | instid1(VALU_DEP_4)
	v_dual_sub_f32 v36, v36, v50 :: v_dual_add_f32 v31, v31, v39
	v_fmac_f32_e32 v49, 0x32a5705f, v19
	v_xor_b32_e32 v53, 0x80000000, v38
	v_exp_f32_e32 v34, v34
	v_cvt_i32_f32_e32 v50, v50
	v_exp_f32_e32 v31, v31
	v_add_f32_e32 v36, v36, v49
	v_cmp_ngt_f32_e64 s1, 0xc2ce8ed0, v17
	v_rndne_f32_e32 v54, v38
	v_cmp_ngt_f32_e64 s2, 0xc2ce8ed0, v19
	s_delay_alu instid0(VALU_DEP_4) | instskip(NEXT) | instid1(TRANS32_DEP_3)
	v_exp_f32_e32 v36, v36
	v_ldexp_f32 v34, v34, v46
	s_delay_alu instid0(VALU_DEP_3) | instskip(NEXT) | instid1(TRANS32_DEP_2)
	v_sub_f32_e32 v38, v38, v54
	v_ldexp_f32 v31, v31, v40
	v_cvt_i32_f32_e32 v54, v54
	s_wait_alu 0xf1ff
	s_delay_alu instid0(VALU_DEP_2) | instskip(SKIP_1) | instid1(TRANS32_DEP_1)
	v_cndmask_b32_e64 v31, 0, v31, s5
	v_cmp_ngt_f32_e64 s5, 0xc2ce8ed0, v11
	v_ldexp_f32 v36, v36, v50
	s_wait_alu 0xf1ff
	s_delay_alu instid0(VALU_DEP_2) | instskip(SKIP_2) | instid1(VALU_DEP_1)
	v_cndmask_b32_e64 v32, 0, v32, s5
	v_cmp_nlt_f32_e64 s5, 0x42b17218, v9
	s_wait_alu 0xf1ff
	v_cndmask_b32_e64 v9, 0x7f800000, v31, s5
	s_wait_alu 0xfffd
	v_cndmask_b32_e32 v31, 0, v33, vcc_lo
	v_cmp_nlt_f32_e32 vcc_lo, 0x42b17218, v11
	s_wait_alu 0xfffd
	v_dual_fmac_f32 v8, v9, v10 :: v_dual_cndmask_b32 v11, 0x7f800000, v32
	v_cmp_nlt_f32_e32 vcc_lo, 0x42b17218, v13
	s_delay_alu instid0(VALU_DEP_2)
	v_fmac_f32_e32 v8, v11, v12
	s_wait_alu 0xfffd
	v_cndmask_b32_e32 v10, 0x7f800000, v31, vcc_lo
	v_cmp_nlt_f32_e32 vcc_lo, 0x42b17218, v15
	v_fmac_f32_e32 v53, 0x3fb8aa3b, v23
	v_cmp_ngt_f32_e64 s4, 0xc2ce8ed0, v23
	s_delay_alu instid0(VALU_DEP_2) | instskip(NEXT) | instid1(VALU_DEP_1)
	v_dual_fmac_f32 v8, v10, v14 :: v_dual_fmac_f32 v53, 0x32a5705f, v23
	v_dual_sub_f32 v21, v21, v6 :: v_dual_add_f32 v38, v38, v53
	s_delay_alu instid0(VALU_DEP_1) | instskip(NEXT) | instid1(VALU_DEP_2)
	v_cmp_ngt_f32_e64 s3, 0xc2ce8ed0, v21
	v_exp_f32_e32 v38, v38
	s_delay_alu instid0(TRANS32_DEP_1) | instskip(SKIP_4) | instid1(VALU_DEP_1)
	v_ldexp_f32 v38, v38, v54
	s_wait_loadcnt 0x7
	v_fmac_f32_e32 v7, v25, v9
	v_cndmask_b32_e64 v9, 0, v34, s0
	s_wait_alu 0xfffd
	v_cndmask_b32_e32 v9, 0x7f800000, v9, vcc_lo
	s_wait_loadcnt 0x6
	v_fmac_f32_e32 v7, v26, v11
	v_cmp_nlt_f32_e32 vcc_lo, 0x42b17218, v17
	s_delay_alu instid0(VALU_DEP_3) | instskip(SKIP_1) | instid1(VALU_DEP_3)
	v_dual_fmac_f32 v8, v9, v16 :: v_dual_mul_f32 v35, 0x3fb8aa3b, v17
	s_wait_loadcnt 0x5
	v_fmac_f32_e32 v7, v27, v10
	s_delay_alu instid0(VALU_DEP_2) | instskip(SKIP_2) | instid1(VALU_DEP_3)
	v_xor_b32_e32 v47, 0x80000000, v35
	v_rndne_f32_e32 v48, v35
	v_cndmask_b32_e64 v10, 0, v36, s2
	v_fmac_f32_e32 v47, 0x3fb8aa3b, v17
	s_delay_alu instid0(VALU_DEP_3) | instskip(SKIP_1) | instid1(VALU_DEP_3)
	v_sub_f32_e32 v35, v35, v48
	v_cvt_i32_f32_e32 v48, v48
	v_fmac_f32_e32 v47, 0x32a5705f, v17
	s_wait_loadcnt 0x4
	v_fmac_f32_e32 v7, v28, v9
	s_delay_alu instid0(VALU_DEP_2) | instskip(NEXT) | instid1(VALU_DEP_1)
	v_add_f32_e32 v35, v35, v47
	v_exp_f32_e32 v35, v35
	s_delay_alu instid0(TRANS32_DEP_1) | instskip(NEXT) | instid1(VALU_DEP_1)
	v_ldexp_f32 v35, v35, v48
	v_cndmask_b32_e64 v11, 0, v35, s1
	s_wait_alu 0xfffd
	s_delay_alu instid0(VALU_DEP_1) | instskip(SKIP_1) | instid1(VALU_DEP_2)
	v_cndmask_b32_e32 v11, 0x7f800000, v11, vcc_lo
	v_cmp_nlt_f32_e32 vcc_lo, 0x42b17218, v19
	v_fmac_f32_e32 v8, v11, v18
	s_wait_alu 0xfffd
	v_cndmask_b32_e32 v10, 0x7f800000, v10, vcc_lo
	v_mul_f32_e32 v37, 0x3fb8aa3b, v21
	s_wait_loadcnt 0x3
	v_fmac_f32_e32 v7, v29, v11
	v_cmp_nlt_f32_e32 vcc_lo, 0x42b17218, v21
	s_wait_alu 0xf1ff
	v_cndmask_b32_e64 v11, 0, v38, s4
	v_fmac_f32_e32 v8, v10, v20
	v_xor_b32_e32 v51, 0x80000000, v37
	v_rndne_f32_e32 v52, v37
	s_wait_loadcnt 0x2
	v_fmac_f32_e32 v7, v30, v10
	s_delay_alu instid0(VALU_DEP_3) | instskip(NEXT) | instid1(VALU_DEP_3)
	v_fmac_f32_e32 v51, 0x3fb8aa3b, v21
	v_sub_f32_e32 v37, v37, v52
	v_cvt_i32_f32_e32 v52, v52
	s_delay_alu instid0(VALU_DEP_3) | instskip(NEXT) | instid1(VALU_DEP_1)
	v_fmac_f32_e32 v51, 0x32a5705f, v21
	v_add_f32_e32 v37, v37, v51
	s_delay_alu instid0(VALU_DEP_1) | instskip(NEXT) | instid1(TRANS32_DEP_1)
	v_exp_f32_e32 v37, v37
	v_ldexp_f32 v37, v37, v52
	s_delay_alu instid0(VALU_DEP_1) | instskip(SKIP_1) | instid1(VALU_DEP_1)
	v_cndmask_b32_e64 v9, 0, v37, s3
	s_wait_alu 0xfffd
	v_cndmask_b32_e32 v9, 0x7f800000, v9, vcc_lo
	v_cmp_nlt_f32_e32 vcc_lo, 0x42b17218, v23
	s_delay_alu instid0(VALU_DEP_2) | instskip(SKIP_4) | instid1(VALU_DEP_1)
	v_fmac_f32_e32 v8, v9, v22
	s_wait_loadcnt 0x1
	s_wait_alu 0xfffd
	v_dual_cndmask_b32 v10, 0x7f800000, v11 :: v_dual_fmac_f32 v7, v2, v9
	s_wait_loadcnt 0x0
	v_dual_fmac_f32 v8, v10, v24 :: v_dual_fmac_f32 v7, v3, v10
	s_cbranch_scc0 .LBB17_14
; %bb.15:
	s_and_b32 s0, s10, 7
	s_wait_alu 0xfffe
	s_cmp_eq_u32 s0, 0
	s_cbranch_scc0 .LBB17_18
	s_branch .LBB17_20
.LBB17_16:
	v_mov_b32_e32 v0, 0x7fc00000
	s_branch .LBB17_21
.LBB17_17:
	v_dual_mov_b32 v7, 0 :: v_dual_mov_b32 v8, 0
	s_mov_b32 s12, 0
	s_and_b32 s0, s10, 7
	s_wait_alu 0xfffe
	s_cmp_eq_u32 s0, 0
	s_cbranch_scc1 .LBB17_20
.LBB17_18:
	v_lshl_or_b32 v0, s12, 7, v0
	v_mov_b32_e32 v1, 0
	s_lshl_b32 s1, s12, 3
	s_wait_alu 0xfffe
	s_add_co_i32 s1, s1, 0
.LBB17_19:                              ; =>This Inner Loop Header: Depth=1
	s_delay_alu instid0(VALU_DEP_1) | instskip(SKIP_2) | instid1(VALU_DEP_2)
	v_lshlrev_b64_e32 v[2:3], 2, v[0:1]
	s_add_co_i32 s0, s0, -1
	v_add_nc_u32_e32 v0, 0x80, v0
	v_add_co_u32 v2, vcc_lo, s6, v2
	s_wait_alu 0xfffd
	s_delay_alu instid0(VALU_DEP_3)
	v_add_co_ci_u32_e64 v3, null, s7, v3, vcc_lo
	global_load_b32 v4, v[2:3], off
	s_wait_alu 0xfffe
	v_mov_b32_e32 v2, s1
	s_add_co_i32 s1, s1, 8
	s_cmp_lg_u32 s0, 0
	ds_load_b64 v[2:3], v2
	s_wait_dscnt 0x0
	v_sub_f32_e32 v2, v2, v6
	s_delay_alu instid0(VALU_DEP_1) | instskip(SKIP_1) | instid1(VALU_DEP_2)
	v_mul_f32_e32 v9, 0x3fb8aa3b, v2
	v_cmp_ngt_f32_e32 vcc_lo, 0xc2ce8ed0, v2
	v_xor_b32_e32 v10, 0x80000000, v9
	v_rndne_f32_e32 v11, v9
	s_delay_alu instid0(VALU_DEP_1) | instskip(NEXT) | instid1(VALU_DEP_1)
	v_dual_fmac_f32 v10, 0x3fb8aa3b, v2 :: v_dual_sub_f32 v9, v9, v11
	v_fmac_f32_e32 v10, 0x32a5705f, v2
	s_delay_alu instid0(VALU_DEP_1) | instskip(SKIP_1) | instid1(VALU_DEP_2)
	v_add_f32_e32 v9, v9, v10
	v_cvt_i32_f32_e32 v10, v11
	v_exp_f32_e32 v9, v9
	s_delay_alu instid0(TRANS32_DEP_1) | instskip(SKIP_1) | instid1(VALU_DEP_1)
	v_ldexp_f32 v9, v9, v10
	s_wait_alu 0xfffd
	v_cndmask_b32_e32 v9, 0, v9, vcc_lo
	v_cmp_nlt_f32_e32 vcc_lo, 0x42b17218, v2
	s_wait_alu 0xfffd
	s_delay_alu instid0(VALU_DEP_2) | instskip(SKIP_1) | instid1(VALU_DEP_1)
	v_cndmask_b32_e32 v2, 0x7f800000, v9, vcc_lo
	s_wait_loadcnt 0x0
	v_dual_fmac_f32 v8, v2, v3 :: v_dual_fmac_f32 v7, v4, v2
	s_cbranch_scc1 .LBB17_19
.LBB17_20:
	s_delay_alu instid0(VALU_DEP_1) | instskip(NEXT) | instid1(VALU_DEP_1)
	v_div_scale_f32 v0, null, v8, v8, v7
	v_rcp_f32_e32 v1, v0
	s_delay_alu instid0(TRANS32_DEP_1) | instskip(NEXT) | instid1(VALU_DEP_1)
	v_fma_f32 v2, -v0, v1, 1.0
	v_fmac_f32_e32 v1, v2, v1
	v_div_scale_f32 v2, vcc_lo, v7, v8, v7
	s_delay_alu instid0(VALU_DEP_1) | instskip(NEXT) | instid1(VALU_DEP_1)
	v_mul_f32_e32 v3, v2, v1
	v_fma_f32 v4, -v0, v3, v2
	s_delay_alu instid0(VALU_DEP_1) | instskip(NEXT) | instid1(VALU_DEP_1)
	v_fmac_f32_e32 v3, v4, v1
	v_fma_f32 v0, -v0, v3, v2
	s_wait_alu 0xfffd
	s_delay_alu instid0(VALU_DEP_1) | instskip(NEXT) | instid1(VALU_DEP_1)
	v_div_fmas_f32 v0, v0, v1, v3
	v_div_fixup_f32 v0, v0, v8, v7
.LBB17_21:
	s_lshl_b32 s0, s11, 7
	s_wait_alu 0xfffe
	s_ashr_i32 s1, s0, 31
	s_wait_alu 0xfffe
	s_lshl_b64 s[0:1], s[0:1], 2
	s_wait_alu 0xfffe
	s_add_nc_u64 s[0:1], s[8:9], s[0:1]
	global_store_b32 v5, v0, s[0:1]
	s_endpgm
	.section	.rodata,"a",@progbits
	.p2align	6, 0x0
	.amdhsa_kernel _ZL26flash_attn_combine_resultsILi128EEvPKfPK15HIP_vector_typeIfLj2EEPfi
		.amdhsa_group_segment_fixed_size 0
		.amdhsa_private_segment_fixed_size 0
		.amdhsa_kernarg_size 288
		.amdhsa_user_sgpr_count 2
		.amdhsa_user_sgpr_dispatch_ptr 0
		.amdhsa_user_sgpr_queue_ptr 0
		.amdhsa_user_sgpr_kernarg_segment_ptr 1
		.amdhsa_user_sgpr_dispatch_id 0
		.amdhsa_user_sgpr_private_segment_size 0
		.amdhsa_wavefront_size32 1
		.amdhsa_uses_dynamic_stack 0
		.amdhsa_enable_private_segment 0
		.amdhsa_system_sgpr_workgroup_id_x 1
		.amdhsa_system_sgpr_workgroup_id_y 1
		.amdhsa_system_sgpr_workgroup_id_z 1
		.amdhsa_system_sgpr_workgroup_info 0
		.amdhsa_system_vgpr_workitem_id 0
		.amdhsa_next_free_vgpr 55
		.amdhsa_next_free_sgpr 16
		.amdhsa_reserve_vcc 1
		.amdhsa_float_round_mode_32 0
		.amdhsa_float_round_mode_16_64 0
		.amdhsa_float_denorm_mode_32 3
		.amdhsa_float_denorm_mode_16_64 3
		.amdhsa_fp16_overflow 0
		.amdhsa_workgroup_processor_mode 1
		.amdhsa_memory_ordered 1
		.amdhsa_forward_progress 1
		.amdhsa_inst_pref_size 21
		.amdhsa_round_robin_scheduling 0
		.amdhsa_exception_fp_ieee_invalid_op 0
		.amdhsa_exception_fp_denorm_src 0
		.amdhsa_exception_fp_ieee_div_zero 0
		.amdhsa_exception_fp_ieee_overflow 0
		.amdhsa_exception_fp_ieee_underflow 0
		.amdhsa_exception_fp_ieee_inexact 0
		.amdhsa_exception_int_div_zero 0
	.end_amdhsa_kernel
	.section	.text._ZL26flash_attn_combine_resultsILi128EEvPKfPK15HIP_vector_typeIfLj2EEPfi,"axG",@progbits,_ZL26flash_attn_combine_resultsILi128EEvPKfPK15HIP_vector_typeIfLj2EEPfi,comdat
.Lfunc_end17:
	.size	_ZL26flash_attn_combine_resultsILi128EEvPKfPK15HIP_vector_typeIfLj2EEPfi, .Lfunc_end17-_ZL26flash_attn_combine_resultsILi128EEvPKfPK15HIP_vector_typeIfLj2EEPfi
                                        ; -- End function
	.set _ZL26flash_attn_combine_resultsILi128EEvPKfPK15HIP_vector_typeIfLj2EEPfi.num_vgpr, 55
	.set _ZL26flash_attn_combine_resultsILi128EEvPKfPK15HIP_vector_typeIfLj2EEPfi.num_agpr, 0
	.set _ZL26flash_attn_combine_resultsILi128EEvPKfPK15HIP_vector_typeIfLj2EEPfi.numbered_sgpr, 16
	.set _ZL26flash_attn_combine_resultsILi128EEvPKfPK15HIP_vector_typeIfLj2EEPfi.num_named_barrier, 0
	.set _ZL26flash_attn_combine_resultsILi128EEvPKfPK15HIP_vector_typeIfLj2EEPfi.private_seg_size, 0
	.set _ZL26flash_attn_combine_resultsILi128EEvPKfPK15HIP_vector_typeIfLj2EEPfi.uses_vcc, 1
	.set _ZL26flash_attn_combine_resultsILi128EEvPKfPK15HIP_vector_typeIfLj2EEPfi.uses_flat_scratch, 0
	.set _ZL26flash_attn_combine_resultsILi128EEvPKfPK15HIP_vector_typeIfLj2EEPfi.has_dyn_sized_stack, 0
	.set _ZL26flash_attn_combine_resultsILi128EEvPKfPK15HIP_vector_typeIfLj2EEPfi.has_recursion, 0
	.set _ZL26flash_attn_combine_resultsILi128EEvPKfPK15HIP_vector_typeIfLj2EEPfi.has_indirect_call, 0
	.section	.AMDGPU.csdata,"",@progbits
; Kernel info:
; codeLenInByte = 2564
; TotalNumSgprs: 18
; NumVgprs: 55
; ScratchSize: 0
; MemoryBound: 0
; FloatMode: 240
; IeeeMode: 1
; LDSByteSize: 0 bytes/workgroup (compile time only)
; SGPRBlocks: 0
; VGPRBlocks: 6
; NumSGPRsForWavesPerEU: 18
; NumVGPRsForWavesPerEU: 55
; Occupancy: 16
; WaveLimiterHint : 0
; COMPUTE_PGM_RSRC2:SCRATCH_EN: 0
; COMPUTE_PGM_RSRC2:USER_SGPR: 2
; COMPUTE_PGM_RSRC2:TRAP_HANDLER: 0
; COMPUTE_PGM_RSRC2:TGID_X_EN: 1
; COMPUTE_PGM_RSRC2:TGID_Y_EN: 1
; COMPUTE_PGM_RSRC2:TGID_Z_EN: 1
; COMPUTE_PGM_RSRC2:TIDIG_COMP_CNT: 0
	.section	.text._ZL18flash_attn_ext_vecILi128ELi1EL9ggml_type3ELS0_2ELb1EEvPKcS2_S2_S2_S2_PKiPfP15HIP_vector_typeIfLj2EEffffjfiS6_IjLj3EEiiiiiiiiiiiliiliiiiil,"axG",@progbits,_ZL18flash_attn_ext_vecILi128ELi1EL9ggml_type3ELS0_2ELb1EEvPKcS2_S2_S2_S2_PKiPfP15HIP_vector_typeIfLj2EEffffjfiS6_IjLj3EEiiiiiiiiiiiliiliiiiil,comdat
	.globl	_ZL18flash_attn_ext_vecILi128ELi1EL9ggml_type3ELS0_2ELb1EEvPKcS2_S2_S2_S2_PKiPfP15HIP_vector_typeIfLj2EEffffjfiS6_IjLj3EEiiiiiiiiiiiliiliiiiil ; -- Begin function _ZL18flash_attn_ext_vecILi128ELi1EL9ggml_type3ELS0_2ELb1EEvPKcS2_S2_S2_S2_PKiPfP15HIP_vector_typeIfLj2EEffffjfiS6_IjLj3EEiiiiiiiiiiiliiliiiiil
	.p2align	8
	.type	_ZL18flash_attn_ext_vecILi128ELi1EL9ggml_type3ELS0_2ELb1EEvPKcS2_S2_S2_S2_PKiPfP15HIP_vector_typeIfLj2EEffffjfiS6_IjLj3EEiiiiiiiiiiiliiliiiiil,@function
_ZL18flash_attn_ext_vecILi128ELi1EL9ggml_type3ELS0_2ELb1EEvPKcS2_S2_S2_S2_PKiPfP15HIP_vector_typeIfLj2EEffffjfiS6_IjLj3EEiiiiiiiiiiiliiliiiiil: ; @_ZL18flash_attn_ext_vecILi128ELi1EL9ggml_type3ELS0_2ELb1EEvPKcS2_S2_S2_S2_PKiPfP15HIP_vector_typeIfLj2EEffffjfiS6_IjLj3EEiiiiiiiiiiiliiliiiiil
; %bb.0:
	s_clause 0x2
	s_load_b64 s[24:25], s[0:1], 0x64
	s_load_b64 s[30:31], s[0:1], 0x80
	s_load_b64 s[40:41], s[0:1], 0xb8
	s_lshr_b32 s4, ttmp7, 16
	s_clause 0x1
	s_load_b128 s[20:23], s[0:1], 0x40
	s_load_b64 s[34:35], s[0:1], 0x50
	v_mov_b32_e32 v45, 1.0
	s_mov_b32 s39, 0
	s_wait_kmcnt 0x0
	s_cvt_f32_u32 s2, s25
	s_sub_co_i32 s3, 0, s25
	s_delay_alu instid0(SALU_CYCLE_2) | instskip(NEXT) | instid1(TRANS32_DEP_1)
	v_rcp_iflag_f32_e32 v1, s2
	v_readfirstlane_b32 s2, v1
	s_mul_f32 s2, s2, 0x4f7ffffe
	s_wait_alu 0xfffe
	s_delay_alu instid0(SALU_CYCLE_2) | instskip(SKIP_1) | instid1(SALU_CYCLE_2)
	s_cvt_u32_f32 s2, s2
	s_wait_alu 0xfffe
	s_mul_i32 s3, s3, s2
	s_wait_alu 0xfffe
	s_mul_hi_u32 s3, s2, s3
	s_wait_alu 0xfffe
	s_add_co_i32 s2, s2, s3
	s_wait_alu 0xfffe
	s_mul_hi_u32 s2, s4, s2
	s_wait_alu 0xfffe
	s_mul_i32 s3, s2, s25
	s_add_co_i32 s5, s2, 1
	s_wait_alu 0xfffe
	s_sub_co_i32 s3, s4, s3
	s_wait_alu 0xfffe
	s_sub_co_i32 s6, s3, s25
	s_cmp_ge_u32 s3, s25
	s_cselect_b32 s2, s5, s2
	s_cselect_b32 s3, s6, s3
	s_wait_alu 0xfffe
	s_add_co_i32 s5, s2, 1
	s_cmp_ge_u32 s3, s25
	s_cselect_b32 s26, s5, s2
	s_abs_i32 s2, s31
	s_abs_i32 s7, s25
	s_wait_alu 0xfffe
	s_cvt_f32_u32 s3, s2
	s_sub_co_i32 s5, 0, s2
	s_xor_b32 s6, s25, s31
	s_wait_alu 0xfffe
	v_rcp_iflag_f32_e32 v1, s3
	s_ashr_i32 s6, s6, 31
	s_delay_alu instid0(TRANS32_DEP_1) | instskip(SKIP_2) | instid1(SALU_CYCLE_2)
	v_readfirstlane_b32 s3, v1
	s_mul_f32 s3, s3, 0x4f7ffffe
	s_wait_alu 0xfffe
	s_cvt_u32_f32 s3, s3
	s_wait_alu 0xfffe
	s_delay_alu instid0(SALU_CYCLE_2) | instskip(NEXT) | instid1(SALU_CYCLE_1)
	s_mul_i32 s5, s5, s3
	s_mul_hi_u32 s5, s3, s5
	s_delay_alu instid0(SALU_CYCLE_1)
	s_add_co_i32 s3, s3, s5
	s_mul_i32 s5, s26, s25
	s_wait_alu 0xfffe
	s_mul_hi_u32 s3, s7, s3
	s_sub_co_i32 s28, s4, s5
	s_wait_alu 0xfffe
	s_mul_i32 s8, s3, s2
	s_add_co_i32 s5, s3, 1
	s_sub_co_i32 s4, s7, s8
	s_delay_alu instid0(SALU_CYCLE_1)
	s_sub_co_i32 s7, s4, s2
	s_cmp_ge_u32 s4, s2
	s_cselect_b32 s3, s5, s3
	s_cselect_b32 s4, s7, s4
	s_wait_alu 0xfffe
	s_add_co_i32 s5, s3, 1
	s_cmp_ge_u32 s4, s2
	s_cselect_b32 s2, s5, s3
	s_abs_i32 s48, s40
	s_wait_alu 0xfffe
	s_xor_b32 s2, s2, s6
	s_sub_co_i32 s4, 0, s48
	s_wait_alu 0xfffe
	s_sub_co_i32 s27, s2, s6
	s_cvt_f32_u32 s2, s48
	s_abs_i32 s50, s27
	s_abs_i32 s38, s28
	s_cvt_f32_u32 s3, s50
	s_wait_alu 0xfffe
	v_rcp_iflag_f32_e32 v1, s2
	s_sub_co_i32 s5, 0, s50
	s_abs_i32 s36, s26
	v_rcp_iflag_f32_e32 v2, s3
	s_delay_alu instid0(TRANS32_DEP_2) | instskip(NEXT) | instid1(TRANS32_DEP_1)
	v_readfirstlane_b32 s2, v1
	v_readfirstlane_b32 s3, v2
	s_mul_f32 s2, s2, 0x4f7ffffe
	s_mul_f32 s3, s3, 0x4f7ffffe
	s_wait_alu 0xfffe
	s_delay_alu instid0(SALU_CYCLE_1) | instskip(NEXT) | instid1(SALU_CYCLE_1)
	s_cvt_u32_f32 s2, s2
	s_cvt_u32_f32 s3, s3
	s_wait_alu 0xfffe
	s_delay_alu instid0(SALU_CYCLE_1) | instskip(NEXT) | instid1(SALU_CYCLE_1)
	s_mul_i32 s4, s4, s2
	s_mul_hi_u32 s4, s2, s4
	s_mul_i32 s5, s5, s3
	s_add_co_i32 s42, s2, s4
	s_mul_hi_u32 s5, s3, s5
	s_delay_alu instid0(SALU_CYCLE_1)
	s_add_co_i32 s44, s3, s5
	s_cmp_le_f32 s21, 0
	s_cbranch_scc1 .LBB18_2
; %bb.1:
	v_sub_co_u32 v1, s2, s28, s34
	s_and_b32 s4, s2, exec_lo
	s_cselect_b32 s4, s22, s23
	s_add_co_i32 s5, s28, 1
	v_readfirstlane_b32 s3, v1
	s_lshl_b32 s3, s3, 1
	s_wait_alu 0xfffe
	s_or_b32 s3, s3, 1
	s_and_b32 s2, s2, exec_lo
	s_wait_alu 0xfffe
	s_cselect_b32 s2, s5, s3
	s_cmp_neq_f32 s4, 1.0
	s_wait_alu 0xfffe
	s_cvt_f32_i32 s2, s2
	s_wait_alu 0xfffe
	s_delay_alu instid0(SALU_CYCLE_2)
	s_cselect_b32 s3, s2, 1.0
	s_wait_alu 0xfffe
	s_cmp_neq_f32 s3, 0
	s_cselect_b32 s2, s4, 1.0
	s_wait_alu 0xfffe
	v_frexp_mant_f32_e64 v1, |s2|
	s_delay_alu instid0(VALU_DEP_1) | instskip(SKIP_3) | instid1(SALU_CYCLE_1)
	v_readfirstlane_b32 s4, v1
	v_cvt_f64_f32_e64 v[1:2], |s2|
	s_cmp_lt_f32 s4, 0x3f2aaaab
	s_cselect_b32 s5, -1, 0
	s_and_b32 s6, s5, exec_lo
	s_cselect_b32 s6, 2.0, 1.0
	s_delay_alu instid0(SALU_CYCLE_1) | instskip(NEXT) | instid1(SALU_CYCLE_3)
	s_mul_f32 s4, s4, s6
	s_add_f32 s6, s4, 1.0
	s_add_f32 s8, s4, -1.0
	s_delay_alu instid0(SALU_CYCLE_2) | instskip(SKIP_1) | instid1(SALU_CYCLE_3)
	v_s_rcp_f32 s7, s6
	s_add_f32 s11, s6, -1.0
	s_sub_f32 s4, s4, s11
	s_delay_alu instid0(TRANS32_DEP_1) | instskip(NEXT) | instid1(SALU_CYCLE_3)
	s_mul_f32 s9, s8, s7
	s_mul_f32 s10, s6, s9
	s_delay_alu instid0(SALU_CYCLE_3) | instskip(NEXT) | instid1(VALU_DEP_1)
	s_xor_b32 s12, s10, 0x80000000
	v_frexp_exp_i32_f64_e32 v1, v[1:2]
	s_fmac_f32 s12, s9, s6
	s_delay_alu instid0(SALU_CYCLE_3) | instskip(NEXT) | instid1(SALU_CYCLE_3)
	s_fmac_f32 s12, s9, s4
	s_add_f32 s4, s10, s12
	s_delay_alu instid0(SALU_CYCLE_3) | instskip(SKIP_2) | instid1(SALU_CYCLE_1)
	s_sub_f32 s6, s8, s4
	s_sub_f32 s10, s4, s10
	s_wait_alu 0xfffe
	s_sub_f32 s8, s8, s6
	s_delay_alu instid0(SALU_CYCLE_1) | instskip(NEXT) | instid1(SALU_CYCLE_2)
	s_sub_f32 s10, s10, s12
	s_sub_f32 s4, s8, s4
	s_delay_alu instid0(SALU_CYCLE_3) | instskip(SKIP_1) | instid1(SALU_CYCLE_2)
	s_add_f32 s4, s10, s4
	s_mov_b32 s10, 0x3e76c4e1
	s_add_f32 s4, s6, s4
	s_delay_alu instid0(SALU_CYCLE_3) | instskip(NEXT) | instid1(SALU_CYCLE_3)
	s_mul_f32 s4, s7, s4
	s_add_f32 s6, s9, s4
	s_wait_alu 0xfffe
	s_delay_alu instid0(SALU_CYCLE_2) | instskip(SKIP_2) | instid1(SALU_CYCLE_1)
	s_sub_f32 s7, s6, s9
	s_mul_f32 s8, s6, s6
	s_wait_alu 0xfffe
	s_sub_f32 s4, s4, s7
	s_delay_alu instid0(SALU_CYCLE_1) | instskip(SKIP_4) | instid1(SALU_CYCLE_2)
	s_xor_b32 s7, s8, 0x80000000
	s_wait_alu 0xfffe
	s_fmac_f32 s7, s6, s6
	s_add_f32 s9, s4, s4
	s_wait_alu 0xfffe
	s_fmac_f32 s7, s6, s9
	s_wait_alu 0xfffe
	s_delay_alu instid0(SALU_CYCLE_2) | instskip(NEXT) | instid1(SALU_CYCLE_3)
	s_add_f32 s9, s8, s7
	s_fmaak_f32 s10, s9, s10, 0x3e91f4c4
	s_sub_f32 s8, s9, s8
	s_delay_alu instid0(SALU_CYCLE_2) | instskip(NEXT) | instid1(SALU_CYCLE_2)
	s_fmaak_f32 s10, s9, s10, 0x3ecccdef
	s_sub_f32 s7, s7, s8
	s_mul_f32 s8, s6, s9
	s_delay_alu instid0(SALU_CYCLE_1) | instskip(NEXT) | instid1(SALU_CYCLE_2)
	s_mul_f32 s11, s9, s10
	s_xor_b32 s13, s8, 0x80000000
	s_delay_alu instid0(SALU_CYCLE_2) | instskip(SKIP_2) | instid1(SALU_CYCLE_2)
	s_xor_b32 s12, s11, 0x80000000
	s_fmac_f32 s13, s9, s6
	s_fmac_f32 s12, s9, s10
	;; [unrolled: 1-line block ×3, first 2 shown]
	s_wait_alu 0xfffe
	s_delay_alu instid0(SALU_CYCLE_1) | instskip(NEXT) | instid1(SALU_CYCLE_1)
	s_fmac_f32 s12, s7, s10
	s_fmac_f32 s13, s7, s6
	s_delay_alu instid0(SALU_CYCLE_2) | instskip(NEXT) | instid1(SALU_CYCLE_3)
	s_add_f32 s10, s11, s12
	s_sub_f32 s11, s10, s11
	s_add_f32 s14, s10, 0x3f2aaaaa
	s_delay_alu instid0(SALU_CYCLE_2) | instskip(NEXT) | instid1(SALU_CYCLE_2)
	s_sub_f32 s11, s12, s11
	s_add_f32 s12, s14, 0xbf2aaaaa
	s_delay_alu instid0(SALU_CYCLE_2) | instskip(NEXT) | instid1(SALU_CYCLE_2)
	s_add_f32 s9, s11, 0x31739010
	s_sub_f32 s10, s10, s12
	s_delay_alu instid0(SALU_CYCLE_3) | instskip(SKIP_2) | instid1(SALU_CYCLE_1)
	s_add_f32 s7, s9, s10
	s_add_f32 s9, s8, s13
	s_wait_alu 0xfffe
	s_add_f32 s10, s14, s7
	s_delay_alu instid0(SALU_CYCLE_1) | instskip(NEXT) | instid1(SALU_CYCLE_2)
	s_sub_f32 s8, s9, s8
	s_mul_f32 s11, s9, s10
	s_sub_f32 s12, s14, s10
	s_delay_alu instid0(SALU_CYCLE_1) | instskip(NEXT) | instid1(SALU_CYCLE_1)
	s_sub_f32 s8, s13, s8
	s_xor_b32 s14, s11, 0x80000000
	s_delay_alu instid0(SALU_CYCLE_1)
	s_add_f32 s7, s7, s12
	s_fmac_f32 s14, s9, s10
	v_readfirstlane_b32 s12, v1
	v_ldexp_f32 v1, s6, 1
	s_cmp_lg_u32 s5, 0
	s_wait_alu 0xfffe
	s_fmac_f32 s14, s9, s7
	s_sub_co_ci_u32 s5, s12, 0
	v_readfirstlane_b32 s6, v1
	s_delay_alu instid0(SALU_CYCLE_1) | instskip(SKIP_2) | instid1(SALU_CYCLE_1)
	s_fmac_f32 s14, s8, s10
	s_cvt_f32_i32 s5, s5
	v_ldexp_f32 v1, s4, 1
	s_add_f32 s7, s11, s14
	s_delay_alu instid0(SALU_CYCLE_1) | instskip(NEXT) | instid1(VALU_DEP_1)
	s_mul_f32 s4, s5, 0x3f317218
	v_readfirstlane_b32 s10, v1
	s_wait_alu 0xfffe
	s_add_f32 s8, s6, s7
	s_sub_f32 s9, s7, s11
	s_xor_b32 s11, s4, 0x80000000
	s_delay_alu instid0(SALU_CYCLE_1) | instskip(NEXT) | instid1(SALU_CYCLE_1)
	s_sub_f32 s6, s8, s6
	s_sub_f32 s9, s14, s9
	s_fmamk_f32 s11, s5, 0x3f317218, s11
	s_wait_alu 0xfffe
	s_sub_f32 s6, s7, s6
	s_add_f32 s7, s10, s9
	s_fmamk_f32 s5, s5, 0xb102e308, s11
	s_wait_alu 0xfffe
	s_delay_alu instid0(SALU_CYCLE_1) | instskip(NEXT) | instid1(SALU_CYCLE_1)
	s_add_f32 s6, s7, s6
	s_add_f32 s7, s4, s5
	s_wait_alu 0xfffe
	s_delay_alu instid0(SALU_CYCLE_1) | instskip(NEXT) | instid1(SALU_CYCLE_1)
	s_add_f32 s9, s8, s6
	s_sub_f32 s4, s7, s4
	s_delay_alu instid0(SALU_CYCLE_2)
	s_add_f32 s10, s7, s9
	s_sub_f32 s8, s9, s8
	s_wait_alu 0xfffe
	s_sub_f32 s4, s5, s4
	s_sub_f32 s11, s10, s7
	;; [unrolled: 1-line block ×3, first 2 shown]
	s_delay_alu instid0(SALU_CYCLE_2)
	s_sub_f32 s12, s10, s11
	s_sub_f32 s6, s9, s11
	s_wait_alu 0xfffe
	s_add_f32 s8, s4, s5
	s_sub_f32 s7, s7, s12
	s_wait_alu 0xfffe
	s_delay_alu instid0(SALU_CYCLE_2) | instskip(SKIP_2) | instid1(SALU_CYCLE_1)
	s_add_f32 s6, s6, s7
	s_sub_f32 s7, s8, s4
	s_wait_alu 0xfffe
	s_add_f32 s6, s8, s6
	s_delay_alu instid0(SALU_CYCLE_1) | instskip(SKIP_4) | instid1(SALU_CYCLE_2)
	s_sub_f32 s8, s8, s7
	s_sub_f32 s5, s5, s7
	s_wait_alu 0xfffe
	s_add_f32 s9, s10, s6
	s_sub_f32 s4, s4, s8
	s_sub_f32 s7, s9, s10
	s_wait_alu 0xfffe
	s_delay_alu instid0(SALU_CYCLE_1) | instskip(NEXT) | instid1(SALU_CYCLE_1)
	s_add_f32 s4, s5, s4
	s_sub_f32 s5, s6, s7
	s_wait_alu 0xfffe
	s_delay_alu instid0(SALU_CYCLE_2) | instskip(SKIP_1) | instid1(SALU_CYCLE_2)
	s_add_f32 s4, s4, s5
	s_wait_alu 0xfffe
	s_add_f32 s5, s9, s4
	s_wait_alu 0xfffe
	s_delay_alu instid0(SALU_CYCLE_2) | instskip(SKIP_2) | instid1(SALU_CYCLE_1)
	s_mul_f32 s6, s3, s5
	s_sub_f32 s7, s5, s9
	s_wait_alu 0xfffe
	s_xor_b32 s8, s6, 0x80000000
	s_delay_alu instid0(SALU_CYCLE_1) | instskip(SKIP_2) | instid1(SALU_CYCLE_2)
	s_sub_f32 s4, s4, s7
	s_fmac_f32 s8, s3, s5
	s_wait_alu 0xfffe
	s_fmac_f32 s8, s3, s4
	v_cmp_class_f32_e64 s4, s6, 0x204
	s_delay_alu instid0(SALU_CYCLE_2) | instskip(SKIP_2) | instid1(SALU_CYCLE_1)
	s_add_f32 s5, s6, s8
	s_and_b32 s4, s4, exec_lo
	s_wait_alu 0xfffe
	s_sub_f32 s4, s5, s6
	s_cselect_b32 s5, s6, s5
	s_wait_alu 0xfffe
	s_and_b32 s6, s5, 0x7fffffff
	s_sub_f32 s4, s8, s4
	s_wait_alu 0xfffe
	s_cmp_neq_f32 s6, 0x7f800000
	s_delay_alu instid0(SALU_CYCLE_1)
	s_cselect_b32 s4, s4, 0
	s_cmp_eq_f32 s5, 0x42b17218
	s_cselect_b32 s6, 0x37000000, 0
	s_wait_alu 0xfffe
	s_sub_f32 s5, s5, s6
	s_add_f32 s4, s6, s4
	s_wait_alu 0xfffe
	s_delay_alu instid0(SALU_CYCLE_1) | instskip(SKIP_1) | instid1(SALU_CYCLE_2)
	s_mul_f32 s7, s5, 0x3fb8aa3b
	s_wait_alu 0xfffe
	s_xor_b32 s8, s7, 0x80000000
	s_rndne_f32 s9, s7
	s_fmamk_f32 s8, s5, 0x3fb8aa3b, s8
	s_cmp_nlt_f32 s5, 0xc2ce8ed0
	s_delay_alu instid0(SALU_CYCLE_1) | instskip(NEXT) | instid1(SALU_CYCLE_1)
	s_sub_f32 s7, s7, s9
	s_fmamk_f32 s8, s5, 0x32a5705f, s8
	s_cselect_b32 vcc_lo, -1, 0
	s_cmp_ngt_f32 s5, 0x42b17218
	s_trunc_f32 s5, s3
	s_wait_alu 0xfffe
	s_add_f32 s7, s7, s8
	s_cvt_i32_f32 s8, s9
	s_wait_alu 0xfffe
	s_delay_alu instid0(SALU_CYCLE_1) | instskip(SKIP_1) | instid1(TRANS32_DEP_1)
	v_s_exp_f32 s7, s7
	s_wait_alu 0xf1ff
	v_ldexp_f32 v1, s7, s8
	s_mul_f32 s7, s3, 0.5
	s_delay_alu instid0(VALU_DEP_1)
	v_cndmask_b32_e32 v1, 0, v1, vcc_lo
	s_cselect_b32 vcc_lo, -1, 0
	s_cmp_eq_f32 s5, s3
	s_wait_alu 0xfffe
	s_trunc_f32 s8, s7
	v_cndmask_b32_e32 v1, 0x7f800000, v1, vcc_lo
	s_cselect_b32 s9, -1, 0
	s_wait_alu 0xfffe
	s_cmp_neq_f32 s8, s7
	s_delay_alu instid0(VALU_DEP_1)
	v_fma_f32 v2, s4, v1, v1
	v_cmp_class_f32_e64 vcc_lo, v1, 0x204
	s_cselect_b32 s6, -1, 0
	s_wait_alu 0xfffe
	s_and_b32 s4, s9, s6
	s_wait_alu 0xfffd
	v_cndmask_b32_e32 v1, v2, v1, vcc_lo
	s_wait_alu 0xfffe
	s_and_b32 s6, s4, exec_lo
	s_cselect_b32 s6, s2, 1.0
	s_cmp_eq_f32 s5, s3
	v_cmp_class_f32_e64 s5, s2, 0x204
	s_wait_alu 0xfffe
	v_bfi_b32 v1, 0x7fffffff, v1, s6
	s_cselect_b32 vcc_lo, -1, 0
	s_cmp_lt_f32 s2, 0
	s_wait_alu 0xfffe
	s_delay_alu instid0(VALU_DEP_1) | instskip(SKIP_3) | instid1(VALU_DEP_1)
	v_cndmask_b32_e32 v2, 0x7fc00000, v1, vcc_lo
	s_cselect_b32 vcc_lo, -1, 0
	s_cmp_eq_f32 s2, 0
	s_wait_alu 0xfffe
	v_cndmask_b32_e32 v1, v1, v2, vcc_lo
	s_cselect_b32 s6, -1, 0
	s_wait_alu 0xfffe
	s_or_b32 vcc_lo, s6, s5
	s_cmp_lt_f32 s3, 0
	s_cselect_b32 s3, -1, 0
	s_wait_alu 0xfffe
	s_xor_b32 s3, s3, s6
	s_wait_alu 0xfffe
	s_and_b32 s3, s3, exec_lo
	s_cselect_b32 s3, 0, 0x7f800000
	s_and_b32 s4, s4, exec_lo
	s_cselect_b32 s4, s2, 0
	s_cmp_o_f32 s2, s2
	s_wait_alu 0xfffe
	v_mov_b32_e32 v2, s4
	s_delay_alu instid0(VALU_DEP_1) | instskip(NEXT) | instid1(VALU_DEP_1)
	v_bfi_b32 v2, 0x7fffffff, s3, v2
	v_cndmask_b32_e32 v1, v1, v2, vcc_lo
	s_cselect_b32 vcc_lo, -1, 0
	s_wait_alu 0xfffe
	s_delay_alu instid0(VALU_DEP_1)
	v_cndmask_b32_e32 v45, 0x7fc00000, v1, vcc_lo
.LBB18_2:
	s_load_b512 s[4:19], s[0:1], 0x0
	v_bfe_u32 v42, v0, 10, 10
	v_and_b32_e32 v43, 0x3ff, v0
	v_mbcnt_lo_u32_b32 v44, -1, 0
	s_mov_b32 s45, s39
	s_mov_b32 s37, s39
	v_cmp_eq_u32_e64 s2, 0, v42
	s_mov_b32 s43, s39
	s_and_saveexec_b32 s21, s2
	s_cbranch_execz .LBB18_7
; %bb.3:
	s_load_b96 s[52:54], s[0:1], 0x70
	v_lshlrev_b32_e32 v0, 4, v43
	v_xor_b32_e32 v11, 1, v44
	s_wait_kmcnt 0x0
	s_mul_i32 s3, s26, s54
	s_mul_i32 s22, s52, ttmp9
	s_mul_i32 s23, s28, s53
	s_wait_alu 0xfffe
	s_add_co_i32 s3, s3, s22
	s_wait_alu 0xfffe
	s_add_co_i32 s22, s3, s23
	s_delay_alu instid0(SALU_CYCLE_1) | instskip(NEXT) | instid1(SALU_CYCLE_1)
	s_ashr_i32 s23, s22, 31
	s_add_nc_u64 s[4:5], s[4:5], s[22:23]
	global_load_b128 v[7:10], v0, s[4:5]
	v_xor_b32_e32 v0, 4, v44
	s_delay_alu instid0(VALU_DEP_1) | instskip(SKIP_3) | instid1(VALU_DEP_1)
	v_cmp_gt_i32_e32 vcc_lo, 32, v0
	s_wait_alu 0xfffd
	v_cndmask_b32_e32 v0, v44, v0, vcc_lo
	s_wait_loadcnt 0x0
	v_dual_mul_f32 v1, s20, v7 :: v_dual_lshlrev_b32 v0, 2, v0
	v_mul_f32_e32 v4, s20, v8
	v_xor_b32_e32 v8, 2, v44
	v_mul_f32_e32 v5, s20, v10
	s_delay_alu instid0(VALU_DEP_3) | instskip(NEXT) | instid1(VALU_DEP_3)
	v_max_num_f32_e64 v2, |v1|, |v4|
	v_cmp_gt_i32_e32 vcc_lo, 32, v8
	v_fma_f32 v7, s20, v7, v4
	s_wait_alu 0xfffd
	v_cndmask_b32_e32 v8, v44, v8, vcc_lo
	v_cmp_gt_i32_e32 vcc_lo, 32, v11
	v_mul_f32_e32 v6, s20, v9
	v_fmac_f32_e32 v7, s20, v9
	s_wait_alu 0xfffd
	v_cndmask_b32_e32 v11, v44, v11, vcc_lo
	s_delay_alu instid0(VALU_DEP_3) | instskip(NEXT) | instid1(VALU_DEP_3)
	v_max3_num_f32 v2, v2, |v6|, |v5|
	v_fmac_f32_e32 v7, s20, v10
	s_mov_b32 s20, exec_lo
	s_delay_alu instid0(VALU_DEP_3) | instskip(SKIP_3) | instid1(VALU_DEP_1)
	v_lshlrev_b32_e32 v11, 2, v11
	ds_bpermute_b32 v3, v0, v2
	s_wait_dscnt 0x0
	v_dual_max_num_f32 v3, v3, v3 :: v_dual_lshlrev_b32 v8, 2, v8
	v_max_num_f32_e32 v2, v2, v3
	ds_bpermute_b32 v3, v8, v2
	s_wait_dscnt 0x0
	v_max_num_f32_e32 v3, v3, v3
	ds_bpermute_b32 v0, v0, v7
	v_max_num_f32_e32 v2, v2, v3
	ds_bpermute_b32 v3, v11, v2
	s_wait_dscnt 0x1
	v_add_f32_e32 v0, v7, v0
	s_wait_dscnt 0x0
	v_max_num_f32_e32 v3, v3, v3
	s_delay_alu instid0(VALU_DEP_1) | instskip(SKIP_3) | instid1(VALU_DEP_2)
	v_max_num_f32_e32 v9, v2, v3
	ds_bpermute_b32 v3, v8, v0
	v_div_scale_f32 v10, null, 0x42fe0000, 0x42fe0000, v9
	v_div_scale_f32 v7, vcc_lo, v9, 0x42fe0000, v9
	v_rcp_f32_e32 v12, v10
	s_delay_alu instid0(TRANS32_DEP_1) | instskip(NEXT) | instid1(VALU_DEP_1)
	v_fma_f32 v2, -v10, v12, 1.0
	v_fmac_f32_e32 v12, v2, v12
	s_wait_dscnt 0x0
	v_add_f32_e32 v2, v0, v3
	s_delay_alu instid0(VALU_DEP_2) | instskip(SKIP_2) | instid1(VALU_DEP_1)
	v_mul_f32_e32 v8, v7, v12
	ds_bpermute_b32 v3, v11, v2
	v_fma_f32 v13, -v10, v8, v7
	v_fmac_f32_e32 v8, v13, v12
	s_delay_alu instid0(VALU_DEP_1) | instskip(SKIP_2) | instid1(VALU_DEP_2)
	v_fma_f32 v0, -v10, v8, v7
	v_mov_b32_e32 v7, 0
	s_wait_alu 0xfffd
	v_div_fmas_f32 v0, v0, v12, v8
	s_delay_alu instid0(VALU_DEP_1) | instskip(NEXT) | instid1(VALU_DEP_1)
	v_div_fixup_f32 v0, v0, 0x42fe0000, v9
	v_cmpx_neq_f32_e32 0, v0
	s_cbranch_execz .LBB18_5
; %bb.4:
	v_div_scale_f32 v7, null, v0, v0, v1
	v_div_scale_f32 v8, null, v0, v0, v4
	;; [unrolled: 1-line block ×3, first 2 shown]
	s_delay_alu instid0(VALU_DEP_3) | instskip(SKIP_1) | instid1(VALU_DEP_3)
	v_rcp_f32_e32 v9, v7
	v_div_scale_f32 v11, null, v0, v0, v5
	v_rcp_f32_e32 v12, v8
	s_delay_alu instid0(VALU_DEP_2) | instskip(SKIP_1) | instid1(VALU_DEP_2)
	v_rcp_f32_e32 v13, v10
	v_div_scale_f32 v17, vcc_lo, v1, v0, v1
	v_rcp_f32_e32 v14, v11
	v_fma_f32 v15, -v7, v9, 1.0
	s_delay_alu instid0(TRANS32_DEP_3) | instskip(NEXT) | instid1(TRANS32_DEP_2)
	v_fma_f32 v16, -v8, v12, 1.0
	v_fma_f32 v18, -v10, v13, 1.0
	s_delay_alu instid0(VALU_DEP_3) | instskip(SKIP_1) | instid1(TRANS32_DEP_1)
	v_fmac_f32_e32 v9, v15, v9
	v_div_scale_f32 v15, s3, v4, v0, v4
	v_fma_f32 v19, -v11, v14, 1.0
	s_delay_alu instid0(VALU_DEP_4) | instskip(SKIP_1) | instid1(VALU_DEP_3)
	v_dual_fmac_f32 v12, v16, v12 :: v_dual_fmac_f32 v13, v18, v13
	v_div_scale_f32 v16, s4, v6, v0, v6
	v_dual_fmac_f32 v14, v19, v14 :: v_dual_mul_f32 v19, v17, v9
	s_delay_alu instid0(VALU_DEP_3) | instskip(SKIP_1) | instid1(VALU_DEP_4)
	v_mul_f32_e32 v20, v15, v12
	v_div_scale_f32 v18, s5, v5, v0, v5
	v_mul_f32_e32 v21, v16, v13
	s_delay_alu instid0(VALU_DEP_4) | instskip(NEXT) | instid1(VALU_DEP_4)
	v_fma_f32 v23, -v7, v19, v17
	v_fma_f32 v24, -v8, v20, v15
	s_delay_alu instid0(VALU_DEP_4) | instskip(NEXT) | instid1(VALU_DEP_4)
	v_mul_f32_e32 v22, v18, v14
	v_fma_f32 v25, -v10, v21, v16
	s_delay_alu instid0(VALU_DEP_3) | instskip(NEXT) | instid1(VALU_DEP_3)
	v_dual_fmac_f32 v19, v23, v9 :: v_dual_fmac_f32 v20, v24, v12
	v_fma_f32 v26, -v11, v22, v18
	s_delay_alu instid0(VALU_DEP_3) | instskip(NEXT) | instid1(VALU_DEP_3)
	v_fmac_f32_e32 v21, v25, v13
	v_fma_f32 v7, -v7, v19, v17
	s_delay_alu instid0(VALU_DEP_4) | instskip(NEXT) | instid1(VALU_DEP_4)
	v_fma_f32 v8, -v8, v20, v15
	v_fmac_f32_e32 v22, v26, v14
	s_delay_alu instid0(VALU_DEP_4)
	v_fma_f32 v10, -v10, v21, v16
	s_wait_alu 0xfffd
	v_div_fmas_f32 v7, v7, v9, v19
	s_mov_b32 vcc_lo, s3
	s_wait_alu 0xfffe
	v_div_fmas_f32 v8, v8, v12, v20
	s_mov_b32 vcc_lo, s4
	v_div_fixup_f32 v1, v7, v0, v1
	s_wait_alu 0xfffe
	v_div_fmas_f32 v9, v10, v13, v21
	v_fma_f32 v10, -v11, v22, v18
	s_mov_b32 vcc_lo, s5
	v_div_fixup_f32 v4, v8, v0, v4
	v_trunc_f32_e32 v12, v1
	v_div_fixup_f32 v6, v9, v0, v6
	s_wait_alu 0xfffe
	v_div_fmas_f32 v9, v10, v14, v22
	s_delay_alu instid0(VALU_DEP_2) | instskip(NEXT) | instid1(VALU_DEP_2)
	v_trunc_f32_e32 v8, v6
	v_div_fixup_f32 v5, v9, v0, v5
	v_trunc_f32_e32 v9, v4
	s_delay_alu instid0(VALU_DEP_3) | instskip(NEXT) | instid1(VALU_DEP_3)
	v_sub_f32_e32 v10, v6, v8
	v_trunc_f32_e32 v7, v5
	s_delay_alu instid0(VALU_DEP_3) | instskip(NEXT) | instid1(VALU_DEP_3)
	v_sub_f32_e32 v11, v4, v9
	v_cmp_ge_f32_e64 s3, |v10|, 0.5
	s_wait_alu 0xf1ff
	s_delay_alu instid0(VALU_DEP_1) | instskip(NEXT) | instid1(VALU_DEP_3)
	v_cndmask_b32_e64 v10, 0, 1.0, s3
	v_cmp_ge_f32_e64 s3, |v11|, 0.5
	s_delay_alu instid0(VALU_DEP_2) | instskip(SKIP_2) | instid1(VALU_DEP_3)
	v_bfi_b32 v6, 0x7fffffff, v10, v6
	v_sub_f32_e32 v13, v5, v7
	s_wait_alu 0xf1ff
	v_cndmask_b32_e64 v11, 0, 1.0, s3
	s_delay_alu instid0(VALU_DEP_3) | instskip(NEXT) | instid1(VALU_DEP_3)
	v_add_f32_e32 v6, v8, v6
	v_cmp_ge_f32_e64 s3, |v13|, 0.5
	s_delay_alu instid0(VALU_DEP_3) | instskip(NEXT) | instid1(VALU_DEP_3)
	v_bfi_b32 v4, 0x7fffffff, v11, v4
	v_cvt_i32_f32_e32 v6, v6
	s_wait_alu 0xf1ff
	s_delay_alu instid0(VALU_DEP_3) | instskip(NEXT) | instid1(VALU_DEP_2)
	v_cndmask_b32_e64 v13, 0, 1.0, s3
	v_and_b32_e32 v6, 0xff, v6
	s_delay_alu instid0(VALU_DEP_2) | instskip(SKIP_1) | instid1(VALU_DEP_2)
	v_bfi_b32 v5, 0x7fffffff, v13, v5
	v_sub_f32_e32 v10, v1, v12
	v_dual_add_f32 v5, v7, v5 :: v_dual_lshlrev_b32 v6, 16, v6
	s_delay_alu instid0(VALU_DEP_2) | instskip(NEXT) | instid1(VALU_DEP_2)
	v_cmp_ge_f32_e64 s3, |v10|, 0.5
	v_cvt_i32_f32_e32 v5, v5
	s_wait_alu 0xf1ff
	s_delay_alu instid0(VALU_DEP_2) | instskip(NEXT) | instid1(VALU_DEP_2)
	v_cndmask_b32_e64 v8, 0, 1.0, s3
	v_lshl_or_b32 v5, v5, 24, v6
	s_delay_alu instid0(VALU_DEP_2) | instskip(NEXT) | instid1(VALU_DEP_1)
	v_bfi_b32 v1, 0x7fffffff, v8, v1
	v_dual_add_f32 v4, v9, v4 :: v_dual_add_f32 v1, v12, v1
	s_delay_alu instid0(VALU_DEP_1) | instskip(NEXT) | instid1(VALU_DEP_2)
	v_cvt_i32_f32_e32 v4, v4
	v_cvt_i32_f32_e32 v1, v1
	s_delay_alu instid0(VALU_DEP_2) | instskip(NEXT) | instid1(VALU_DEP_2)
	v_and_b32_e32 v4, 0xff, v4
	v_and_b32_e32 v1, 0xff, v1
	s_delay_alu instid0(VALU_DEP_2) | instskip(NEXT) | instid1(VALU_DEP_1)
	v_lshlrev_b32_e32 v4, 8, v4
	v_or3_b32 v7, v5, v4, v1
.LBB18_5:
	s_wait_alu 0xfffe
	s_or_b32 exec_lo, exec_lo, s20
	v_and_b32_e32 v1, 7, v43
	v_lshlrev_b32_e32 v4, 2, v43
	s_delay_alu instid0(VALU_DEP_2)
	v_cmp_eq_u32_e32 vcc_lo, 0, v1
	ds_store_b32 v4, v7
	s_and_b32 exec_lo, exec_lo, vcc_lo
	s_cbranch_execz .LBB18_7
; %bb.6:
	s_wait_dscnt 0x1
	v_add_f32_e32 v1, v2, v3
	ds_store_b64 v43, v[0:1] offset:128
.LBB18_7:
	s_or_b32 exec_lo, exec_lo, s21
	v_dual_mov_b32 v49, 0 :: v_dual_and_b32 v10, 1, v43
	s_wait_dscnt 0x0
	s_barrier_signal -1
	s_barrier_wait -1
	s_delay_alu instid0(VALU_DEP_1)
	v_lshlrev_b32_e32 v8, 2, v10
	global_inv scope:SCOPE_SE
	s_ashr_i32 s29, s28, 31
	s_ashr_i32 s3, s27, 31
	;; [unrolled: 1-line block ×3, first 2 shown]
	ds_load_2addr_b32 v[24:25], v8 offset1:2
	ds_load_2addr_b32 v[26:27], v8 offset0:4 offset1:6
	ds_load_2addr_b32 v[28:29], v8 offset0:8 offset1:10
	;; [unrolled: 1-line block ×3, first 2 shown]
	ds_load_b128 v[0:3], v49 offset:128
	ds_load_b128 v[4:7], v49 offset:144
	ds_load_2addr_b32 v[32:33], v8 offset0:16 offset1:18
	ds_load_2addr_b32 v[34:35], v8 offset0:20 offset1:22
	;; [unrolled: 1-line block ×4, first 2 shown]
	s_mul_u64 s[44:45], s[38:39], s[44:45]
	s_mul_u64 s[42:43], s[36:37], s[42:43]
	s_wait_kmcnt 0x0
	s_cmp_eq_u64 s[14:15], 0
	s_wait_loadcnt_dscnt 0x0
	s_barrier_signal -1
	s_barrier_wait -1
	global_inv scope:SCOPE_SE
	s_cbranch_scc1 .LBB18_9
; %bb.8:
	s_load_b32 s4, s[0:1], 0xd0
	s_mov_b32 s5, 0
	s_wait_kmcnt 0x0
	s_mul_i32 s4, s4, s26
	s_wait_alu 0xfffe
	s_add_co_i32 s4, s4, ttmp9
	s_wait_alu 0xfffe
	s_lshl_b64 s[4:5], s[4:5], 2
	s_wait_alu 0xfffe
	s_add_nc_u64 s[4:5], s[14:15], s[4:5]
	s_load_b32 s30, s[4:5], 0x0
.LBB18_9:
	v_lshlrev_b32_e32 v9, 5, v42
	s_and_b32 s31, ttmp7, 0xffff
	v_lshlrev_b32_e32 v48, 2, v43
	s_lshl_b32 s33, s31, 7
	s_mov_b32 s5, 0
	v_add_nc_u32_e32 v46, v9, v43
	s_wait_kmcnt 0x0
	s_cmp_ge_i32 s33, s30
	s_delay_alu instid0(VALU_DEP_1)
	v_lshlrev_b32_e32 v47, 1, v46
	s_cbranch_scc1 .LBB18_25
; %bb.10:
	s_clause 0x1
	s_load_b128 s[20:23], s[0:1], 0x98
	s_load_b64 s[14:15], s[0:1], 0x8c
	s_mul_i32 s44, s45, s50
	s_mul_i32 s39, s43, s48
	s_clause 0x2
	s_load_b64 s[46:47], s[0:1], 0xa8
	s_load_b64 s[42:43], s[0:1], 0xc8
	s_load_b32 s4, s[0:1], 0xd4
	s_sub_co_i32 s38, s38, s44
	s_xor_b32 s34, s29, s3
	s_add_co_i32 s37, s45, 1
	s_mul_i32 s40, s41, ttmp9
	s_sub_co_i32 s41, s38, s50
	s_cmp_ge_u32 s38, s50
	v_and_b32_e32 v11, 0x7e, v43
	s_cselect_b32 s37, s37, s45
	s_cselect_b32 s38, s41, s38
	s_add_co_i32 s41, s37, 1
	v_bfe_u32 v13, v43, 3, 27
	s_cmp_ge_u32 s38, s50
	v_cmp_eq_u32_e64 s3, 0, v10
	s_cselect_b32 s37, s41, s37
	s_sub_co_i32 s41, s36, s39
	s_wait_kmcnt 0x0
	v_mul_lo_u32 v40, v9, s22
	s_wait_alu 0xfffe
	s_xor_b32 s36, s37, s34
	v_add_nc_u32_e32 v10, v9, v11
	v_mul_hi_u32_u24_e32 v12, 18, v13
	v_mul_u32_u24_e32 v11, 18, v13
	s_sub_co_i32 s34, s36, s34
	s_sub_co_i32 s44, s41, s48
	s_wait_alu 0xfffe
	s_mul_i32 s36, s34, s15
	v_add_nc_u32_e32 v63, s22, v40
	s_mul_i32 s38, s34, s23
	v_mad_co_u64_u32 v[13:14], null, s46, s26, v[11:12]
	s_ashr_i32 s37, s36, 31
	s_ashr_i32 s39, s38, 31
	v_add_nc_u32_e32 v15, s22, v63
	s_cmp_ge_u32 s41, s48
	s_mul_i32 s15, s47, s26
	s_cselect_b32 s34, s44, s41
	s_mul_i32 s23, s46, s27
	s_wait_alu 0xfffe
	s_sub_co_i32 s41, s34, s48
	v_add_nc_u32_e32 v16, s22, v15
	s_cmp_ge_u32 s34, s48
	v_add3_u32 v14, s23, s15, v14
	s_cselect_b32 s15, s41, s34
	v_and_b32_e32 v20, 12, v48
	s_wait_alu 0xfffe
	s_xor_b32 s15, s15, s27
	v_add_nc_u32_e32 v17, s22, v16
	s_wait_alu 0xfffe
	s_sub_co_i32 s44, s15, s27
	v_ashrrev_i32_e32 v53, 31, v40
	s_ashr_i32 s41, s40, 31
	s_ashr_i32 s45, s44, 31
	s_cmp_lg_u64 s[10:11], 0
	v_add_nc_u32_e32 v19, 31, v9
	v_add_nc_u32_e32 v18, s22, v17
	v_add_co_u32 v11, vcc_lo, v13, v40
	s_mov_b32 s49, s5
	s_add_nc_u64 s[40:41], s[10:11], s[40:41]
	s_mul_u64 s[42:43], s[42:43], s[44:45]
	s_cselect_b32 s10, -1, 0
	s_lshl_b32 s48, s33, 1
	v_add_nc_u32_e32 v21, 30, v9
	v_lshlrev_b32_e32 v41, 1, v10
	s_wait_alu 0xfffd
	v_add_co_ci_u32_e64 v12, null, v14, v53, vcc_lo
	v_add_co_u32 v62, vcc_lo, v13, v20
	s_add_nc_u64 s[42:43], s[42:43], s[48:49]
	v_mul_lo_u32 v70, s22, v19
	v_add_nc_u32_e32 v19, s22, v18
	s_wait_alu 0xfffd
	v_add_co_ci_u32_e64 v73, null, 0, v14, vcc_lo
	v_add_co_u32 v20, vcc_lo, v13, s38
	s_add_nc_u64 s[40:41], s[40:41], s[42:43]
	v_mul_lo_u32 v71, s22, v21
	s_wait_alu 0xfffd
	v_add_co_ci_u32_e64 v21, null, s39, v14, vcc_lo
	v_add_co_u32 v13, vcc_lo, v62, v40
	v_add_co_u32 v40, s11, s40, v41
	v_add_nc_u32_e32 v61, 29, v9
	v_add_co_ci_u32_e64 v41, null, s41, 0, s11
	v_add_nc_u32_e32 v22, s22, v19
	s_wait_alu 0xfffd
	v_add_co_ci_u32_e64 v14, null, v73, v53, vcc_lo
	v_add_co_u32 v40, vcc_lo, v40, 2
	v_add_nc_u32_e32 v74, 28, v9
	v_add_nc_u32_e32 v76, 27, v9
	s_wait_alu 0xfffd
	v_add_co_ci_u32_e64 v41, null, 0, v41, vcc_lo
	v_mul_lo_u32 v75, s22, v61
	v_add_co_u32 v61, vcc_lo, v62, s38
	v_ashrrev_i32_e32 v104, 31, v63
	v_add_nc_u32_e32 v23, s22, v22
	s_wait_alu 0xfffd
	v_add_co_ci_u32_e64 v62, null, s39, v73, vcc_lo
	v_add_co_u32 v106, vcc_lo, v20, v63
	v_mul_lo_u32 v73, s22, v74
	v_mul_lo_u32 v74, s22, v76
	v_ashrrev_i32_e32 v76, 31, v70
	s_wait_alu 0xfffd
	v_add_co_ci_u32_e64 v107, null, v21, v104, vcc_lo
	v_add_co_u32 v108, vcc_lo, v61, v63
	v_add_nc_u32_e32 v49, s22, v23
	s_wait_alu 0xfffd
	v_add_co_ci_u32_e64 v104, null, v62, v104, vcc_lo
	v_add_co_u32 v109, vcc_lo, v61, v70
	v_ashrrev_i32_e32 v77, 31, v71
	s_wait_alu 0xfffd
	v_add_co_ci_u32_e64 v110, null, v62, v76, vcc_lo
	v_add_co_u32 v111, vcc_lo, v20, v70
	v_add_nc_u32_e32 v50, s22, v49
	v_add_nc_u32_e32 v79, 26, v9
	s_wait_alu 0xfffd
	v_add_co_ci_u32_e64 v76, null, v21, v76, vcc_lo
	v_add_co_u32 v112, vcc_lo, v61, v71
	v_ashrrev_i32_e32 v78, 31, v75
	s_wait_alu 0xfffd
	v_add_co_ci_u32_e64 v113, null, v62, v77, vcc_lo
	v_add_co_u32 v114, vcc_lo, v20, v71
	v_add_nc_u32_e32 v80, 25, v9
	s_wait_alu 0xfffd
	v_add_co_ci_u32_e64 v115, null, v21, v77, vcc_lo
	v_add_co_u32 v116, vcc_lo, v61, v75
	v_add_nc_u32_e32 v51, s22, v50
	v_ashrrev_i32_e32 v82, 31, v73
	v_mul_lo_u32 v79, s22, v79
	s_wait_alu 0xfffd
	v_add_co_ci_u32_e64 v117, null, v62, v78, vcc_lo
	v_add_co_u32 v118, vcc_lo, v20, v75
	v_add_nc_u32_e32 v81, 24, v9
	s_wait_alu 0xfffd
	v_add_co_ci_u32_e64 v119, null, v21, v78, vcc_lo
	v_add_co_u32 v120, vcc_lo, v61, v73
	v_ashrrev_i32_e32 v83, 31, v74
	v_mul_lo_u32 v80, s22, v80
	v_add_nc_u32_e32 v52, s22, v51
	s_wait_alu 0xfffd
	v_add_co_ci_u32_e64 v121, null, v62, v82, vcc_lo
	v_add_co_u32 v122, vcc_lo, v20, v73
	v_add_nc_u32_e32 v84, 23, v9
	s_wait_alu 0xfffd
	v_add_co_ci_u32_e64 v123, null, v21, v82, vcc_lo
	v_add_co_u32 v124, vcc_lo, v61, v74
	v_mul_lo_u32 v81, s22, v81
	v_ashrrev_i32_e32 v89, 31, v79
	s_wait_alu 0xfffd
	v_add_co_ci_u32_e64 v125, null, v62, v83, vcc_lo
	v_add_co_u32 v126, vcc_lo, v20, v74
	v_add_nc_u32_e32 v55, s22, v52
	v_add_nc_u32_e32 v85, 22, v9
	s_wait_alu 0xfffd
	v_add_co_ci_u32_e64 v127, null, v21, v83, vcc_lo
	v_add_co_u32 v128, vcc_lo, v61, v79
	v_mul_lo_u32 v84, s22, v84
	v_ashrrev_i32_e32 v90, 31, v80
	s_wait_alu 0xfffd
	v_add_co_ci_u32_e64 v129, null, v62, v89, vcc_lo
	v_add_co_u32 v130, vcc_lo, v20, v79
	v_add_nc_u32_e32 v57, s22, v55
	;; [unrolled: 10-line block ×3, first 2 shown]
	s_wait_alu 0xfffd
	v_add_co_ci_u32_e64 v135, null, v21, v90, vcc_lo
	v_add_co_u32 v136, vcc_lo, v61, v81
	v_add_nc_u32_e32 v60, s22, v57
	v_mul_lo_u32 v86, s22, v86
	v_ashrrev_i32_e32 v92, 31, v84
	s_wait_alu 0xfffd
	v_add_co_ci_u32_e64 v137, null, v62, v91, vcc_lo
	v_add_co_u32 v138, vcc_lo, v20, v81
	v_add_nc_u32_e32 v88, 19, v9
	s_wait_alu 0xfffd
	v_add_co_ci_u32_e64 v139, null, v21, v91, vcc_lo
	v_add_co_u32 v140, vcc_lo, v61, v84
	v_mul_lo_u32 v87, s22, v87
	v_ashrrev_i32_e32 v93, 31, v85
	v_add_nc_u32_e32 v65, s22, v60
	s_wait_alu 0xfffd
	v_add_co_ci_u32_e64 v141, null, v62, v92, vcc_lo
	v_add_co_u32 v142, vcc_lo, v20, v84
	s_wait_alu 0xfffd
	v_add_co_ci_u32_e64 v143, null, v21, v92, vcc_lo
	v_add_co_u32 v144, vcc_lo, v61, v85
	v_mul_lo_u32 v88, s22, v88
	v_ashrrev_i32_e32 v94, 31, v86
	s_wait_alu 0xfffd
	v_add_co_ci_u32_e64 v145, null, v62, v93, vcc_lo
	v_add_co_u32 v146, vcc_lo, v20, v85
	v_add_nc_u32_e32 v68, s22, v65
	s_wait_alu 0xfffd
	v_add_co_ci_u32_e64 v147, null, v21, v93, vcc_lo
	v_add_co_u32 v148, vcc_lo, v61, v86
	v_ashrrev_i32_e32 v95, 31, v87
	s_wait_alu 0xfffd
	v_add_co_ci_u32_e64 v149, null, v62, v94, vcc_lo
	v_add_co_u32 v150, vcc_lo, v20, v86
	v_add_nc_u32_e32 v72, s22, v68
	s_wait_alu 0xfffd
	v_add_co_ci_u32_e64 v151, null, v21, v94, vcc_lo
	v_add_co_u32 v152, vcc_lo, v61, v87
	v_ashrrev_i32_e32 v96, 31, v88
	s_wait_alu 0xfffd
	v_add_co_ci_u32_e64 v153, null, v62, v95, vcc_lo
	v_add_co_u32 v154, vcc_lo, v20, v87
	s_wait_alu 0xfffd
	v_add_co_ci_u32_e64 v155, null, v21, v95, vcc_lo
	v_add_co_u32 v156, vcc_lo, v61, v88
	v_ashrrev_i32_e32 v97, 31, v72
	s_wait_alu 0xfffd
	v_add_co_ci_u32_e64 v157, null, v62, v96, vcc_lo
	v_add_co_u32 v158, vcc_lo, v20, v88
	;; [unrolled: 7-line block ×17, first 2 shown]
	v_and_b32_e32 v50, 30, v44
	s_wait_alu 0xfffd
	v_add_co_ci_u32_e64 v213, null, v21, v102, vcc_lo
	v_add_co_u32 v214, vcc_lo, v61, v16
	v_ashrrev_i32_e32 v105, 31, v15
	s_wait_alu 0xfffd
	v_add_co_ci_u32_e64 v215, null, v62, v103, vcc_lo
	v_add_co_u32 v16, vcc_lo, v20, v16
	v_add_nc_u32_e32 v50, 2, v50
	v_xor_b32_e32 v51, 1, v44
	s_wait_alu 0xfffd
	v_add_co_ci_u32_e64 v216, null, v21, v103, vcc_lo
	v_add_co_u32 v217, vcc_lo, v61, v15
	s_wait_alu 0xfffd
	v_add_co_ci_u32_e64 v218, null, v62, v105, vcc_lo
	v_add_co_u32 v15, vcc_lo, v20, v15
	s_wait_alu 0xfffd
	v_add_co_ci_u32_e64 v20, null, v21, v105, vcc_lo
	v_cmp_lt_i32_e32 vcc_lo, v51, v50
	v_xor_b32_e32 v52, 8, v44
	v_xor_b32_e32 v53, 16, v44
	s_mul_u64 s[40:41], s[20:21], s[26:27]
	s_lshl_b32 s4, s4, 7
	s_wait_alu 0xfffd
	v_cndmask_b32_e32 v21, v44, v51, vcc_lo
	v_xor_b32_e32 v51, 2, v44
	s_mul_i32 s15, s14, s33
	s_wait_alu 0xfffe
	s_mul_i32 s20, s4, s14
	s_add_nc_u64 s[42:43], s[6:7], s[36:37]
	v_lshlrev_b32_e32 v50, 2, v21
	v_xor_b32_e32 v21, 4, v44
	v_cmp_gt_i32_e32 vcc_lo, 32, v51
	s_add_nc_u64 s[38:39], s[8:9], s[38:39]
	s_mul_i32 s11, s22, s33
	s_wait_alu 0xfffd
	v_cndmask_b32_e32 v51, v44, v51, vcc_lo
	v_cmp_gt_i32_e32 vcc_lo, 32, v21
	s_delay_alu instid0(VALU_DEP_2)
	v_lshlrev_b32_e32 v51, 2, v51
	s_wait_alu 0xfffd
	v_cndmask_b32_e32 v21, v44, v21, vcc_lo
	v_mul_lo_u32 v10, v10, s14
	v_cmp_gt_i32_e32 vcc_lo, 32, v52
	s_wait_alu 0xfffd
	v_cndmask_b32_e32 v54, v44, v52, vcc_lo
	v_cmp_gt_i32_e32 vcc_lo, 32, v53
	s_delay_alu instid0(VALU_DEP_4)
	v_add_nc_u32_e32 v60, s14, v10
	v_add_co_u32 v8, s14, s40, v8
	v_lshlrev_b32_e32 v52, 2, v21
	s_wait_alu 0xfffd
	v_cndmask_b32_e32 v55, v44, v53, vcc_lo
	v_ashrrev_i32_e32 v21, 31, v60
	s_wait_alu 0xf1ff
	v_add_co_ci_u32_e64 v61, null, s41, 0, s14
	v_lshlrev_b32_e32 v53, 2, v54
	v_lshlrev_b32_e32 v54, 2, v55
	v_lshlrev_b32_e32 v55, 1, v9
	v_add_co_u32 v9, vcc_lo, v8, v60
	s_wait_alu 0xfffd
	v_add_co_ci_u32_e64 v57, null, v61, v21, vcc_lo
	s_delay_alu instid0(VALU_DEP_2) | instskip(SKIP_1) | instid1(VALU_DEP_2)
	v_add_co_u32 v56, vcc_lo, s42, v9
	s_wait_alu 0xfffd
	v_add_co_ci_u32_e64 v57, null, s43, v57, vcc_lo
	s_wait_alu 0xfffe
	v_add_co_u32 v58, vcc_lo, s38, v11
	s_wait_alu 0xfffd
	v_add_co_ci_u32_e64 v59, null, s39, v12, vcc_lo
	v_add_co_u32 v8, vcc_lo, v8, s36
	s_add_nc_u64 s[42:43], s[42:43], s[40:41]
	s_wait_alu 0xfffd
	v_add_co_ci_u32_e64 v9, null, s37, v61, vcc_lo
	v_ashrrev_i32_e32 v11, 31, v10
	s_wait_alu 0xfffe
	v_add_co_u32 v60, vcc_lo, s42, v60
	s_wait_alu 0xfffd
	v_add_co_ci_u32_e64 v61, null, s43, v21, vcc_lo
	v_add_co_u32 v8, vcc_lo, v8, v10
	s_wait_alu 0xfffd
	v_add_co_ci_u32_e64 v9, null, v9, v11, vcc_lo
	;; [unrolled: 3-line block ×7, first 2 shown]
	s_add_nc_u64 s[36:37], s[40:41], s[36:37]
	v_add_co_u32 v68, vcc_lo, v8, 2
	s_wait_alu 0xfffe
	s_add_nc_u64 s[6:7], s[6:7], s[36:37]
	s_wait_alu 0xfffd
	v_add_co_ci_u32_e64 v69, null, 0, v9, vcc_lo
	s_wait_alu 0xfffe
	v_add_co_u32 v8, vcc_lo, s6, v10
	s_wait_alu 0xfffd
	v_add_co_ci_u32_e64 v9, null, s7, v11, vcc_lo
	v_add_co_u32 v10, vcc_lo, s8, v109
	s_wait_alu 0xfffd
	v_add_co_ci_u32_e64 v11, null, s9, v110, vcc_lo
	;; [unrolled: 3-line block ×92, first 2 shown]
	v_dual_mov_b32 v49, 0 :: v_dual_and_b32 v192, 4, v43
	v_mov_b32_e32 v10, 0xfeffffff
	v_dual_mov_b32 v8, 0 :: v_dual_mov_b32 v9, 0
	s_mul_i32 s8, s4, s22
	s_lshl_b64 s[6:7], s[4:5], 1
	s_mov_b32 s5, 0xbbbac73d
.LBB18_11:                              ; =>This Inner Loop Header: Depth=1
	v_add_co_u32 v11, vcc_lo, v70, s15
	s_wait_alu 0xfffd
	v_add_co_ci_u32_e64 v12, null, 0, v71, vcc_lo
	v_add_co_u32 v13, vcc_lo, v62, s15
	s_wait_alu 0xfffd
	v_add_co_ci_u32_e64 v14, null, 0, v63, vcc_lo
	global_load_b32 v17, v[11:12], off offset:-60
	s_clause 0x1
	global_load_b32 v15, v[13:14], off offset:4
	global_load_b32 v19, v[13:14], off offset:12
	s_wait_loadcnt 0x2
	v_cvt_f32_f16_e32 v18, v17
	v_lshrrev_b32_e32 v17, 16, v17
	s_delay_alu instid0(VALU_DEP_1) | instskip(SKIP_3) | instid1(VALU_DEP_3)
	v_cvt_f32_f16_e32 v17, v17
	s_wait_loadcnt 0x1
	v_and_b32_e32 v16, 0xf0f0f0f, v15
	v_lshrrev_b32_e32 v15, 4, v15
	v_mul_f32_e32 v17, v1, v17
	s_delay_alu instid0(VALU_DEP_3) | instskip(NEXT) | instid1(VALU_DEP_3)
	v_dot4_i32_iu8 v16, v16, v24, 0 neg_lo:[1,1,0]
	v_dual_mul_f32 v18, v0, v18 :: v_dual_and_b32 v15, 0xf0f0f0f, v15
	s_delay_alu instid0(VALU_DEP_3) | instskip(NEXT) | instid1(VALU_DEP_3)
	v_mul_f32_e32 v17, 0x3e000000, v17
	v_cvt_f32_i32_e32 v16, v16
	s_wait_loadcnt 0x0
	v_and_b32_e32 v20, 0xf0f0f0f, v19
	v_dot4_i32_iu8 v15, v15, v26, 0 neg_lo:[1,1,0]
	s_delay_alu instid0(VALU_DEP_3) | instskip(NEXT) | instid1(VALU_DEP_3)
	v_fma_f32 v16, v18, v16, v17
	v_dot4_i32_iu8 v20, v20, v25, 0 neg_lo:[1,1,0]
	s_delay_alu instid0(VALU_DEP_3) | instskip(NEXT) | instid1(VALU_DEP_3)
	v_cvt_f32_i32_e32 v15, v15
	v_add_f32_e32 v16, 0, v16
	s_delay_alu instid0(VALU_DEP_3) | instskip(NEXT) | instid1(VALU_DEP_3)
	v_cvt_f32_i32_e32 v20, v20
	v_fma_f32 v15, v18, v15, v17
	s_delay_alu instid0(VALU_DEP_2) | instskip(NEXT) | instid1(VALU_DEP_1)
	v_fma_f32 v20, v18, v20, v17
	v_add_f32_e32 v16, v16, v20
	s_delay_alu instid0(VALU_DEP_1) | instskip(SKIP_1) | instid1(VALU_DEP_1)
	v_add_f32_e32 v15, v16, v15
	v_lshrrev_b32_e32 v16, 4, v19
	v_and_b32_e32 v16, 0xf0f0f0f, v16
	s_delay_alu instid0(VALU_DEP_1) | instskip(NEXT) | instid1(VALU_DEP_1)
	v_dot4_i32_iu8 v16, v16, v27, 0 neg_lo:[1,1,0]
	v_cvt_f32_i32_e32 v16, v16
	s_delay_alu instid0(VALU_DEP_1)
	v_fmac_f32_e32 v17, v18, v16
	global_load_b32 v18, v[11:12], off offset:-40
	global_load_b32 v16, v[13:14], off offset:24
	v_add_f32_e32 v15, v15, v17
	s_wait_loadcnt 0x1
	v_cvt_f32_f16_e32 v19, v18
	v_lshrrev_b32_e32 v18, 16, v18
	s_delay_alu instid0(VALU_DEP_1) | instskip(SKIP_3) | instid1(VALU_DEP_3)
	v_cvt_f32_f16_e32 v18, v18
	s_wait_loadcnt 0x0
	v_and_b32_e32 v17, 0xf0f0f0f, v16
	v_lshrrev_b32_e32 v16, 4, v16
	v_mul_f32_e32 v18, v3, v18
	s_delay_alu instid0(VALU_DEP_3) | instskip(NEXT) | instid1(VALU_DEP_3)
	v_dot4_i32_iu8 v17, v17, v28, 0 neg_lo:[1,1,0]
	v_dual_mul_f32 v19, v2, v19 :: v_dual_and_b32 v16, 0xf0f0f0f, v16
	s_delay_alu instid0(VALU_DEP_3) | instskip(NEXT) | instid1(VALU_DEP_3)
	v_mul_f32_e32 v18, 0x3e000000, v18
	v_cvt_f32_i32_e32 v17, v17
	s_delay_alu instid0(VALU_DEP_3) | instskip(NEXT) | instid1(VALU_DEP_2)
	v_dot4_i32_iu8 v16, v16, v30, 0 neg_lo:[1,1,0]
	v_fma_f32 v17, v19, v17, v18
	s_delay_alu instid0(VALU_DEP_2) | instskip(NEXT) | instid1(VALU_DEP_2)
	v_cvt_f32_i32_e32 v16, v16
	v_add_f32_e32 v15, v15, v17
	global_load_b32 v17, v[13:14], off offset:32
	v_fma_f32 v16, v19, v16, v18
	s_wait_loadcnt 0x0
	v_and_b32_e32 v20, 0xf0f0f0f, v17
	s_delay_alu instid0(VALU_DEP_1) | instskip(NEXT) | instid1(VALU_DEP_1)
	v_dot4_i32_iu8 v20, v20, v29, 0 neg_lo:[1,1,0]
	v_cvt_f32_i32_e32 v20, v20
	s_delay_alu instid0(VALU_DEP_1) | instskip(NEXT) | instid1(VALU_DEP_1)
	v_fma_f32 v20, v19, v20, v18
	v_add_f32_e32 v15, v15, v20
	s_delay_alu instid0(VALU_DEP_1) | instskip(SKIP_1) | instid1(VALU_DEP_1)
	v_add_f32_e32 v15, v15, v16
	v_lshrrev_b32_e32 v16, 4, v17
	v_and_b32_e32 v16, 0xf0f0f0f, v16
	s_delay_alu instid0(VALU_DEP_1) | instskip(NEXT) | instid1(VALU_DEP_1)
	v_dot4_i32_iu8 v16, v16, v31, 0 neg_lo:[1,1,0]
	v_cvt_f32_i32_e32 v16, v16
	s_delay_alu instid0(VALU_DEP_1)
	v_fmac_f32_e32 v18, v19, v16
	global_load_b32 v16, v[13:14], off offset:44
	v_add_f32_e32 v15, v15, v18
	s_clause 0x1
	global_load_b32 v18, v[11:12], off offset:-20
	global_load_b32 v11, v[11:12], off
	s_wait_loadcnt 0x2
	v_and_b32_e32 v17, 0xf0f0f0f, v16
	v_lshrrev_b32_e32 v16, 4, v16
	s_wait_loadcnt 0x1
	v_cvt_f32_f16_e32 v19, v18
	v_lshrrev_b32_e32 v18, 16, v18
	v_dot4_i32_iu8 v17, v17, v32, 0 neg_lo:[1,1,0]
	v_and_b32_e32 v16, 0xf0f0f0f, v16
	s_wait_loadcnt 0x0
	v_cvt_f32_f16_e32 v12, v11
	v_mul_f32_e32 v19, v4, v19
	v_cvt_f32_f16_e32 v18, v18
	v_cvt_f32_i32_e32 v17, v17
	v_dot4_i32_iu8 v16, v16, v34, 0 neg_lo:[1,1,0]
	v_lshrrev_b32_e32 v11, 16, v11
	s_delay_alu instid0(VALU_DEP_4) | instskip(NEXT) | instid1(VALU_DEP_3)
	v_mul_f32_e32 v18, v5, v18
	v_cvt_f32_i32_e32 v16, v16
	s_delay_alu instid0(VALU_DEP_3) | instskip(NEXT) | instid1(VALU_DEP_1)
	v_cvt_f32_f16_e32 v11, v11
	v_dual_mul_f32 v18, 0x3e000000, v18 :: v_dual_mul_f32 v11, v7, v11
	s_delay_alu instid0(VALU_DEP_1) | instskip(NEXT) | instid1(VALU_DEP_2)
	v_fma_f32 v17, v19, v17, v18
	v_mul_f32_e32 v11, 0x3e000000, v11
	s_delay_alu instid0(VALU_DEP_2) | instskip(SKIP_4) | instid1(VALU_DEP_1)
	v_add_f32_e32 v15, v15, v17
	global_load_b32 v17, v[13:14], off offset:52
	v_fma_f32 v16, v19, v16, v18
	s_wait_loadcnt 0x0
	v_and_b32_e32 v20, 0xf0f0f0f, v17
	v_dot4_i32_iu8 v20, v20, v33, 0 neg_lo:[1,1,0]
	s_delay_alu instid0(VALU_DEP_1) | instskip(NEXT) | instid1(VALU_DEP_1)
	v_cvt_f32_i32_e32 v20, v20
	v_fma_f32 v20, v19, v20, v18
	s_delay_alu instid0(VALU_DEP_1) | instskip(NEXT) | instid1(VALU_DEP_1)
	v_add_f32_e32 v15, v15, v20
	v_add_f32_e32 v15, v15, v16
	v_lshrrev_b32_e32 v16, 4, v17
	s_delay_alu instid0(VALU_DEP_1) | instskip(NEXT) | instid1(VALU_DEP_1)
	v_and_b32_e32 v16, 0xf0f0f0f, v16
	v_dot4_i32_iu8 v16, v16, v35, 0 neg_lo:[1,1,0]
	s_delay_alu instid0(VALU_DEP_1) | instskip(NEXT) | instid1(VALU_DEP_1)
	v_cvt_f32_i32_e32 v16, v16
	v_fmac_f32_e32 v18, v19, v16
	s_clause 0x1
	global_load_b32 v16, v[13:14], off offset:64
	global_load_b32 v13, v[13:14], off offset:72
	v_dual_add_f32 v15, v15, v18 :: v_dual_mul_f32 v12, v6, v12
	s_wait_loadcnt 0x1
	v_and_b32_e32 v17, 0xf0f0f0f, v16
	s_wait_loadcnt 0x0
	v_and_b32_e32 v14, 0xf0f0f0f, v13
	v_lshrrev_b32_e32 v13, 4, v13
	s_delay_alu instid0(VALU_DEP_3) | instskip(NEXT) | instid1(VALU_DEP_3)
	v_dot4_i32_iu8 v17, v17, v36, 0 neg_lo:[1,1,0]
	v_dot4_i32_iu8 v14, v14, v37, 0 neg_lo:[1,1,0]
	s_delay_alu instid0(VALU_DEP_3) | instskip(NEXT) | instid1(VALU_DEP_3)
	v_and_b32_e32 v13, 0xf0f0f0f, v13
	v_cvt_f32_i32_e32 v17, v17
	s_delay_alu instid0(VALU_DEP_3) | instskip(NEXT) | instid1(VALU_DEP_3)
	v_cvt_f32_i32_e32 v14, v14
	v_dot4_i32_iu8 v13, v13, v39, 0 neg_lo:[1,1,0]
	s_delay_alu instid0(VALU_DEP_3) | instskip(NEXT) | instid1(VALU_DEP_2)
	v_fma_f32 v17, v12, v17, v11
	v_cvt_f32_i32_e32 v13, v13
	s_delay_alu instid0(VALU_DEP_2) | instskip(SKIP_1) | instid1(VALU_DEP_1)
	v_add_f32_e32 v15, v15, v17
	v_fma_f32 v14, v12, v14, v11
	v_add_f32_e32 v14, v15, v14
	v_lshrrev_b32_e32 v15, 4, v16
	s_delay_alu instid0(VALU_DEP_1) | instskip(NEXT) | instid1(VALU_DEP_1)
	v_and_b32_e32 v15, 0xf0f0f0f, v15
	v_dot4_i32_iu8 v15, v15, v38, 0 neg_lo:[1,1,0]
	s_delay_alu instid0(VALU_DEP_1) | instskip(NEXT) | instid1(VALU_DEP_1)
	v_cvt_f32_i32_e32 v15, v15
	v_fma_f32 v15, v12, v15, v11
	s_delay_alu instid0(VALU_DEP_1) | instskip(NEXT) | instid1(VALU_DEP_1)
	v_dual_fmac_f32 v11, v12, v13 :: v_dual_add_f32 v14, v14, v15
	v_add_f32_e32 v11, v14, v11
	ds_bpermute_b32 v12, v50, v11
	s_wait_dscnt 0x0
	v_add_f32_e32 v11, v11, v12
                                        ; implicit-def: $vgpr12
	s_delay_alu instid0(VALU_DEP_1)
	v_cmp_ngt_f32_e64 s9, 0x3f200000, |v11|
	s_and_saveexec_b32 s14, s9
	s_wait_alu 0xfffe
	s_xor_b32 s9, exec_lo, s14
	s_cbranch_execz .LBB18_13
; %bb.12:                               ;   in Loop: Header=BB18_11 Depth=1
	v_add_f32_e64 v12, |v11|, |v11|
	s_delay_alu instid0(VALU_DEP_1) | instskip(SKIP_1) | instid1(VALU_DEP_2)
	v_mul_f32_e32 v13, 0x3fb8aa3b, v12
	v_cmp_ngt_f32_e32 vcc_lo, 0xc2ce8ed0, v12
	v_rndne_f32_e32 v14, v13
	v_fma_f32 v15, 0x3fb8aa3b, v12, -v13
	s_delay_alu instid0(VALU_DEP_2) | instskip(NEXT) | instid1(VALU_DEP_2)
	v_sub_f32_e32 v13, v13, v14
	v_fmac_f32_e32 v15, 0x32a5705f, v12
	v_cvt_i32_f32_e32 v14, v14
	s_delay_alu instid0(VALU_DEP_2) | instskip(NEXT) | instid1(VALU_DEP_1)
	v_add_f32_e32 v13, v13, v15
	v_exp_f32_e32 v13, v13
	s_delay_alu instid0(TRANS32_DEP_1) | instskip(SKIP_1) | instid1(VALU_DEP_1)
	v_ldexp_f32 v13, v13, v14
	s_wait_alu 0xfffd
	v_cndmask_b32_e32 v13, 0, v13, vcc_lo
	v_cmp_nlt_f32_e32 vcc_lo, 0x42b17218, v12
	s_wait_alu 0xfffd
	s_delay_alu instid0(VALU_DEP_2) | instskip(NEXT) | instid1(VALU_DEP_1)
	v_cndmask_b32_e32 v12, 0x7f800000, v13, vcc_lo
	v_add_f32_e32 v12, 1.0, v12
	s_delay_alu instid0(VALU_DEP_1) | instskip(NEXT) | instid1(TRANS32_DEP_1)
	v_rcp_f32_e32 v12, v12
	v_fma_f32 v12, v12, -2.0, 1.0
.LBB18_13:                              ;   in Loop: Header=BB18_11 Depth=1
	s_wait_alu 0xfffe
	s_and_not1_saveexec_b32 s9, s9
	s_cbranch_execz .LBB18_15
; %bb.14:                               ;   in Loop: Header=BB18_11 Depth=1
	v_mul_f32_e32 v12, v11, v11
	s_delay_alu instid0(VALU_DEP_1) | instskip(NEXT) | instid1(VALU_DEP_1)
	v_fmaak_f32 v13, s5, v12, 0x3ca908c9
	v_fmaak_f32 v13, v12, v13, 0xbd5c1c4e
	s_delay_alu instid0(VALU_DEP_1) | instskip(NEXT) | instid1(VALU_DEP_1)
	v_fmaak_f32 v13, v12, v13, 0x3e088382
	v_fmaak_f32 v13, v12, v13, 0xbeaaaa99
	s_delay_alu instid0(VALU_DEP_1) | instskip(NEXT) | instid1(VALU_DEP_1)
	v_mul_f32_e64 v13, |v11|, v13
	v_fma_f32 v12, v12, v13, |v11|
.LBB18_15:                              ;   in Loop: Header=BB18_11 Depth=1
	s_wait_alu 0xfffe
	s_or_b32 exec_lo, exec_lo, s9
	s_delay_alu instid0(VALU_DEP_1) | instskip(SKIP_1) | instid1(VALU_DEP_1)
	v_bfi_b32 v11, 0x7fffffff, v12, v11
	s_and_not1_b32 vcc_lo, exec_lo, s10
	v_mul_f32_e32 v11, s35, v11
	s_wait_alu 0xfffe
	s_cbranch_vccnz .LBB18_17
; %bb.16:                               ;   in Loop: Header=BB18_11 Depth=1
	global_load_u16 v12, v[40:41], off offset:-2
	s_wait_loadcnt 0x0
	v_fma_mix_f32 v11, v45, v12, v11 op_sel_hi:[0,1,0]
.LBB18_17:                              ;   in Loop: Header=BB18_11 Depth=1
	v_add_co_u32 v12, vcc_lo, v56, s15
	s_wait_alu 0xfffd
	v_add_co_ci_u32_e64 v13, null, 0, v57, vcc_lo
	v_add_co_u32 v14, vcc_lo, v60, s15
	s_wait_alu 0xfffd
	v_add_co_ci_u32_e64 v15, null, 0, v61, vcc_lo
	global_load_b32 v16, v[12:13], off offset:4
	global_load_b32 v17, v[14:15], off
	s_clause 0x1
	global_load_b32 v18, v[12:13], off offset:12
	global_load_b32 v19, v[12:13], off offset:24
	global_load_b32 v20, v[14:15], off offset:20
	s_clause 0x1
	global_load_b32 v21, v[12:13], off offset:32
	global_load_b32 v22, v[12:13], off offset:44
	global_load_b32 v23, v[14:15], off offset:40
	s_clause 0x1
	global_load_b32 v193, v[12:13], off offset:52
	global_load_b32 v194, v[12:13], off offset:64
	global_load_b32 v14, v[14:15], off offset:60
	global_load_b32 v12, v[12:13], off offset:72
	s_wait_loadcnt 0xa
	v_cvt_f32_f16_e32 v15, v17
	v_lshrrev_b32_e32 v17, 16, v17
	s_wait_loadcnt 0x7
	v_cvt_f32_f16_e64 v197, v20
	v_lshrrev_b32_e32 v20, 16, v20
	s_wait_loadcnt 0x6
	v_dual_mul_f32 v15, v0, v15 :: v_dual_and_b32 v198, 0xf0f0f0f, v21
	s_wait_loadcnt 0x4
	v_cvt_f32_f16_e64 v200, v23
	v_lshrrev_b32_e32 v23, 16, v23
	v_cvt_f32_f16_e32 v17, v17
	v_and_b32_e32 v196, 0xf0f0f0f, v19
	v_cvt_f32_f16_e32 v20, v20
	v_and_b32_e32 v195, 0xf0f0f0f, v18
	;; [unrolled: 2-line block ×3, first 2 shown]
	s_delay_alu instid0(VALU_DEP_4) | instskip(NEXT) | instid1(VALU_DEP_4)
	v_dual_mul_f32 v17, v1, v17 :: v_dual_mul_f32 v20, v3, v20
	v_dot4_i32_iu8 v195, v195, v25, 0 neg_lo:[1,1,0]
	v_lshrrev_b32_e32 v16, 4, v16
	s_delay_alu instid0(VALU_DEP_4) | instskip(NEXT) | instid1(VALU_DEP_4)
	v_dot4_i32_iu8 v13, v13, v24, 0 neg_lo:[1,1,0]
	v_dual_mul_f32 v17, 0x3e000000, v17 :: v_dual_mul_f32 v20, 0x3e000000, v20
	s_delay_alu instid0(VALU_DEP_4) | instskip(SKIP_1) | instid1(VALU_DEP_4)
	v_cvt_f32_i32_e32 v195, v195
	v_lshrrev_b32_e32 v18, 4, v18
	v_cvt_f32_i32_e32 v13, v13
	v_lshrrev_b32_e32 v19, 4, v19
	s_wait_loadcnt 0x1
	v_cvt_f32_f16_e64 v203, v14
	v_fma_f32 v195, v15, v195, v17
	v_and_b32_e32 v18, 0xf0f0f0f, v18
	v_fma_f32 v13, v15, v13, v17
	s_wait_loadcnt 0x0
	v_and_b32_e32 v204, 0xf0f0f0f, v12
	v_lshrrev_b32_e32 v14, 16, v14
	v_dot4_i32_iu8 v196, v196, v28, 0 neg_lo:[1,1,0]
	v_dual_mul_f32 v197, v2, v197 :: v_dual_and_b32 v202, 0xf0f0f0f, v194
	v_dual_add_f32 v13, 0, v13 :: v_dual_and_b32 v16, 0xf0f0f0f, v16
	s_delay_alu instid0(VALU_DEP_3) | instskip(SKIP_2) | instid1(VALU_DEP_4)
	v_cvt_f32_i32_e32 v196, v196
	v_cvt_f32_f16_e32 v14, v14
	v_and_b32_e32 v19, 0xf0f0f0f, v19
	v_add_f32_e32 v13, v13, v195
	v_dot4_i32_iu8 v16, v16, v26, 0 neg_lo:[1,1,0]
	v_mul_f32_e32 v195, v4, v200
	v_dot4_i32_iu8 v18, v18, v27, 0 neg_lo:[1,1,0]
	v_lshrrev_b32_e32 v12, 4, v12
	v_and_b32_e32 v201, 0xf0f0f0f, v193
	v_cvt_f32_i32_e32 v16, v16
	v_lshrrev_b32_e32 v193, 4, v193
	v_cvt_f32_i32_e32 v18, v18
	v_mul_f32_e32 v14, v7, v14
	v_and_b32_e32 v12, 0xf0f0f0f, v12
	v_fma_f32 v16, v15, v16, v17
	v_lshrrev_b32_e32 v21, 4, v21
	v_fmac_f32_e32 v17, v15, v18
	v_dot4_i32_iu8 v18, v19, v30, 0 neg_lo:[1,1,0]
	v_fma_f32 v19, v197, v196, v20
	v_dual_add_f32 v13, v13, v16 :: v_dual_mul_f32 v14, 0x3e000000, v14
	v_dot4_i32_iu8 v198, v198, v29, 0 neg_lo:[1,1,0]
	s_delay_alu instid0(VALU_DEP_4) | instskip(SKIP_1) | instid1(VALU_DEP_4)
	v_cvt_f32_i32_e32 v18, v18
	v_dot4_i32_iu8 v12, v12, v39, 0 neg_lo:[1,1,0]
	v_add_f32_e32 v13, v13, v17
	v_lshrrev_b32_e32 v194, 4, v194
	v_cvt_f32_i32_e32 v16, v198
	v_fma_f32 v18, v197, v18, v20
	v_cvt_f32_i32_e32 v12, v12
	v_add_f32_e32 v13, v13, v19
	v_and_b32_e32 v19, 0xf0f0f0f, v193
	v_fma_f32 v16, v197, v16, v20
	s_delay_alu instid0(VALU_DEP_2) | instskip(NEXT) | instid1(VALU_DEP_2)
	v_dot4_i32_iu8 v19, v19, v35, 0 neg_lo:[1,1,0]
	v_add_f32_e32 v13, v13, v16
	v_dot4_i32_iu8 v16, v202, v36, 0 neg_lo:[1,1,0]
	s_delay_alu instid0(VALU_DEP_3) | instskip(SKIP_1) | instid1(VALU_DEP_4)
	v_cvt_f32_i32_e32 v19, v19
	v_and_b32_e32 v21, 0xf0f0f0f, v21
	v_add_f32_e32 v13, v13, v18
	s_delay_alu instid0(VALU_DEP_4) | instskip(NEXT) | instid1(VALU_DEP_3)
	v_cvt_f32_i32_e32 v16, v16
	v_dot4_i32_iu8 v21, v21, v31, 0 neg_lo:[1,1,0]
	s_delay_alu instid0(VALU_DEP_1) | instskip(SKIP_2) | instid1(VALU_DEP_3)
	v_cvt_f32_i32_e32 v21, v21
	v_and_b32_e32 v199, 0xf0f0f0f, v22
	v_lshrrev_b32_e32 v22, 4, v22
	v_fmac_f32_e32 v20, v197, v21
	s_delay_alu instid0(VALU_DEP_3) | instskip(NEXT) | instid1(VALU_DEP_2)
	v_dot4_i32_iu8 v199, v199, v32, 0 neg_lo:[1,1,0]
	v_dual_add_f32 v13, v13, v20 :: v_dual_mul_f32 v20, v6, v203
	s_delay_alu instid0(VALU_DEP_4) | instskip(SKIP_1) | instid1(VALU_DEP_4)
	v_dual_mul_f32 v22, v5, v23 :: v_dual_and_b32 v17, 0xf0f0f0f, v22
	v_dot4_i32_iu8 v15, v201, v33, 0 neg_lo:[1,1,0]
	v_cvt_f32_i32_e32 v23, v199
	s_delay_alu instid0(VALU_DEP_4) | instskip(NEXT) | instid1(VALU_DEP_4)
	v_fma_f32 v16, v20, v16, v14
	v_dot4_i32_iu8 v17, v17, v34, 0 neg_lo:[1,1,0]
	v_mul_f32_e32 v22, 0x3e000000, v22
	v_cvt_f32_i32_e32 v15, v15
	s_delay_alu instid0(VALU_DEP_3) | instskip(NEXT) | instid1(VALU_DEP_3)
	v_cvt_f32_i32_e32 v17, v17
	v_fma_f32 v18, v195, v23, v22
	s_delay_alu instid0(VALU_DEP_3) | instskip(NEXT) | instid1(VALU_DEP_3)
	v_fma_f32 v15, v195, v15, v22
	v_fma_f32 v17, v195, v17, v22
	s_delay_alu instid0(VALU_DEP_3) | instskip(SKIP_2) | instid1(VALU_DEP_3)
	v_add_f32_e32 v13, v13, v18
	v_dot4_i32_iu8 v18, v204, v37, 0 neg_lo:[1,1,0]
	v_fmac_f32_e32 v22, v195, v19
	v_add_f32_e32 v13, v13, v15
	v_and_b32_e32 v15, 0xf0f0f0f, v194
	s_delay_alu instid0(VALU_DEP_2) | instskip(SKIP_1) | instid1(VALU_DEP_3)
	v_add_f32_e32 v13, v13, v17
	v_cvt_f32_i32_e32 v17, v18
	v_dot4_i32_iu8 v15, v15, v38, 0 neg_lo:[1,1,0]
	s_delay_alu instid0(VALU_DEP_3) | instskip(NEXT) | instid1(VALU_DEP_3)
	v_add_f32_e32 v13, v13, v22
	v_fma_f32 v17, v20, v17, v14
	s_delay_alu instid0(VALU_DEP_3) | instskip(NEXT) | instid1(VALU_DEP_3)
	v_cvt_f32_i32_e32 v15, v15
	v_add_f32_e32 v13, v13, v16
	s_delay_alu instid0(VALU_DEP_2) | instskip(NEXT) | instid1(VALU_DEP_2)
	v_fma_f32 v15, v20, v15, v14
	v_dual_fmac_f32 v14, v20, v12 :: v_dual_add_f32 v13, v13, v17
	s_delay_alu instid0(VALU_DEP_1) | instskip(NEXT) | instid1(VALU_DEP_1)
	v_add_f32_e32 v13, v13, v15
	v_add_f32_e32 v12, v13, v14
	ds_bpermute_b32 v13, v50, v12
	s_wait_dscnt 0x0
	v_add_f32_e32 v12, v12, v13
                                        ; implicit-def: $vgpr13
	s_delay_alu instid0(VALU_DEP_1)
	v_cmp_ngt_f32_e64 s9, 0x3f200000, |v12|
	s_and_saveexec_b32 s14, s9
	s_wait_alu 0xfffe
	s_xor_b32 s9, exec_lo, s14
	s_cbranch_execz .LBB18_19
; %bb.18:                               ;   in Loop: Header=BB18_11 Depth=1
	v_add_f32_e64 v13, |v12|, |v12|
	s_delay_alu instid0(VALU_DEP_1) | instskip(SKIP_1) | instid1(VALU_DEP_2)
	v_mul_f32_e32 v14, 0x3fb8aa3b, v13
	v_cmp_ngt_f32_e32 vcc_lo, 0xc2ce8ed0, v13
	v_rndne_f32_e32 v15, v14
	v_fma_f32 v16, 0x3fb8aa3b, v13, -v14
	s_delay_alu instid0(VALU_DEP_2) | instskip(NEXT) | instid1(VALU_DEP_2)
	v_sub_f32_e32 v14, v14, v15
	v_fmac_f32_e32 v16, 0x32a5705f, v13
	v_cvt_i32_f32_e32 v15, v15
	s_delay_alu instid0(VALU_DEP_2) | instskip(NEXT) | instid1(VALU_DEP_1)
	v_add_f32_e32 v14, v14, v16
	v_exp_f32_e32 v14, v14
	s_delay_alu instid0(TRANS32_DEP_1) | instskip(SKIP_1) | instid1(VALU_DEP_1)
	v_ldexp_f32 v14, v14, v15
	s_wait_alu 0xfffd
	v_cndmask_b32_e32 v14, 0, v14, vcc_lo
	v_cmp_nlt_f32_e32 vcc_lo, 0x42b17218, v13
	s_wait_alu 0xfffd
	s_delay_alu instid0(VALU_DEP_2) | instskip(NEXT) | instid1(VALU_DEP_1)
	v_cndmask_b32_e32 v13, 0x7f800000, v14, vcc_lo
	v_add_f32_e32 v13, 1.0, v13
	s_delay_alu instid0(VALU_DEP_1) | instskip(NEXT) | instid1(TRANS32_DEP_1)
	v_rcp_f32_e32 v13, v13
	v_fma_f32 v13, v13, -2.0, 1.0
.LBB18_19:                              ;   in Loop: Header=BB18_11 Depth=1
	s_wait_alu 0xfffe
	s_and_not1_saveexec_b32 s9, s9
	s_cbranch_execz .LBB18_21
; %bb.20:                               ;   in Loop: Header=BB18_11 Depth=1
	v_mul_f32_e32 v13, v12, v12
	s_delay_alu instid0(VALU_DEP_1) | instskip(NEXT) | instid1(VALU_DEP_1)
	v_fmaak_f32 v14, s5, v13, 0x3ca908c9
	v_fmaak_f32 v14, v13, v14, 0xbd5c1c4e
	s_delay_alu instid0(VALU_DEP_1) | instskip(NEXT) | instid1(VALU_DEP_1)
	v_fmaak_f32 v14, v13, v14, 0x3e088382
	v_fmaak_f32 v14, v13, v14, 0xbeaaaa99
	s_delay_alu instid0(VALU_DEP_1) | instskip(NEXT) | instid1(VALU_DEP_1)
	v_mul_f32_e64 v14, |v12|, v14
	v_fma_f32 v13, v13, v14, |v12|
.LBB18_21:                              ;   in Loop: Header=BB18_11 Depth=1
	s_wait_alu 0xfffe
	s_or_b32 exec_lo, exec_lo, s9
	s_delay_alu instid0(VALU_DEP_1) | instskip(SKIP_1) | instid1(VALU_DEP_1)
	v_bfi_b32 v12, 0x7fffffff, v13, v12
	s_and_not1_b32 vcc_lo, exec_lo, s10
	v_mul_f32_e32 v12, s35, v12
	s_wait_alu 0xfffe
	s_cbranch_vccnz .LBB18_23
; %bb.22:                               ;   in Loop: Header=BB18_11 Depth=1
	global_load_u16 v13, v[40:41], off
	s_wait_loadcnt 0x0
	v_fma_mix_f32 v12, v45, v13, v12 op_sel_hi:[0,1,0]
.LBB18_23:                              ;   in Loop: Header=BB18_11 Depth=1
	s_delay_alu instid0(VALU_DEP_1) | instskip(SKIP_2) | instid1(SALU_CYCLE_1)
	v_dual_add_f32 v13, 0x40051340, v11 :: v_dual_add_f32 v14, 0x40051340, v12
	v_cndmask_b32_e64 v11, v12, v11, s3
	s_add_co_i32 s33, s33, s4
	s_cmp_ge_i32 s33, s30
	s_delay_alu instid0(VALU_DEP_2) | instskip(SKIP_3) | instid1(VALU_DEP_1)
	v_max3_num_f32 v13, v10, v13, v14
	ds_bpermute_b32 v14, v51, v13
	s_wait_dscnt 0x0
	v_max_num_f32_e32 v14, v14, v14
	v_max_num_f32_e32 v13, v13, v14
	ds_bpermute_b32 v14, v52, v13
	s_wait_dscnt 0x0
	v_max_num_f32_e32 v14, v14, v14
	s_delay_alu instid0(VALU_DEP_1) | instskip(SKIP_3) | instid1(VALU_DEP_1)
	v_max_num_f32_e32 v13, v13, v14
	ds_bpermute_b32 v14, v53, v13
	s_wait_dscnt 0x0
	v_max_num_f32_e32 v14, v14, v14
	v_max_num_f32_e32 v13, v13, v14
	ds_bpermute_b32 v14, v54, v13
	s_wait_dscnt 0x0
	v_max_num_f32_e32 v14, v14, v14
	s_delay_alu instid0(VALU_DEP_1) | instskip(NEXT) | instid1(VALU_DEP_1)
	v_max_num_f32_e32 v193, v13, v14
	v_sub_f32_e32 v10, v10, v193
	s_delay_alu instid0(VALU_DEP_1) | instskip(SKIP_1) | instid1(VALU_DEP_2)
	v_mul_f32_e32 v12, 0x3fb8aa3b, v10
	v_cmp_ngt_f32_e32 vcc_lo, 0xc2ce8ed0, v10
	v_fma_f32 v13, 0x3fb8aa3b, v10, -v12
	v_rndne_f32_e32 v14, v12
	s_delay_alu instid0(VALU_DEP_2) | instskip(NEXT) | instid1(VALU_DEP_2)
	v_fmac_f32_e32 v13, 0x32a5705f, v10
	v_sub_f32_e32 v12, v12, v14
	s_delay_alu instid0(VALU_DEP_1) | instskip(SKIP_2) | instid1(VALU_DEP_3)
	v_add_f32_e32 v12, v12, v13
	v_cvt_i32_f32_e32 v13, v14
	v_sub_f32_e32 v11, v11, v193
	v_exp_f32_e32 v12, v12
	s_delay_alu instid0(TRANS32_DEP_1) | instskip(SKIP_1) | instid1(VALU_DEP_1)
	v_ldexp_f32 v12, v12, v13
	s_wait_alu 0xfffd
	v_cndmask_b32_e32 v12, 0, v12, vcc_lo
	v_cmp_nlt_f32_e32 vcc_lo, 0x42b17218, v10
	s_wait_alu 0xfffd
	s_delay_alu instid0(VALU_DEP_2) | instskip(SKIP_2) | instid1(VALU_DEP_2)
	v_cndmask_b32_e32 v10, 0x7f800000, v12, vcc_lo
	v_mul_f32_e32 v12, 0x3fb8aa3b, v11
	v_cmp_ngt_f32_e32 vcc_lo, 0xc2ce8ed0, v11
	v_fma_f32 v13, 0x3fb8aa3b, v11, -v12
	v_rndne_f32_e32 v14, v12
	s_delay_alu instid0(VALU_DEP_1) | instskip(NEXT) | instid1(VALU_DEP_1)
	v_dual_fmac_f32 v13, 0x32a5705f, v11 :: v_dual_sub_f32 v12, v12, v14
	v_add_f32_e32 v12, v12, v13
	v_cvt_i32_f32_e32 v13, v14
	s_delay_alu instid0(VALU_DEP_2) | instskip(NEXT) | instid1(TRANS32_DEP_1)
	v_exp_f32_e32 v12, v12
	v_ldexp_f32 v12, v12, v13
	s_wait_alu 0xfffd
	s_delay_alu instid0(VALU_DEP_1) | instskip(SKIP_2) | instid1(VALU_DEP_2)
	v_cndmask_b32_e32 v12, 0, v12, vcc_lo
	v_cmp_nlt_f32_e32 vcc_lo, 0x42b17218, v11
	s_wait_alu 0xfffd
	v_cndmask_b32_e32 v11, 0x7f800000, v12, vcc_lo
	v_add_co_u32 v196, vcc_lo, v58, s11
	s_wait_alu 0xfffd
	v_add_co_ci_u32_e64 v197, null, 0, v59, vcc_lo
	s_delay_alu instid0(VALU_DEP_3) | instskip(SKIP_4) | instid1(VALU_DEP_3)
	v_fma_f32 v49, v49, v10, v11
	v_cvt_f16_f32_e32 v10, v10
	v_add_co_u32 v198, vcc_lo, v64, s11
	s_wait_alu 0xfffd
	v_add_co_ci_u32_e64 v199, null, 0, v65, vcc_lo
	v_and_b32_e32 v10, 0xffff, v10
	s_delay_alu instid0(VALU_DEP_1) | instskip(NEXT) | instid1(VALU_DEP_1)
	v_mul_u32_u24_e32 v10, 0x10001, v10
	v_pk_mul_f16 v201, v8, v10
	v_cvt_f16_f32_e32 v8, v11
	v_pk_mul_f16 v200, v9, v10
	ds_store_b16 v47, v8
	ds_load_b128 v[20:23], v55
	ds_load_b128 v[16:19], v55 offset:16
	ds_load_b128 v[12:15], v55 offset:32
	;; [unrolled: 1-line block ×3, first 2 shown]
	global_load_b32 v198, v[198:199], off
	global_load_u16 v196, v[196:197], off
	s_wait_dscnt 0x3
	v_lshrrev_b32_e32 v202, 16, v20
	v_and_b32_e32 v20, 0xffff, v20
	v_lshrrev_b32_e32 v203, 16, v21
	v_lshrrev_b32_e32 v195, 16, v22
	;; [unrolled: 1-line block ×3, first 2 shown]
	s_delay_alu instid0(VALU_DEP_4) | instskip(NEXT) | instid1(VALU_DEP_2)
	v_mul_u32_u24_e32 v20, 0x10001, v20
	v_mul_u32_u24_e32 v194, 0x10001, v194
	s_wait_loadcnt 0x1
	v_ashrrev_i32_e32 v198, v192, v198
	s_wait_loadcnt 0x0
	v_mul_u32_u24_e32 v196, 0x10001, v196
	s_delay_alu instid0(VALU_DEP_2) | instskip(NEXT) | instid1(VALU_DEP_1)
	v_and_b32_e32 v198, 0xf0f0f0f, v198
	v_lshrrev_b32_e32 v199, 16, v198
	s_delay_alu instid0(VALU_DEP_1) | instskip(SKIP_1) | instid1(VALU_DEP_1)
	v_and_b32_e32 v204, 0xf00, v199
	v_lshlrev_b16 v199, 8, v199
	v_add_nc_u16 v199, 0xf800, v199
	s_delay_alu instid0(VALU_DEP_1) | instskip(NEXT) | instid1(VALU_DEP_1)
	v_lshrrev_b16 v199, 8, v199
	v_or_b32_e32 v199, v204, v199
	v_and_b32_e32 v204, 0xf00, v198
	v_lshlrev_b16 v198, 8, v198
	s_delay_alu instid0(VALU_DEP_3) | instskip(NEXT) | instid1(VALU_DEP_2)
	v_add_nc_u16 v199, 0xf800, v199
	v_add_nc_u16 v198, 0xf800, v198
	s_delay_alu instid0(VALU_DEP_1) | instskip(NEXT) | instid1(VALU_DEP_1)
	v_lshrrev_b16 v198, 8, v198
	v_or_b32_e32 v198, v204, v198
	s_delay_alu instid0(VALU_DEP_1) | instskip(NEXT) | instid1(VALU_DEP_1)
	v_add_nc_u16 v198, 0xf800, v198
	v_lshrrev_b32_e32 v197, 8, v198
	v_bfe_i32 v198, v198, 0, 8
	s_delay_alu instid0(VALU_DEP_2) | instskip(NEXT) | instid1(VALU_DEP_2)
	v_bfe_i32 v197, v197, 0, 8
	v_cvt_f16_i16_e64 v198, v198
	s_delay_alu instid0(VALU_DEP_2) | instskip(NEXT) | instid1(VALU_DEP_1)
	v_cvt_f16_i16_e64 v197, v197
	v_pack_b32_f16 v197, v198, v197
	v_lshrrev_b32_e32 v198, 8, v199
	v_bfe_i32 v199, v199, 0, 8
	s_delay_alu instid0(VALU_DEP_3) | instskip(NEXT) | instid1(VALU_DEP_3)
	v_pk_mul_f16 v197, v197, v196
	v_bfe_i32 v198, v198, 0, 8
	s_delay_alu instid0(VALU_DEP_3) | instskip(NEXT) | instid1(VALU_DEP_3)
	v_cvt_f16_i16_e64 v199, v199
	v_pk_fma_f16 v200, v197, v20, v200
	s_delay_alu instid0(VALU_DEP_3) | instskip(NEXT) | instid1(VALU_DEP_1)
	v_cvt_f16_i16_e64 v198, v198
	v_pack_b32_f16 v198, v199, v198
	s_delay_alu instid0(VALU_DEP_1) | instskip(NEXT) | instid1(VALU_DEP_1)
	v_pk_mul_f16 v196, v198, v196
	v_pk_fma_f16 v20, v196, v20, v201
	v_add_co_u32 v196, vcc_lo, v66, s11
	s_wait_alu 0xfffd
	v_add_co_ci_u32_e64 v197, null, 0, v67, vcc_lo
	v_add_co_u32 v198, vcc_lo, v68, s11
	s_wait_alu 0xfffd
	v_add_co_ci_u32_e64 v199, null, 0, v69, vcc_lo
	global_load_u16 v196, v[196:197], off
	v_mul_u32_u24_e32 v201, 0x10001, v202
	global_load_b32 v198, v[198:199], off
	s_wait_loadcnt 0x1
	v_mul_u32_u24_e32 v196, 0x10001, v196
	s_wait_loadcnt 0x0
	v_ashrrev_i32_e32 v198, v192, v198
	s_delay_alu instid0(VALU_DEP_1) | instskip(NEXT) | instid1(VALU_DEP_1)
	v_and_b32_e32 v198, 0xf0f0f0f, v198
	v_lshrrev_b32_e32 v199, 16, v198
	s_delay_alu instid0(VALU_DEP_1) | instskip(SKIP_1) | instid1(VALU_DEP_1)
	v_and_b32_e32 v202, 0xf00, v199
	v_lshlrev_b16 v199, 8, v199
	v_add_nc_u16 v199, 0xf800, v199
	s_delay_alu instid0(VALU_DEP_1) | instskip(NEXT) | instid1(VALU_DEP_1)
	v_lshrrev_b16 v199, 8, v199
	v_or_b32_e32 v199, v202, v199
	v_and_b32_e32 v202, 0xf00, v198
	v_lshlrev_b16 v198, 8, v198
	s_delay_alu instid0(VALU_DEP_3) | instskip(NEXT) | instid1(VALU_DEP_2)
	v_add_nc_u16 v199, 0xf800, v199
	v_add_nc_u16 v198, 0xf800, v198
	s_delay_alu instid0(VALU_DEP_1) | instskip(NEXT) | instid1(VALU_DEP_1)
	v_lshrrev_b16 v198, 8, v198
	v_or_b32_e32 v198, v202, v198
	s_delay_alu instid0(VALU_DEP_1) | instskip(NEXT) | instid1(VALU_DEP_1)
	v_add_nc_u16 v198, 0xf800, v198
	v_lshrrev_b32_e32 v197, 8, v198
	v_bfe_i32 v198, v198, 0, 8
	s_delay_alu instid0(VALU_DEP_2) | instskip(NEXT) | instid1(VALU_DEP_2)
	v_bfe_i32 v197, v197, 0, 8
	v_cvt_f16_i16_e64 v198, v198
	s_delay_alu instid0(VALU_DEP_2) | instskip(NEXT) | instid1(VALU_DEP_1)
	v_cvt_f16_i16_e64 v197, v197
	v_pack_b32_f16 v197, v198, v197
	v_lshrrev_b32_e32 v198, 8, v199
	v_bfe_i32 v199, v199, 0, 8
	s_delay_alu instid0(VALU_DEP_3) | instskip(NEXT) | instid1(VALU_DEP_3)
	v_pk_mul_f16 v197, v197, v196
	v_bfe_i32 v198, v198, 0, 8
	s_delay_alu instid0(VALU_DEP_3) | instskip(NEXT) | instid1(VALU_DEP_2)
	v_cvt_f16_i16_e64 v199, v199
	v_cvt_f16_i16_e64 v198, v198
	s_delay_alu instid0(VALU_DEP_1) | instskip(NEXT) | instid1(VALU_DEP_1)
	v_pack_b32_f16 v198, v199, v198
	v_pk_mul_f16 v196, v198, v196
	v_pk_fma_f16 v198, v197, v201, v200
	s_delay_alu instid0(VALU_DEP_2) | instskip(SKIP_1) | instid1(VALU_DEP_1)
	v_pk_fma_f16 v199, v196, v201, v20
	v_and_b32_e32 v20, 0xffff, v21
	v_mul_u32_u24_e32 v200, 0x10001, v20
	v_add_co_u32 v20, vcc_lo, v190, s11
	s_wait_alu 0xfffd
	v_add_co_ci_u32_e64 v21, null, 0, v191, vcc_lo
	v_add_co_u32 v196, vcc_lo, v188, s11
	s_wait_alu 0xfffd
	v_add_co_ci_u32_e64 v197, null, 0, v189, vcc_lo
	global_load_u16 v20, v[20:21], off
	global_load_b32 v196, v[196:197], off
	s_wait_loadcnt 0x1
	v_mul_u32_u24_e32 v20, 0x10001, v20
	s_wait_loadcnt 0x0
	v_ashrrev_i32_e32 v196, v192, v196
	s_delay_alu instid0(VALU_DEP_1) | instskip(NEXT) | instid1(VALU_DEP_1)
	v_and_b32_e32 v196, 0xf0f0f0f, v196
	v_lshrrev_b32_e32 v197, 16, v196
	s_delay_alu instid0(VALU_DEP_1) | instskip(SKIP_1) | instid1(VALU_DEP_1)
	v_and_b32_e32 v201, 0xf00, v197
	v_lshlrev_b16 v197, 8, v197
	v_add_nc_u16 v197, 0xf800, v197
	s_delay_alu instid0(VALU_DEP_1) | instskip(NEXT) | instid1(VALU_DEP_1)
	v_lshrrev_b16 v197, 8, v197
	v_or_b32_e32 v197, v201, v197
	v_and_b32_e32 v201, 0xf00, v196
	v_lshlrev_b16 v196, 8, v196
	s_delay_alu instid0(VALU_DEP_3) | instskip(NEXT) | instid1(VALU_DEP_2)
	v_add_nc_u16 v197, 0xf800, v197
	v_add_nc_u16 v196, 0xf800, v196
	s_delay_alu instid0(VALU_DEP_1) | instskip(NEXT) | instid1(VALU_DEP_1)
	v_lshrrev_b16 v196, 8, v196
	v_or_b32_e32 v196, v201, v196
	s_delay_alu instid0(VALU_DEP_1) | instskip(NEXT) | instid1(VALU_DEP_1)
	v_add_nc_u16 v196, 0xf800, v196
	v_lshrrev_b32_e32 v21, 8, v196
	v_bfe_i32 v196, v196, 0, 8
	s_delay_alu instid0(VALU_DEP_2) | instskip(NEXT) | instid1(VALU_DEP_2)
	v_bfe_i32 v21, v21, 0, 8
	v_cvt_f16_i16_e64 v196, v196
	s_delay_alu instid0(VALU_DEP_2) | instskip(NEXT) | instid1(VALU_DEP_1)
	v_cvt_f16_i16_e32 v21, v21
	v_pack_b32_f16 v21, v196, v21
	v_lshrrev_b32_e32 v196, 8, v197
	v_bfe_i32 v197, v197, 0, 8
	s_delay_alu instid0(VALU_DEP_3) | instskip(NEXT) | instid1(VALU_DEP_3)
	v_pk_mul_f16 v21, v21, v20
	v_bfe_i32 v196, v196, 0, 8
	s_delay_alu instid0(VALU_DEP_3) | instskip(NEXT) | instid1(VALU_DEP_3)
	v_cvt_f16_i16_e64 v197, v197
	v_pk_fma_f16 v198, v21, v200, v198
	s_delay_alu instid0(VALU_DEP_3) | instskip(NEXT) | instid1(VALU_DEP_1)
	v_cvt_f16_i16_e64 v196, v196
	v_pack_b32_f16 v196, v197, v196
	s_delay_alu instid0(VALU_DEP_1) | instskip(NEXT) | instid1(VALU_DEP_1)
	v_pk_mul_f16 v20, v196, v20
	v_pk_fma_f16 v199, v20, v200, v199
	v_add_co_u32 v20, vcc_lo, v186, s11
	s_wait_alu 0xfffd
	v_add_co_ci_u32_e64 v21, null, 0, v187, vcc_lo
	v_add_co_u32 v196, vcc_lo, v184, s11
	s_wait_alu 0xfffd
	v_add_co_ci_u32_e64 v197, null, 0, v185, vcc_lo
	global_load_u16 v20, v[20:21], off
	v_mul_u32_u24_e32 v200, 0x10001, v203
	global_load_b32 v196, v[196:197], off
	s_wait_loadcnt 0x1
	v_mul_u32_u24_e32 v20, 0x10001, v20
	s_wait_loadcnt 0x0
	v_ashrrev_i32_e32 v196, v192, v196
	s_delay_alu instid0(VALU_DEP_1) | instskip(NEXT) | instid1(VALU_DEP_1)
	v_and_b32_e32 v196, 0xf0f0f0f, v196
	v_lshrrev_b32_e32 v197, 16, v196
	s_delay_alu instid0(VALU_DEP_1) | instskip(SKIP_1) | instid1(VALU_DEP_1)
	v_and_b32_e32 v201, 0xf00, v197
	v_lshlrev_b16 v197, 8, v197
	v_add_nc_u16 v197, 0xf800, v197
	s_delay_alu instid0(VALU_DEP_1) | instskip(NEXT) | instid1(VALU_DEP_1)
	v_lshrrev_b16 v197, 8, v197
	v_or_b32_e32 v197, v201, v197
	v_and_b32_e32 v201, 0xf00, v196
	v_lshlrev_b16 v196, 8, v196
	s_delay_alu instid0(VALU_DEP_3) | instskip(NEXT) | instid1(VALU_DEP_2)
	v_add_nc_u16 v197, 0xf800, v197
	v_add_nc_u16 v196, 0xf800, v196
	s_delay_alu instid0(VALU_DEP_1) | instskip(NEXT) | instid1(VALU_DEP_1)
	v_lshrrev_b16 v196, 8, v196
	v_or_b32_e32 v196, v201, v196
	s_delay_alu instid0(VALU_DEP_1) | instskip(NEXT) | instid1(VALU_DEP_1)
	v_add_nc_u16 v196, 0xf800, v196
	v_lshrrev_b32_e32 v21, 8, v196
	v_bfe_i32 v196, v196, 0, 8
	s_delay_alu instid0(VALU_DEP_2) | instskip(NEXT) | instid1(VALU_DEP_2)
	v_bfe_i32 v21, v21, 0, 8
	v_cvt_f16_i16_e64 v196, v196
	s_delay_alu instid0(VALU_DEP_2) | instskip(NEXT) | instid1(VALU_DEP_1)
	v_cvt_f16_i16_e32 v21, v21
	v_pack_b32_f16 v21, v196, v21
	v_lshrrev_b32_e32 v196, 8, v197
	v_bfe_i32 v197, v197, 0, 8
	s_delay_alu instid0(VALU_DEP_3) | instskip(NEXT) | instid1(VALU_DEP_3)
	v_pk_mul_f16 v21, v21, v20
	v_bfe_i32 v196, v196, 0, 8
	s_delay_alu instid0(VALU_DEP_3) | instskip(NEXT) | instid1(VALU_DEP_3)
	v_cvt_f16_i16_e64 v197, v197
	v_pk_fma_f16 v198, v21, v200, v198
	s_delay_alu instid0(VALU_DEP_3) | instskip(NEXT) | instid1(VALU_DEP_1)
	v_cvt_f16_i16_e64 v196, v196
	v_pack_b32_f16 v196, v197, v196
	s_delay_alu instid0(VALU_DEP_1) | instskip(NEXT) | instid1(VALU_DEP_1)
	v_pk_mul_f16 v20, v196, v20
	v_pk_fma_f16 v199, v20, v200, v199
	v_and_b32_e32 v20, 0xffff, v22
	s_delay_alu instid0(VALU_DEP_1)
	v_mul_u32_u24_e32 v22, 0x10001, v20
	v_add_co_u32 v20, vcc_lo, v182, s11
	s_wait_alu 0xfffd
	v_add_co_ci_u32_e64 v21, null, 0, v183, vcc_lo
	v_add_co_u32 v196, vcc_lo, v180, s11
	s_wait_alu 0xfffd
	v_add_co_ci_u32_e64 v197, null, 0, v181, vcc_lo
	global_load_u16 v20, v[20:21], off
	global_load_b32 v196, v[196:197], off
	s_wait_loadcnt 0x1
	v_mul_u32_u24_e32 v20, 0x10001, v20
	s_wait_loadcnt 0x0
	v_ashrrev_i32_e32 v196, v192, v196
	s_delay_alu instid0(VALU_DEP_1) | instskip(NEXT) | instid1(VALU_DEP_1)
	v_and_b32_e32 v196, 0xf0f0f0f, v196
	v_lshrrev_b32_e32 v197, 16, v196
	s_delay_alu instid0(VALU_DEP_1) | instskip(SKIP_1) | instid1(VALU_DEP_1)
	v_and_b32_e32 v200, 0xf00, v197
	v_lshlrev_b16 v197, 8, v197
	v_add_nc_u16 v197, 0xf800, v197
	s_delay_alu instid0(VALU_DEP_1) | instskip(NEXT) | instid1(VALU_DEP_1)
	v_lshrrev_b16 v197, 8, v197
	v_or_b32_e32 v197, v200, v197
	v_and_b32_e32 v200, 0xf00, v196
	v_lshlrev_b16 v196, 8, v196
	s_delay_alu instid0(VALU_DEP_3) | instskip(NEXT) | instid1(VALU_DEP_2)
	v_add_nc_u16 v197, 0xf800, v197
	v_add_nc_u16 v196, 0xf800, v196
	s_delay_alu instid0(VALU_DEP_1) | instskip(NEXT) | instid1(VALU_DEP_1)
	v_lshrrev_b16 v196, 8, v196
	v_or_b32_e32 v196, v200, v196
	s_delay_alu instid0(VALU_DEP_1) | instskip(NEXT) | instid1(VALU_DEP_1)
	v_add_nc_u16 v196, 0xf800, v196
	v_lshrrev_b32_e32 v21, 8, v196
	v_bfe_i32 v196, v196, 0, 8
	s_delay_alu instid0(VALU_DEP_2) | instskip(NEXT) | instid1(VALU_DEP_2)
	v_bfe_i32 v21, v21, 0, 8
	v_cvt_f16_i16_e64 v196, v196
	s_delay_alu instid0(VALU_DEP_2) | instskip(NEXT) | instid1(VALU_DEP_1)
	v_cvt_f16_i16_e32 v21, v21
	v_pack_b32_f16 v21, v196, v21
	v_lshrrev_b32_e32 v196, 8, v197
	v_bfe_i32 v197, v197, 0, 8
	s_delay_alu instid0(VALU_DEP_3) | instskip(NEXT) | instid1(VALU_DEP_3)
	v_pk_mul_f16 v21, v21, v20
	v_bfe_i32 v196, v196, 0, 8
	s_delay_alu instid0(VALU_DEP_3) | instskip(NEXT) | instid1(VALU_DEP_2)
	v_cvt_f16_i16_e64 v197, v197
	v_cvt_f16_i16_e64 v196, v196
	s_delay_alu instid0(VALU_DEP_1) | instskip(SKIP_2) | instid1(VALU_DEP_3)
	v_pack_b32_f16 v196, v197, v196
	v_pk_fma_f16 v197, v21, v22, v198
	v_mul_u32_u24_e32 v198, 0x10001, v195
	v_pk_mul_f16 v20, v196, v20
	s_delay_alu instid0(VALU_DEP_1)
	v_pk_fma_f16 v22, v20, v22, v199
	v_add_co_u32 v20, vcc_lo, v178, s11
	s_wait_alu 0xfffd
	v_add_co_ci_u32_e64 v21, null, 0, v179, vcc_lo
	v_add_co_u32 v195, vcc_lo, v176, s11
	s_wait_alu 0xfffd
	v_add_co_ci_u32_e64 v196, null, 0, v177, vcc_lo
	global_load_u16 v20, v[20:21], off
	global_load_b32 v195, v[195:196], off
	s_wait_loadcnt 0x1
	v_mul_u32_u24_e32 v20, 0x10001, v20
	s_wait_loadcnt 0x0
	v_ashrrev_i32_e32 v195, v192, v195
	s_delay_alu instid0(VALU_DEP_1) | instskip(NEXT) | instid1(VALU_DEP_1)
	v_and_b32_e32 v195, 0xf0f0f0f, v195
	v_lshrrev_b32_e32 v196, 16, v195
	s_delay_alu instid0(VALU_DEP_1) | instskip(SKIP_1) | instid1(VALU_DEP_1)
	v_and_b32_e32 v199, 0xf00, v196
	v_lshlrev_b16 v196, 8, v196
	v_add_nc_u16 v196, 0xf800, v196
	s_delay_alu instid0(VALU_DEP_1) | instskip(NEXT) | instid1(VALU_DEP_1)
	v_lshrrev_b16 v196, 8, v196
	v_or_b32_e32 v196, v199, v196
	v_and_b32_e32 v199, 0xf00, v195
	v_lshlrev_b16 v195, 8, v195
	s_delay_alu instid0(VALU_DEP_3) | instskip(NEXT) | instid1(VALU_DEP_2)
	v_add_nc_u16 v196, 0xf800, v196
	v_add_nc_u16 v195, 0xf800, v195
	s_delay_alu instid0(VALU_DEP_1) | instskip(NEXT) | instid1(VALU_DEP_1)
	v_lshrrev_b16 v195, 8, v195
	v_or_b32_e32 v195, v199, v195
	s_wait_dscnt 0x2
	v_lshrrev_b32_e32 v199, 16, v17
	s_delay_alu instid0(VALU_DEP_2) | instskip(NEXT) | instid1(VALU_DEP_1)
	v_add_nc_u16 v195, 0xf800, v195
	v_lshrrev_b32_e32 v21, 8, v195
	v_bfe_i32 v195, v195, 0, 8
	s_delay_alu instid0(VALU_DEP_2) | instskip(NEXT) | instid1(VALU_DEP_2)
	v_bfe_i32 v21, v21, 0, 8
	v_cvt_f16_i16_e64 v195, v195
	s_delay_alu instid0(VALU_DEP_2) | instskip(NEXT) | instid1(VALU_DEP_1)
	v_cvt_f16_i16_e32 v21, v21
	v_pack_b32_f16 v21, v195, v21
	v_lshrrev_b32_e32 v195, 8, v196
	v_bfe_i32 v196, v196, 0, 8
	s_delay_alu instid0(VALU_DEP_3) | instskip(NEXT) | instid1(VALU_DEP_3)
	v_pk_mul_f16 v21, v21, v20
	v_bfe_i32 v195, v195, 0, 8
	s_delay_alu instid0(VALU_DEP_3) | instskip(NEXT) | instid1(VALU_DEP_2)
	v_cvt_f16_i16_e64 v196, v196
	v_cvt_f16_i16_e64 v195, v195
	s_delay_alu instid0(VALU_DEP_1) | instskip(NEXT) | instid1(VALU_DEP_1)
	v_pack_b32_f16 v195, v196, v195
	v_pk_mul_f16 v20, v195, v20
	v_pk_fma_f16 v195, v21, v198, v197
	s_delay_alu instid0(VALU_DEP_2) | instskip(SKIP_1) | instid1(VALU_DEP_1)
	v_pk_fma_f16 v196, v20, v198, v22
	v_and_b32_e32 v20, 0xffff, v23
	v_mul_u32_u24_e32 v197, 0x10001, v20
	v_add_co_u32 v20, vcc_lo, v174, s11
	s_wait_alu 0xfffd
	v_add_co_ci_u32_e64 v21, null, 0, v175, vcc_lo
	v_add_co_u32 v22, vcc_lo, v172, s11
	s_wait_alu 0xfffd
	v_add_co_ci_u32_e64 v23, null, 0, v173, vcc_lo
	global_load_u16 v20, v[20:21], off
	global_load_b32 v22, v[22:23], off
	s_wait_loadcnt 0x1
	v_mul_u32_u24_e32 v20, 0x10001, v20
	s_wait_loadcnt 0x0
	v_ashrrev_i32_e32 v22, v192, v22
	s_delay_alu instid0(VALU_DEP_1) | instskip(NEXT) | instid1(VALU_DEP_1)
	v_and_b32_e32 v22, 0xf0f0f0f, v22
	v_lshrrev_b32_e32 v23, 16, v22
	s_delay_alu instid0(VALU_DEP_1) | instskip(SKIP_1) | instid1(VALU_DEP_1)
	v_and_b32_e32 v198, 0xf00, v23
	v_lshlrev_b16 v23, 8, v23
	v_add_nc_u16 v23, 0xf800, v23
	s_delay_alu instid0(VALU_DEP_1) | instskip(NEXT) | instid1(VALU_DEP_1)
	v_lshrrev_b16 v23, 8, v23
	v_or_b32_e32 v23, v198, v23
	v_and_b32_e32 v198, 0xf00, v22
	v_lshlrev_b16 v22, 8, v22
	s_delay_alu instid0(VALU_DEP_3) | instskip(NEXT) | instid1(VALU_DEP_2)
	v_add_nc_u16 v23, 0xf800, v23
	v_add_nc_u16 v22, 0xf800, v22
	s_delay_alu instid0(VALU_DEP_1) | instskip(NEXT) | instid1(VALU_DEP_1)
	v_lshrrev_b16 v22, 8, v22
	v_or_b32_e32 v22, v198, v22
	v_lshrrev_b32_e32 v198, 16, v16
	v_and_b32_e32 v16, 0xffff, v16
	s_delay_alu instid0(VALU_DEP_3) | instskip(NEXT) | instid1(VALU_DEP_2)
	v_add_nc_u16 v22, 0xf800, v22
	v_mul_u32_u24_e32 v16, 0x10001, v16
	s_delay_alu instid0(VALU_DEP_2) | instskip(SKIP_1) | instid1(VALU_DEP_2)
	v_lshrrev_b32_e32 v21, 8, v22
	v_bfe_i32 v22, v22, 0, 8
	v_bfe_i32 v21, v21, 0, 8
	s_delay_alu instid0(VALU_DEP_2) | instskip(NEXT) | instid1(VALU_DEP_2)
	v_cvt_f16_i16_e32 v22, v22
	v_cvt_f16_i16_e32 v21, v21
	s_delay_alu instid0(VALU_DEP_1) | instskip(SKIP_2) | instid1(VALU_DEP_3)
	v_pack_b32_f16 v21, v22, v21
	v_lshrrev_b32_e32 v22, 8, v23
	v_bfe_i32 v23, v23, 0, 8
	v_pk_mul_f16 v21, v21, v20
	s_delay_alu instid0(VALU_DEP_3) | instskip(NEXT) | instid1(VALU_DEP_3)
	v_bfe_i32 v22, v22, 0, 8
	v_cvt_f16_i16_e32 v23, v23
	s_delay_alu instid0(VALU_DEP_3) | instskip(NEXT) | instid1(VALU_DEP_3)
	v_pk_fma_f16 v195, v21, v197, v195
	v_cvt_f16_i16_e32 v22, v22
	s_delay_alu instid0(VALU_DEP_1) | instskip(NEXT) | instid1(VALU_DEP_1)
	v_pack_b32_f16 v22, v23, v22
	v_pk_mul_f16 v20, v22, v20
	s_delay_alu instid0(VALU_DEP_1)
	v_pk_fma_f16 v196, v20, v197, v196
	v_add_co_u32 v20, vcc_lo, v170, s11
	s_wait_alu 0xfffd
	v_add_co_ci_u32_e64 v21, null, 0, v171, vcc_lo
	v_add_co_u32 v22, vcc_lo, v168, s11
	s_wait_alu 0xfffd
	v_add_co_ci_u32_e64 v23, null, 0, v169, vcc_lo
	global_load_u16 v20, v[20:21], off
	global_load_b32 v22, v[22:23], off
	s_wait_loadcnt 0x1
	v_mul_u32_u24_e32 v20, 0x10001, v20
	s_wait_loadcnt 0x0
	v_ashrrev_i32_e32 v22, v192, v22
	s_delay_alu instid0(VALU_DEP_1) | instskip(NEXT) | instid1(VALU_DEP_1)
	v_and_b32_e32 v22, 0xf0f0f0f, v22
	v_lshrrev_b32_e32 v23, 16, v22
	s_delay_alu instid0(VALU_DEP_1) | instskip(SKIP_1) | instid1(VALU_DEP_1)
	v_and_b32_e32 v197, 0xf00, v23
	v_lshlrev_b16 v23, 8, v23
	v_add_nc_u16 v23, 0xf800, v23
	s_delay_alu instid0(VALU_DEP_1) | instskip(NEXT) | instid1(VALU_DEP_1)
	v_lshrrev_b16 v23, 8, v23
	v_or_b32_e32 v23, v197, v23
	v_and_b32_e32 v197, 0xf00, v22
	v_lshlrev_b16 v22, 8, v22
	s_delay_alu instid0(VALU_DEP_3) | instskip(NEXT) | instid1(VALU_DEP_2)
	v_add_nc_u16 v23, 0xf800, v23
	v_add_nc_u16 v22, 0xf800, v22
	s_delay_alu instid0(VALU_DEP_1) | instskip(NEXT) | instid1(VALU_DEP_1)
	v_lshrrev_b16 v22, 8, v22
	v_or_b32_e32 v22, v197, v22
	s_delay_alu instid0(VALU_DEP_1) | instskip(NEXT) | instid1(VALU_DEP_1)
	v_add_nc_u16 v22, 0xf800, v22
	v_lshrrev_b32_e32 v21, 8, v22
	v_bfe_i32 v22, v22, 0, 8
	s_delay_alu instid0(VALU_DEP_2) | instskip(NEXT) | instid1(VALU_DEP_2)
	v_bfe_i32 v21, v21, 0, 8
	v_cvt_f16_i16_e32 v22, v22
	s_delay_alu instid0(VALU_DEP_2) | instskip(NEXT) | instid1(VALU_DEP_1)
	v_cvt_f16_i16_e32 v21, v21
	v_pack_b32_f16 v21, v22, v21
	v_lshrrev_b32_e32 v22, 8, v23
	v_bfe_i32 v23, v23, 0, 8
	s_delay_alu instid0(VALU_DEP_3) | instskip(NEXT) | instid1(VALU_DEP_3)
	v_pk_mul_f16 v21, v21, v20
	v_bfe_i32 v22, v22, 0, 8
	s_delay_alu instid0(VALU_DEP_3) | instskip(NEXT) | instid1(VALU_DEP_3)
	v_cvt_f16_i16_e32 v23, v23
	v_pk_fma_f16 v197, v21, v194, v195
	s_delay_alu instid0(VALU_DEP_3) | instskip(SKIP_1) | instid1(VALU_DEP_2)
	v_cvt_f16_i16_e32 v22, v22
	v_lshrrev_b32_e32 v21, 16, v18
	v_pack_b32_f16 v22, v23, v22
	s_delay_alu instid0(VALU_DEP_1) | instskip(SKIP_3) | instid1(VALU_DEP_3)
	v_pk_mul_f16 v20, v22, v20
	v_add_co_u32 v22, vcc_lo, v166, s11
	s_wait_alu 0xfffd
	v_add_co_ci_u32_e64 v23, null, 0, v167, vcc_lo
	v_pk_fma_f16 v196, v20, v194, v196
	v_add_co_u32 v194, vcc_lo, v164, s11
	s_wait_alu 0xfffd
	v_add_co_ci_u32_e64 v195, null, 0, v165, vcc_lo
	global_load_u16 v22, v[22:23], off
	v_lshrrev_b32_e32 v20, 16, v19
	global_load_b32 v194, v[194:195], off
	v_mul_u32_u24_e32 v20, 0x10001, v20
	s_wait_loadcnt 0x1
	v_mul_u32_u24_e32 v22, 0x10001, v22
	s_wait_loadcnt 0x0
	v_ashrrev_i32_e32 v194, v192, v194
	s_delay_alu instid0(VALU_DEP_1) | instskip(NEXT) | instid1(VALU_DEP_1)
	v_and_b32_e32 v194, 0xf0f0f0f, v194
	v_lshrrev_b32_e32 v195, 16, v194
	s_delay_alu instid0(VALU_DEP_1) | instskip(SKIP_1) | instid1(VALU_DEP_1)
	v_and_b32_e32 v200, 0xf00, v195
	v_lshlrev_b16 v195, 8, v195
	v_add_nc_u16 v195, 0xf800, v195
	s_delay_alu instid0(VALU_DEP_1) | instskip(NEXT) | instid1(VALU_DEP_1)
	v_lshrrev_b16 v195, 8, v195
	v_or_b32_e32 v195, v200, v195
	v_and_b32_e32 v200, 0xf00, v194
	v_lshlrev_b16 v194, 8, v194
	s_delay_alu instid0(VALU_DEP_3) | instskip(NEXT) | instid1(VALU_DEP_2)
	v_add_nc_u16 v195, 0xf800, v195
	v_add_nc_u16 v194, 0xf800, v194
	s_delay_alu instid0(VALU_DEP_1) | instskip(NEXT) | instid1(VALU_DEP_1)
	v_lshrrev_b16 v194, 8, v194
	v_or_b32_e32 v194, v200, v194
	s_delay_alu instid0(VALU_DEP_1) | instskip(NEXT) | instid1(VALU_DEP_1)
	v_add_nc_u16 v194, 0xf800, v194
	v_lshrrev_b32_e32 v23, 8, v194
	v_bfe_i32 v194, v194, 0, 8
	s_delay_alu instid0(VALU_DEP_2) | instskip(NEXT) | instid1(VALU_DEP_2)
	v_bfe_i32 v23, v23, 0, 8
	v_cvt_f16_i16_e64 v194, v194
	s_delay_alu instid0(VALU_DEP_2) | instskip(NEXT) | instid1(VALU_DEP_1)
	v_cvt_f16_i16_e32 v23, v23
	v_pack_b32_f16 v23, v194, v23
	v_lshrrev_b32_e32 v194, 8, v195
	v_bfe_i32 v195, v195, 0, 8
	s_delay_alu instid0(VALU_DEP_3) | instskip(NEXT) | instid1(VALU_DEP_3)
	v_pk_mul_f16 v23, v23, v22
	v_bfe_i32 v194, v194, 0, 8
	s_delay_alu instid0(VALU_DEP_3) | instskip(NEXT) | instid1(VALU_DEP_3)
	v_cvt_f16_i16_e64 v195, v195
	v_pk_fma_f16 v197, v23, v16, v197
	s_delay_alu instid0(VALU_DEP_3) | instskip(NEXT) | instid1(VALU_DEP_1)
	v_cvt_f16_i16_e64 v194, v194
	v_pack_b32_f16 v194, v195, v194
	s_delay_alu instid0(VALU_DEP_1) | instskip(NEXT) | instid1(VALU_DEP_1)
	v_pk_mul_f16 v22, v194, v22
	v_pk_fma_f16 v16, v22, v16, v196
	v_add_co_u32 v22, vcc_lo, v162, s11
	s_wait_alu 0xfffd
	v_add_co_ci_u32_e64 v23, null, 0, v163, vcc_lo
	v_add_co_u32 v194, vcc_lo, v160, s11
	s_wait_alu 0xfffd
	v_add_co_ci_u32_e64 v195, null, 0, v161, vcc_lo
	global_load_u16 v22, v[22:23], off
	v_mul_u32_u24_e32 v196, 0x10001, v198
	global_load_b32 v194, v[194:195], off
	s_wait_loadcnt 0x1
	v_mul_u32_u24_e32 v22, 0x10001, v22
	s_wait_loadcnt 0x0
	v_ashrrev_i32_e32 v194, v192, v194
	s_delay_alu instid0(VALU_DEP_1) | instskip(NEXT) | instid1(VALU_DEP_1)
	v_and_b32_e32 v194, 0xf0f0f0f, v194
	v_lshrrev_b32_e32 v195, 16, v194
	s_delay_alu instid0(VALU_DEP_1) | instskip(SKIP_1) | instid1(VALU_DEP_1)
	v_and_b32_e32 v198, 0xf00, v195
	v_lshlrev_b16 v195, 8, v195
	v_add_nc_u16 v195, 0xf800, v195
	s_delay_alu instid0(VALU_DEP_1) | instskip(NEXT) | instid1(VALU_DEP_1)
	v_lshrrev_b16 v195, 8, v195
	v_or_b32_e32 v195, v198, v195
	v_and_b32_e32 v198, 0xf00, v194
	v_lshlrev_b16 v194, 8, v194
	s_delay_alu instid0(VALU_DEP_3) | instskip(NEXT) | instid1(VALU_DEP_2)
	v_add_nc_u16 v195, 0xf800, v195
	v_add_nc_u16 v194, 0xf800, v194
	s_delay_alu instid0(VALU_DEP_1) | instskip(NEXT) | instid1(VALU_DEP_1)
	v_lshrrev_b16 v194, 8, v194
	v_or_b32_e32 v194, v198, v194
	s_delay_alu instid0(VALU_DEP_1) | instskip(NEXT) | instid1(VALU_DEP_1)
	v_add_nc_u16 v194, 0xf800, v194
	v_lshrrev_b32_e32 v23, 8, v194
	v_bfe_i32 v194, v194, 0, 8
	s_delay_alu instid0(VALU_DEP_2) | instskip(NEXT) | instid1(VALU_DEP_2)
	v_bfe_i32 v23, v23, 0, 8
	v_cvt_f16_i16_e64 v194, v194
	s_delay_alu instid0(VALU_DEP_2) | instskip(NEXT) | instid1(VALU_DEP_1)
	v_cvt_f16_i16_e32 v23, v23
	v_pack_b32_f16 v23, v194, v23
	v_lshrrev_b32_e32 v194, 8, v195
	v_bfe_i32 v195, v195, 0, 8
	s_delay_alu instid0(VALU_DEP_3) | instskip(NEXT) | instid1(VALU_DEP_3)
	v_pk_mul_f16 v23, v23, v22
	v_bfe_i32 v194, v194, 0, 8
	s_delay_alu instid0(VALU_DEP_3) | instskip(NEXT) | instid1(VALU_DEP_2)
	v_cvt_f16_i16_e64 v195, v195
	v_cvt_f16_i16_e64 v194, v194
	s_delay_alu instid0(VALU_DEP_1) | instskip(NEXT) | instid1(VALU_DEP_1)
	v_pack_b32_f16 v194, v195, v194
	v_pk_mul_f16 v22, v194, v22
	v_pk_fma_f16 v194, v23, v196, v197
	s_delay_alu instid0(VALU_DEP_2) | instskip(SKIP_1) | instid1(VALU_DEP_1)
	v_pk_fma_f16 v195, v22, v196, v16
	v_and_b32_e32 v16, 0xffff, v17
	v_mul_u32_u24_e32 v196, 0x10001, v16
	v_add_co_u32 v16, vcc_lo, v158, s11
	s_wait_alu 0xfffd
	v_add_co_ci_u32_e64 v17, null, 0, v159, vcc_lo
	v_add_co_u32 v22, vcc_lo, v156, s11
	s_wait_alu 0xfffd
	v_add_co_ci_u32_e64 v23, null, 0, v157, vcc_lo
	global_load_u16 v16, v[16:17], off
	global_load_b32 v22, v[22:23], off
	s_wait_loadcnt 0x1
	v_mul_u32_u24_e32 v16, 0x10001, v16
	s_wait_loadcnt 0x0
	v_ashrrev_i32_e32 v22, v192, v22
	s_delay_alu instid0(VALU_DEP_1) | instskip(NEXT) | instid1(VALU_DEP_1)
	v_and_b32_e32 v22, 0xf0f0f0f, v22
	v_lshrrev_b32_e32 v23, 16, v22
	s_delay_alu instid0(VALU_DEP_1) | instskip(SKIP_1) | instid1(VALU_DEP_1)
	v_and_b32_e32 v197, 0xf00, v23
	v_lshlrev_b16 v23, 8, v23
	v_add_nc_u16 v23, 0xf800, v23
	s_delay_alu instid0(VALU_DEP_1) | instskip(NEXT) | instid1(VALU_DEP_1)
	v_lshrrev_b16 v23, 8, v23
	v_or_b32_e32 v23, v197, v23
	v_and_b32_e32 v197, 0xf00, v22
	v_lshlrev_b16 v22, 8, v22
	s_delay_alu instid0(VALU_DEP_3) | instskip(NEXT) | instid1(VALU_DEP_2)
	v_add_nc_u16 v23, 0xf800, v23
	v_add_nc_u16 v22, 0xf800, v22
	s_delay_alu instid0(VALU_DEP_1) | instskip(NEXT) | instid1(VALU_DEP_1)
	v_lshrrev_b16 v22, 8, v22
	v_or_b32_e32 v22, v197, v22
	s_delay_alu instid0(VALU_DEP_1) | instskip(NEXT) | instid1(VALU_DEP_1)
	v_add_nc_u16 v22, 0xf800, v22
	v_lshrrev_b32_e32 v17, 8, v22
	v_bfe_i32 v22, v22, 0, 8
	s_delay_alu instid0(VALU_DEP_2) | instskip(NEXT) | instid1(VALU_DEP_2)
	v_bfe_i32 v17, v17, 0, 8
	v_cvt_f16_i16_e32 v22, v22
	s_delay_alu instid0(VALU_DEP_2) | instskip(NEXT) | instid1(VALU_DEP_1)
	v_cvt_f16_i16_e32 v17, v17
	v_pack_b32_f16 v17, v22, v17
	v_lshrrev_b32_e32 v22, 8, v23
	v_bfe_i32 v23, v23, 0, 8
	s_delay_alu instid0(VALU_DEP_3) | instskip(NEXT) | instid1(VALU_DEP_3)
	v_pk_mul_f16 v17, v17, v16
	v_bfe_i32 v22, v22, 0, 8
	s_delay_alu instid0(VALU_DEP_3) | instskip(NEXT) | instid1(VALU_DEP_3)
	v_cvt_f16_i16_e32 v23, v23
	v_pk_fma_f16 v194, v17, v196, v194
	s_delay_alu instid0(VALU_DEP_3) | instskip(NEXT) | instid1(VALU_DEP_1)
	v_cvt_f16_i16_e32 v22, v22
	v_pack_b32_f16 v22, v23, v22
	s_delay_alu instid0(VALU_DEP_1) | instskip(NEXT) | instid1(VALU_DEP_1)
	v_pk_mul_f16 v16, v22, v16
	v_pk_fma_f16 v195, v16, v196, v195
	v_add_co_u32 v16, vcc_lo, v154, s11
	s_wait_alu 0xfffd
	v_add_co_ci_u32_e64 v17, null, 0, v155, vcc_lo
	v_add_co_u32 v22, vcc_lo, v152, s11
	s_wait_alu 0xfffd
	v_add_co_ci_u32_e64 v23, null, 0, v153, vcc_lo
	global_load_u16 v16, v[16:17], off
	v_mul_u32_u24_e32 v196, 0x10001, v199
	global_load_b32 v22, v[22:23], off
	s_wait_loadcnt 0x1
	v_mul_u32_u24_e32 v16, 0x10001, v16
	s_wait_loadcnt 0x0
	v_ashrrev_i32_e32 v22, v192, v22
	s_delay_alu instid0(VALU_DEP_1) | instskip(NEXT) | instid1(VALU_DEP_1)
	v_and_b32_e32 v22, 0xf0f0f0f, v22
	v_lshrrev_b32_e32 v23, 16, v22
	s_delay_alu instid0(VALU_DEP_1) | instskip(SKIP_1) | instid1(VALU_DEP_1)
	v_and_b32_e32 v197, 0xf00, v23
	v_lshlrev_b16 v23, 8, v23
	v_add_nc_u16 v23, 0xf800, v23
	s_delay_alu instid0(VALU_DEP_1) | instskip(NEXT) | instid1(VALU_DEP_1)
	v_lshrrev_b16 v23, 8, v23
	v_or_b32_e32 v23, v197, v23
	v_and_b32_e32 v197, 0xf00, v22
	v_lshlrev_b16 v22, 8, v22
	s_delay_alu instid0(VALU_DEP_3) | instskip(NEXT) | instid1(VALU_DEP_2)
	v_add_nc_u16 v23, 0xf800, v23
	v_add_nc_u16 v22, 0xf800, v22
	s_delay_alu instid0(VALU_DEP_1) | instskip(NEXT) | instid1(VALU_DEP_1)
	v_lshrrev_b16 v22, 8, v22
	v_or_b32_e32 v22, v197, v22
	s_delay_alu instid0(VALU_DEP_1) | instskip(NEXT) | instid1(VALU_DEP_1)
	v_add_nc_u16 v22, 0xf800, v22
	v_lshrrev_b32_e32 v17, 8, v22
	v_bfe_i32 v22, v22, 0, 8
	s_delay_alu instid0(VALU_DEP_2) | instskip(NEXT) | instid1(VALU_DEP_2)
	v_bfe_i32 v17, v17, 0, 8
	v_cvt_f16_i16_e32 v22, v22
	s_delay_alu instid0(VALU_DEP_2) | instskip(NEXT) | instid1(VALU_DEP_1)
	v_cvt_f16_i16_e32 v17, v17
	v_pack_b32_f16 v17, v22, v17
	v_lshrrev_b32_e32 v22, 8, v23
	v_bfe_i32 v23, v23, 0, 8
	s_delay_alu instid0(VALU_DEP_3) | instskip(NEXT) | instid1(VALU_DEP_3)
	v_pk_mul_f16 v17, v17, v16
	v_bfe_i32 v22, v22, 0, 8
	s_delay_alu instid0(VALU_DEP_3) | instskip(NEXT) | instid1(VALU_DEP_3)
	v_cvt_f16_i16_e32 v23, v23
	v_pk_fma_f16 v194, v17, v196, v194
	s_delay_alu instid0(VALU_DEP_3) | instskip(NEXT) | instid1(VALU_DEP_1)
	v_cvt_f16_i16_e32 v22, v22
	v_pack_b32_f16 v22, v23, v22
	s_delay_alu instid0(VALU_DEP_1) | instskip(NEXT) | instid1(VALU_DEP_1)
	v_pk_mul_f16 v16, v22, v16
	v_pk_fma_f16 v195, v16, v196, v195
	v_and_b32_e32 v16, 0xffff, v18
	s_delay_alu instid0(VALU_DEP_1)
	v_mul_u32_u24_e32 v18, 0x10001, v16
	v_add_co_u32 v16, vcc_lo, v150, s11
	s_wait_alu 0xfffd
	v_add_co_ci_u32_e64 v17, null, 0, v151, vcc_lo
	v_add_co_u32 v22, vcc_lo, v148, s11
	s_wait_alu 0xfffd
	v_add_co_ci_u32_e64 v23, null, 0, v149, vcc_lo
	global_load_u16 v16, v[16:17], off
	global_load_b32 v22, v[22:23], off
	s_wait_loadcnt 0x1
	v_mul_u32_u24_e32 v16, 0x10001, v16
	s_wait_loadcnt 0x0
	v_ashrrev_i32_e32 v22, v192, v22
	s_delay_alu instid0(VALU_DEP_1) | instskip(NEXT) | instid1(VALU_DEP_1)
	v_and_b32_e32 v22, 0xf0f0f0f, v22
	v_lshrrev_b32_e32 v23, 16, v22
	s_delay_alu instid0(VALU_DEP_1) | instskip(SKIP_1) | instid1(VALU_DEP_1)
	v_and_b32_e32 v196, 0xf00, v23
	v_lshlrev_b16 v23, 8, v23
	v_add_nc_u16 v23, 0xf800, v23
	s_delay_alu instid0(VALU_DEP_1) | instskip(NEXT) | instid1(VALU_DEP_1)
	v_lshrrev_b16 v23, 8, v23
	v_or_b32_e32 v23, v196, v23
	v_and_b32_e32 v196, 0xf00, v22
	v_lshlrev_b16 v22, 8, v22
	s_delay_alu instid0(VALU_DEP_3) | instskip(NEXT) | instid1(VALU_DEP_2)
	v_add_nc_u16 v23, 0xf800, v23
	v_add_nc_u16 v22, 0xf800, v22
	s_delay_alu instid0(VALU_DEP_1) | instskip(NEXT) | instid1(VALU_DEP_1)
	v_lshrrev_b16 v22, 8, v22
	v_or_b32_e32 v22, v196, v22
	s_delay_alu instid0(VALU_DEP_1) | instskip(NEXT) | instid1(VALU_DEP_1)
	v_add_nc_u16 v22, 0xf800, v22
	v_lshrrev_b32_e32 v17, 8, v22
	v_bfe_i32 v22, v22, 0, 8
	s_delay_alu instid0(VALU_DEP_2) | instskip(NEXT) | instid1(VALU_DEP_2)
	v_bfe_i32 v17, v17, 0, 8
	v_cvt_f16_i16_e32 v22, v22
	s_delay_alu instid0(VALU_DEP_2) | instskip(NEXT) | instid1(VALU_DEP_1)
	v_cvt_f16_i16_e32 v17, v17
	v_pack_b32_f16 v17, v22, v17
	v_lshrrev_b32_e32 v22, 8, v23
	v_bfe_i32 v23, v23, 0, 8
	s_delay_alu instid0(VALU_DEP_3) | instskip(NEXT) | instid1(VALU_DEP_3)
	v_pk_mul_f16 v17, v17, v16
	v_bfe_i32 v22, v22, 0, 8
	s_delay_alu instid0(VALU_DEP_3) | instskip(NEXT) | instid1(VALU_DEP_2)
	v_cvt_f16_i16_e32 v23, v23
	v_cvt_f16_i16_e32 v22, v22
	s_delay_alu instid0(VALU_DEP_1) | instskip(SKIP_2) | instid1(VALU_DEP_3)
	v_pack_b32_f16 v22, v23, v22
	v_pk_fma_f16 v23, v17, v18, v194
	v_mul_u32_u24_e32 v194, 0x10001, v21
	v_pk_mul_f16 v16, v22, v16
	s_delay_alu instid0(VALU_DEP_1)
	v_pk_fma_f16 v18, v16, v18, v195
	v_add_co_u32 v16, vcc_lo, v146, s11
	s_wait_alu 0xfffd
	v_add_co_ci_u32_e64 v17, null, 0, v147, vcc_lo
	v_add_co_u32 v21, vcc_lo, v144, s11
	s_wait_alu 0xfffd
	v_add_co_ci_u32_e64 v22, null, 0, v145, vcc_lo
	global_load_u16 v16, v[16:17], off
	global_load_b32 v21, v[21:22], off
	s_wait_loadcnt 0x1
	v_mul_u32_u24_e32 v16, 0x10001, v16
	s_wait_loadcnt 0x0
	v_ashrrev_i32_e32 v21, v192, v21
	s_delay_alu instid0(VALU_DEP_1) | instskip(NEXT) | instid1(VALU_DEP_1)
	v_and_b32_e32 v21, 0xf0f0f0f, v21
	v_lshrrev_b32_e32 v22, 16, v21
	s_delay_alu instid0(VALU_DEP_1) | instskip(SKIP_1) | instid1(VALU_DEP_1)
	v_and_b32_e32 v195, 0xf00, v22
	v_lshlrev_b16 v22, 8, v22
	v_add_nc_u16 v22, 0xf800, v22
	s_delay_alu instid0(VALU_DEP_1) | instskip(NEXT) | instid1(VALU_DEP_1)
	v_lshrrev_b16 v22, 8, v22
	v_or_b32_e32 v22, v195, v22
	v_and_b32_e32 v195, 0xf00, v21
	v_lshlrev_b16 v21, 8, v21
	s_delay_alu instid0(VALU_DEP_3) | instskip(NEXT) | instid1(VALU_DEP_2)
	v_add_nc_u16 v22, 0xf800, v22
	v_add_nc_u16 v21, 0xf800, v21
	s_delay_alu instid0(VALU_DEP_1) | instskip(NEXT) | instid1(VALU_DEP_1)
	v_lshrrev_b16 v21, 8, v21
	v_or_b32_e32 v21, v195, v21
	s_wait_dscnt 0x1
	v_lshrrev_b32_e32 v195, 16, v12
	v_and_b32_e32 v12, 0xffff, v12
	s_delay_alu instid0(VALU_DEP_3) | instskip(NEXT) | instid1(VALU_DEP_2)
	v_add_nc_u16 v21, 0xf800, v21
	v_mul_u32_u24_e32 v12, 0x10001, v12
	s_delay_alu instid0(VALU_DEP_2) | instskip(SKIP_1) | instid1(VALU_DEP_2)
	v_lshrrev_b32_e32 v17, 8, v21
	v_bfe_i32 v21, v21, 0, 8
	v_bfe_i32 v17, v17, 0, 8
	s_delay_alu instid0(VALU_DEP_2) | instskip(NEXT) | instid1(VALU_DEP_2)
	v_cvt_f16_i16_e32 v21, v21
	v_cvt_f16_i16_e32 v17, v17
	s_delay_alu instid0(VALU_DEP_1) | instskip(SKIP_2) | instid1(VALU_DEP_3)
	v_pack_b32_f16 v17, v21, v17
	v_lshrrev_b32_e32 v21, 8, v22
	v_bfe_i32 v22, v22, 0, 8
	v_pk_mul_f16 v17, v17, v16
	s_delay_alu instid0(VALU_DEP_3) | instskip(NEXT) | instid1(VALU_DEP_3)
	v_bfe_i32 v21, v21, 0, 8
	v_cvt_f16_i16_e32 v22, v22
	s_delay_alu instid0(VALU_DEP_2) | instskip(NEXT) | instid1(VALU_DEP_1)
	v_cvt_f16_i16_e32 v21, v21
	v_pack_b32_f16 v21, v22, v21
	s_delay_alu instid0(VALU_DEP_1) | instskip(SKIP_1) | instid1(VALU_DEP_2)
	v_pk_mul_f16 v16, v21, v16
	v_pk_fma_f16 v21, v17, v194, v23
	v_pk_fma_f16 v22, v16, v194, v18
	v_and_b32_e32 v16, 0xffff, v19
	s_delay_alu instid0(VALU_DEP_1)
	v_mul_u32_u24_e32 v23, 0x10001, v16
	v_add_co_u32 v16, vcc_lo, v142, s11
	s_wait_alu 0xfffd
	v_add_co_ci_u32_e64 v17, null, 0, v143, vcc_lo
	v_add_co_u32 v18, vcc_lo, v140, s11
	s_wait_alu 0xfffd
	v_add_co_ci_u32_e64 v19, null, 0, v141, vcc_lo
	global_load_u16 v16, v[16:17], off
	global_load_b32 v18, v[18:19], off
	s_wait_loadcnt 0x1
	v_mul_u32_u24_e32 v16, 0x10001, v16
	s_wait_loadcnt 0x0
	v_ashrrev_i32_e32 v18, v192, v18
	s_delay_alu instid0(VALU_DEP_1) | instskip(NEXT) | instid1(VALU_DEP_1)
	v_and_b32_e32 v18, 0xf0f0f0f, v18
	v_lshrrev_b32_e32 v19, 16, v18
	s_delay_alu instid0(VALU_DEP_1) | instskip(SKIP_1) | instid1(VALU_DEP_1)
	v_and_b32_e32 v194, 0xf00, v19
	v_lshlrev_b16 v19, 8, v19
	v_add_nc_u16 v19, 0xf800, v19
	s_delay_alu instid0(VALU_DEP_1) | instskip(NEXT) | instid1(VALU_DEP_1)
	v_lshrrev_b16 v19, 8, v19
	v_or_b32_e32 v19, v194, v19
	v_and_b32_e32 v194, 0xf00, v18
	v_lshlrev_b16 v18, 8, v18
	s_delay_alu instid0(VALU_DEP_3) | instskip(NEXT) | instid1(VALU_DEP_2)
	v_add_nc_u16 v19, 0xf800, v19
	v_add_nc_u16 v18, 0xf800, v18
	s_delay_alu instid0(VALU_DEP_1) | instskip(NEXT) | instid1(VALU_DEP_1)
	v_lshrrev_b16 v18, 8, v18
	v_or_b32_e32 v18, v194, v18
	s_delay_alu instid0(VALU_DEP_1) | instskip(NEXT) | instid1(VALU_DEP_1)
	v_add_nc_u16 v18, 0xf800, v18
	v_lshrrev_b32_e32 v17, 8, v18
	v_bfe_i32 v18, v18, 0, 8
	s_delay_alu instid0(VALU_DEP_2) | instskip(NEXT) | instid1(VALU_DEP_2)
	v_bfe_i32 v17, v17, 0, 8
	v_cvt_f16_i16_e32 v18, v18
	s_delay_alu instid0(VALU_DEP_2) | instskip(NEXT) | instid1(VALU_DEP_1)
	v_cvt_f16_i16_e32 v17, v17
	v_pack_b32_f16 v17, v18, v17
	v_lshrrev_b32_e32 v18, 8, v19
	v_bfe_i32 v19, v19, 0, 8
	s_delay_alu instid0(VALU_DEP_3) | instskip(NEXT) | instid1(VALU_DEP_3)
	v_pk_mul_f16 v17, v17, v16
	v_bfe_i32 v18, v18, 0, 8
	s_delay_alu instid0(VALU_DEP_3) | instskip(NEXT) | instid1(VALU_DEP_2)
	v_cvt_f16_i16_e32 v19, v19
	v_cvt_f16_i16_e32 v18, v18
	s_delay_alu instid0(VALU_DEP_1) | instskip(NEXT) | instid1(VALU_DEP_1)
	v_pack_b32_f16 v18, v19, v18
	v_pk_mul_f16 v16, v18, v16
	v_pk_fma_f16 v18, v17, v23, v21
	s_delay_alu instid0(VALU_DEP_2)
	v_pk_fma_f16 v19, v16, v23, v22
	v_add_co_u32 v16, vcc_lo, v138, s11
	s_wait_alu 0xfffd
	v_add_co_ci_u32_e64 v17, null, 0, v139, vcc_lo
	v_add_co_u32 v21, vcc_lo, v136, s11
	s_wait_alu 0xfffd
	v_add_co_ci_u32_e64 v22, null, 0, v137, vcc_lo
	global_load_u16 v16, v[16:17], off
	global_load_b32 v21, v[21:22], off
	s_wait_loadcnt 0x1
	v_mul_u32_u24_e32 v16, 0x10001, v16
	s_wait_loadcnt 0x0
	v_ashrrev_i32_e32 v21, v192, v21
	s_delay_alu instid0(VALU_DEP_1) | instskip(NEXT) | instid1(VALU_DEP_1)
	v_and_b32_e32 v21, 0xf0f0f0f, v21
	v_lshrrev_b32_e32 v22, 16, v21
	s_delay_alu instid0(VALU_DEP_1) | instskip(SKIP_1) | instid1(VALU_DEP_1)
	v_and_b32_e32 v23, 0xf00, v22
	v_lshlrev_b16 v22, 8, v22
	v_add_nc_u16 v22, 0xf800, v22
	s_delay_alu instid0(VALU_DEP_1) | instskip(NEXT) | instid1(VALU_DEP_1)
	v_lshrrev_b16 v22, 8, v22
	v_or_b32_e32 v22, v23, v22
	v_and_b32_e32 v23, 0xf00, v21
	v_lshlrev_b16 v21, 8, v21
	s_delay_alu instid0(VALU_DEP_3) | instskip(NEXT) | instid1(VALU_DEP_2)
	v_add_nc_u16 v22, 0xf800, v22
	v_add_nc_u16 v21, 0xf800, v21
	s_delay_alu instid0(VALU_DEP_1) | instskip(NEXT) | instid1(VALU_DEP_1)
	v_lshrrev_b16 v21, 8, v21
	v_or_b32_e32 v21, v23, v21
	s_delay_alu instid0(VALU_DEP_1) | instskip(NEXT) | instid1(VALU_DEP_1)
	v_add_nc_u16 v21, 0xf800, v21
	v_lshrrev_b32_e32 v17, 8, v21
	v_bfe_i32 v21, v21, 0, 8
	s_delay_alu instid0(VALU_DEP_2) | instskip(NEXT) | instid1(VALU_DEP_2)
	v_bfe_i32 v17, v17, 0, 8
	v_cvt_f16_i16_e32 v21, v21
	s_delay_alu instid0(VALU_DEP_2) | instskip(NEXT) | instid1(VALU_DEP_1)
	v_cvt_f16_i16_e32 v17, v17
	v_pack_b32_f16 v17, v21, v17
	v_lshrrev_b32_e32 v21, 8, v22
	v_bfe_i32 v22, v22, 0, 8
	s_delay_alu instid0(VALU_DEP_3) | instskip(NEXT) | instid1(VALU_DEP_3)
	v_pk_mul_f16 v17, v17, v16
	v_bfe_i32 v21, v21, 0, 8
	s_delay_alu instid0(VALU_DEP_3) | instskip(NEXT) | instid1(VALU_DEP_3)
	v_cvt_f16_i16_e32 v22, v22
	v_pk_fma_f16 v23, v17, v20, v18
	s_delay_alu instid0(VALU_DEP_3) | instskip(SKIP_2) | instid1(VALU_DEP_3)
	v_cvt_f16_i16_e32 v21, v21
	v_lshrrev_b32_e32 v18, 16, v13
	v_lshrrev_b32_e32 v17, 16, v14
	v_pack_b32_f16 v21, v22, v21
	s_delay_alu instid0(VALU_DEP_1) | instskip(NEXT) | instid1(VALU_DEP_1)
	v_pk_mul_f16 v16, v21, v16
	v_pk_fma_f16 v194, v16, v20, v19
	v_add_co_u32 v19, vcc_lo, v134, s11
	s_wait_alu 0xfffd
	v_add_co_ci_u32_e64 v20, null, 0, v135, vcc_lo
	v_add_co_u32 v21, vcc_lo, v132, s11
	s_wait_alu 0xfffd
	v_add_co_ci_u32_e64 v22, null, 0, v133, vcc_lo
	global_load_u16 v19, v[19:20], off
	v_lshrrev_b32_e32 v16, 16, v15
	global_load_b32 v21, v[21:22], off
	v_mul_u32_u24_e32 v16, 0x10001, v16
	s_wait_loadcnt 0x1
	v_mul_u32_u24_e32 v19, 0x10001, v19
	s_wait_loadcnt 0x0
	v_ashrrev_i32_e32 v21, v192, v21
	s_delay_alu instid0(VALU_DEP_1) | instskip(NEXT) | instid1(VALU_DEP_1)
	v_and_b32_e32 v21, 0xf0f0f0f, v21
	v_lshrrev_b32_e32 v22, 16, v21
	s_delay_alu instid0(VALU_DEP_1) | instskip(SKIP_1) | instid1(VALU_DEP_1)
	v_and_b32_e32 v196, 0xf00, v22
	v_lshlrev_b16 v22, 8, v22
	v_add_nc_u16 v22, 0xf800, v22
	s_delay_alu instid0(VALU_DEP_1) | instskip(NEXT) | instid1(VALU_DEP_1)
	v_lshrrev_b16 v22, 8, v22
	v_or_b32_e32 v22, v196, v22
	v_and_b32_e32 v196, 0xf00, v21
	v_lshlrev_b16 v21, 8, v21
	s_delay_alu instid0(VALU_DEP_3) | instskip(NEXT) | instid1(VALU_DEP_2)
	v_add_nc_u16 v22, 0xf800, v22
	v_add_nc_u16 v21, 0xf800, v21
	s_delay_alu instid0(VALU_DEP_1) | instskip(NEXT) | instid1(VALU_DEP_1)
	v_lshrrev_b16 v21, 8, v21
	v_or_b32_e32 v21, v196, v21
	s_delay_alu instid0(VALU_DEP_1) | instskip(NEXT) | instid1(VALU_DEP_1)
	v_add_nc_u16 v21, 0xf800, v21
	v_lshrrev_b32_e32 v20, 8, v21
	v_bfe_i32 v21, v21, 0, 8
	s_delay_alu instid0(VALU_DEP_2) | instskip(NEXT) | instid1(VALU_DEP_2)
	v_bfe_i32 v20, v20, 0, 8
	v_cvt_f16_i16_e32 v21, v21
	s_delay_alu instid0(VALU_DEP_2) | instskip(NEXT) | instid1(VALU_DEP_1)
	v_cvt_f16_i16_e32 v20, v20
	v_pack_b32_f16 v20, v21, v20
	v_lshrrev_b32_e32 v21, 8, v22
	v_bfe_i32 v22, v22, 0, 8
	s_delay_alu instid0(VALU_DEP_3) | instskip(NEXT) | instid1(VALU_DEP_3)
	v_pk_mul_f16 v20, v20, v19
	v_bfe_i32 v21, v21, 0, 8
	s_delay_alu instid0(VALU_DEP_3) | instskip(NEXT) | instid1(VALU_DEP_3)
	v_cvt_f16_i16_e32 v22, v22
	v_pk_fma_f16 v23, v20, v12, v23
	s_delay_alu instid0(VALU_DEP_3) | instskip(NEXT) | instid1(VALU_DEP_1)
	v_cvt_f16_i16_e32 v21, v21
	v_pack_b32_f16 v21, v22, v21
	s_delay_alu instid0(VALU_DEP_1) | instskip(NEXT) | instid1(VALU_DEP_1)
	v_pk_mul_f16 v19, v21, v19
	v_pk_fma_f16 v12, v19, v12, v194
	v_add_co_u32 v19, vcc_lo, v130, s11
	s_wait_alu 0xfffd
	v_add_co_ci_u32_e64 v20, null, 0, v131, vcc_lo
	v_add_co_u32 v21, vcc_lo, v128, s11
	s_wait_alu 0xfffd
	v_add_co_ci_u32_e64 v22, null, 0, v129, vcc_lo
	global_load_u16 v19, v[19:20], off
	v_mul_u32_u24_e32 v194, 0x10001, v195
	global_load_b32 v21, v[21:22], off
	s_wait_loadcnt 0x1
	v_mul_u32_u24_e32 v19, 0x10001, v19
	s_wait_loadcnt 0x0
	v_ashrrev_i32_e32 v21, v192, v21
	s_delay_alu instid0(VALU_DEP_1) | instskip(NEXT) | instid1(VALU_DEP_1)
	v_and_b32_e32 v21, 0xf0f0f0f, v21
	v_lshrrev_b32_e32 v22, 16, v21
	s_delay_alu instid0(VALU_DEP_1) | instskip(SKIP_1) | instid1(VALU_DEP_1)
	v_and_b32_e32 v195, 0xf00, v22
	v_lshlrev_b16 v22, 8, v22
	v_add_nc_u16 v22, 0xf800, v22
	s_delay_alu instid0(VALU_DEP_1) | instskip(NEXT) | instid1(VALU_DEP_1)
	v_lshrrev_b16 v22, 8, v22
	v_or_b32_e32 v22, v195, v22
	v_and_b32_e32 v195, 0xf00, v21
	v_lshlrev_b16 v21, 8, v21
	s_delay_alu instid0(VALU_DEP_3) | instskip(NEXT) | instid1(VALU_DEP_2)
	v_add_nc_u16 v22, 0xf800, v22
	v_add_nc_u16 v21, 0xf800, v21
	s_delay_alu instid0(VALU_DEP_1) | instskip(NEXT) | instid1(VALU_DEP_1)
	v_lshrrev_b16 v21, 8, v21
	v_or_b32_e32 v21, v195, v21
	s_delay_alu instid0(VALU_DEP_1) | instskip(NEXT) | instid1(VALU_DEP_1)
	v_add_nc_u16 v21, 0xf800, v21
	v_lshrrev_b32_e32 v20, 8, v21
	v_bfe_i32 v21, v21, 0, 8
	s_delay_alu instid0(VALU_DEP_2) | instskip(NEXT) | instid1(VALU_DEP_2)
	v_bfe_i32 v20, v20, 0, 8
	v_cvt_f16_i16_e32 v21, v21
	s_delay_alu instid0(VALU_DEP_2) | instskip(NEXT) | instid1(VALU_DEP_1)
	v_cvt_f16_i16_e32 v20, v20
	v_pack_b32_f16 v20, v21, v20
	v_lshrrev_b32_e32 v21, 8, v22
	v_bfe_i32 v22, v22, 0, 8
	s_delay_alu instid0(VALU_DEP_3) | instskip(NEXT) | instid1(VALU_DEP_3)
	v_pk_mul_f16 v20, v20, v19
	v_bfe_i32 v21, v21, 0, 8
	s_delay_alu instid0(VALU_DEP_3) | instskip(NEXT) | instid1(VALU_DEP_2)
	v_cvt_f16_i16_e32 v22, v22
	v_cvt_f16_i16_e32 v21, v21
	s_delay_alu instid0(VALU_DEP_1) | instskip(NEXT) | instid1(VALU_DEP_1)
	v_pack_b32_f16 v21, v22, v21
	v_pk_mul_f16 v19, v21, v19
	v_pk_fma_f16 v21, v20, v194, v23
	s_delay_alu instid0(VALU_DEP_2) | instskip(SKIP_1) | instid1(VALU_DEP_1)
	v_pk_fma_f16 v22, v19, v194, v12
	v_and_b32_e32 v12, 0xffff, v13
	v_mul_u32_u24_e32 v23, 0x10001, v12
	v_add_co_u32 v12, vcc_lo, v126, s11
	s_wait_alu 0xfffd
	v_add_co_ci_u32_e64 v13, null, 0, v127, vcc_lo
	v_add_co_u32 v19, vcc_lo, v124, s11
	s_wait_alu 0xfffd
	v_add_co_ci_u32_e64 v20, null, 0, v125, vcc_lo
	global_load_u16 v12, v[12:13], off
	global_load_b32 v19, v[19:20], off
	s_wait_loadcnt 0x1
	v_mul_u32_u24_e32 v12, 0x10001, v12
	s_wait_loadcnt 0x0
	v_ashrrev_i32_e32 v19, v192, v19
	s_delay_alu instid0(VALU_DEP_1) | instskip(NEXT) | instid1(VALU_DEP_1)
	v_and_b32_e32 v19, 0xf0f0f0f, v19
	v_lshrrev_b32_e32 v20, 16, v19
	s_delay_alu instid0(VALU_DEP_1) | instskip(SKIP_1) | instid1(VALU_DEP_1)
	v_and_b32_e32 v194, 0xf00, v20
	v_lshlrev_b16 v20, 8, v20
	v_add_nc_u16 v20, 0xf800, v20
	s_delay_alu instid0(VALU_DEP_1) | instskip(NEXT) | instid1(VALU_DEP_1)
	v_lshrrev_b16 v20, 8, v20
	v_or_b32_e32 v20, v194, v20
	v_and_b32_e32 v194, 0xf00, v19
	v_lshlrev_b16 v19, 8, v19
	s_delay_alu instid0(VALU_DEP_3) | instskip(NEXT) | instid1(VALU_DEP_2)
	v_add_nc_u16 v20, 0xf800, v20
	v_add_nc_u16 v19, 0xf800, v19
	s_delay_alu instid0(VALU_DEP_1) | instskip(NEXT) | instid1(VALU_DEP_1)
	v_lshrrev_b16 v19, 8, v19
	v_or_b32_e32 v19, v194, v19
	s_delay_alu instid0(VALU_DEP_1) | instskip(NEXT) | instid1(VALU_DEP_1)
	v_add_nc_u16 v19, 0xf800, v19
	v_lshrrev_b32_e32 v13, 8, v19
	v_bfe_i32 v19, v19, 0, 8
	s_delay_alu instid0(VALU_DEP_2) | instskip(NEXT) | instid1(VALU_DEP_2)
	v_bfe_i32 v13, v13, 0, 8
	v_cvt_f16_i16_e32 v19, v19
	s_delay_alu instid0(VALU_DEP_2) | instskip(NEXT) | instid1(VALU_DEP_1)
	v_cvt_f16_i16_e32 v13, v13
	v_pack_b32_f16 v13, v19, v13
	v_lshrrev_b32_e32 v19, 8, v20
	v_bfe_i32 v20, v20, 0, 8
	s_delay_alu instid0(VALU_DEP_3) | instskip(NEXT) | instid1(VALU_DEP_3)
	v_pk_mul_f16 v13, v13, v12
	v_bfe_i32 v19, v19, 0, 8
	s_delay_alu instid0(VALU_DEP_3) | instskip(NEXT) | instid1(VALU_DEP_2)
	v_cvt_f16_i16_e32 v20, v20
	v_cvt_f16_i16_e32 v19, v19
	s_delay_alu instid0(VALU_DEP_1) | instskip(SKIP_1) | instid1(VALU_DEP_2)
	v_pack_b32_f16 v19, v20, v19
	v_pk_fma_f16 v20, v13, v23, v21
	v_pk_mul_f16 v12, v19, v12
	s_delay_alu instid0(VALU_DEP_1)
	v_pk_fma_f16 v21, v12, v23, v22
	v_add_co_u32 v12, vcc_lo, v122, s11
	v_mul_u32_u24_e32 v22, 0x10001, v18
	s_wait_alu 0xfffd
	v_add_co_ci_u32_e64 v13, null, 0, v123, vcc_lo
	v_add_co_u32 v18, vcc_lo, v120, s11
	s_wait_alu 0xfffd
	v_add_co_ci_u32_e64 v19, null, 0, v121, vcc_lo
	global_load_u16 v12, v[12:13], off
	global_load_b32 v18, v[18:19], off
	s_wait_loadcnt 0x1
	v_mul_u32_u24_e32 v12, 0x10001, v12
	s_wait_loadcnt 0x0
	v_ashrrev_i32_e32 v18, v192, v18
	s_delay_alu instid0(VALU_DEP_1) | instskip(NEXT) | instid1(VALU_DEP_1)
	v_and_b32_e32 v18, 0xf0f0f0f, v18
	v_lshrrev_b32_e32 v19, 16, v18
	s_delay_alu instid0(VALU_DEP_1) | instskip(SKIP_1) | instid1(VALU_DEP_1)
	v_and_b32_e32 v23, 0xf00, v19
	v_lshlrev_b16 v19, 8, v19
	v_add_nc_u16 v19, 0xf800, v19
	s_delay_alu instid0(VALU_DEP_1) | instskip(NEXT) | instid1(VALU_DEP_1)
	v_lshrrev_b16 v19, 8, v19
	v_or_b32_e32 v19, v23, v19
	v_and_b32_e32 v23, 0xf00, v18
	v_lshlrev_b16 v18, 8, v18
	s_delay_alu instid0(VALU_DEP_3) | instskip(NEXT) | instid1(VALU_DEP_2)
	v_add_nc_u16 v19, 0xf800, v19
	v_add_nc_u16 v18, 0xf800, v18
	s_delay_alu instid0(VALU_DEP_1) | instskip(NEXT) | instid1(VALU_DEP_1)
	v_lshrrev_b16 v18, 8, v18
	v_or_b32_e32 v18, v23, v18
	s_delay_alu instid0(VALU_DEP_1) | instskip(NEXT) | instid1(VALU_DEP_1)
	v_add_nc_u16 v18, 0xf800, v18
	v_lshrrev_b32_e32 v13, 8, v18
	v_bfe_i32 v18, v18, 0, 8
	s_delay_alu instid0(VALU_DEP_2) | instskip(NEXT) | instid1(VALU_DEP_2)
	v_bfe_i32 v13, v13, 0, 8
	v_cvt_f16_i16_e32 v18, v18
	s_delay_alu instid0(VALU_DEP_2) | instskip(NEXT) | instid1(VALU_DEP_1)
	v_cvt_f16_i16_e32 v13, v13
	v_pack_b32_f16 v13, v18, v13
	v_lshrrev_b32_e32 v18, 8, v19
	v_bfe_i32 v19, v19, 0, 8
	s_delay_alu instid0(VALU_DEP_3) | instskip(NEXT) | instid1(VALU_DEP_3)
	v_pk_mul_f16 v13, v13, v12
	v_bfe_i32 v18, v18, 0, 8
	s_delay_alu instid0(VALU_DEP_3) | instskip(NEXT) | instid1(VALU_DEP_3)
	v_cvt_f16_i16_e32 v19, v19
	v_pk_fma_f16 v20, v13, v22, v20
	s_delay_alu instid0(VALU_DEP_3) | instskip(NEXT) | instid1(VALU_DEP_1)
	v_cvt_f16_i16_e32 v18, v18
	v_pack_b32_f16 v18, v19, v18
	s_delay_alu instid0(VALU_DEP_1) | instskip(NEXT) | instid1(VALU_DEP_1)
	v_pk_mul_f16 v12, v18, v12
	v_pk_fma_f16 v21, v12, v22, v21
	v_and_b32_e32 v12, 0xffff, v14
	s_delay_alu instid0(VALU_DEP_1)
	v_mul_u32_u24_e32 v14, 0x10001, v12
	v_add_co_u32 v12, vcc_lo, v118, s11
	s_wait_alu 0xfffd
	v_add_co_ci_u32_e64 v13, null, 0, v119, vcc_lo
	v_add_co_u32 v18, vcc_lo, v116, s11
	s_wait_alu 0xfffd
	v_add_co_ci_u32_e64 v19, null, 0, v117, vcc_lo
	global_load_u16 v12, v[12:13], off
	global_load_b32 v18, v[18:19], off
	s_wait_loadcnt 0x1
	v_mul_u32_u24_e32 v12, 0x10001, v12
	s_wait_loadcnt 0x0
	v_ashrrev_i32_e32 v18, v192, v18
	s_delay_alu instid0(VALU_DEP_1) | instskip(NEXT) | instid1(VALU_DEP_1)
	v_and_b32_e32 v18, 0xf0f0f0f, v18
	v_lshrrev_b32_e32 v19, 16, v18
	s_delay_alu instid0(VALU_DEP_1) | instskip(SKIP_1) | instid1(VALU_DEP_1)
	v_and_b32_e32 v22, 0xf00, v19
	v_lshlrev_b16 v19, 8, v19
	v_add_nc_u16 v19, 0xf800, v19
	s_delay_alu instid0(VALU_DEP_1) | instskip(NEXT) | instid1(VALU_DEP_1)
	v_lshrrev_b16 v19, 8, v19
	v_or_b32_e32 v19, v22, v19
	v_and_b32_e32 v22, 0xf00, v18
	v_lshlrev_b16 v18, 8, v18
	s_delay_alu instid0(VALU_DEP_3) | instskip(NEXT) | instid1(VALU_DEP_2)
	v_add_nc_u16 v19, 0xf800, v19
	v_add_nc_u16 v18, 0xf800, v18
	s_delay_alu instid0(VALU_DEP_1) | instskip(NEXT) | instid1(VALU_DEP_1)
	v_lshrrev_b16 v18, 8, v18
	v_or_b32_e32 v18, v22, v18
	s_delay_alu instid0(VALU_DEP_1) | instskip(NEXT) | instid1(VALU_DEP_1)
	v_add_nc_u16 v18, 0xf800, v18
	v_lshrrev_b32_e32 v13, 8, v18
	v_bfe_i32 v18, v18, 0, 8
	s_delay_alu instid0(VALU_DEP_2) | instskip(NEXT) | instid1(VALU_DEP_2)
	v_bfe_i32 v13, v13, 0, 8
	v_cvt_f16_i16_e32 v18, v18
	s_delay_alu instid0(VALU_DEP_2) | instskip(NEXT) | instid1(VALU_DEP_1)
	v_cvt_f16_i16_e32 v13, v13
	v_pack_b32_f16 v13, v18, v13
	v_lshrrev_b32_e32 v18, 8, v19
	v_bfe_i32 v19, v19, 0, 8
	s_delay_alu instid0(VALU_DEP_3) | instskip(NEXT) | instid1(VALU_DEP_3)
	v_pk_mul_f16 v13, v13, v12
	v_bfe_i32 v18, v18, 0, 8
	s_delay_alu instid0(VALU_DEP_3) | instskip(NEXT) | instid1(VALU_DEP_2)
	v_cvt_f16_i16_e32 v19, v19
	v_cvt_f16_i16_e32 v18, v18
	s_delay_alu instid0(VALU_DEP_1) | instskip(SKIP_2) | instid1(VALU_DEP_3)
	v_pack_b32_f16 v18, v19, v18
	v_pk_fma_f16 v19, v13, v14, v20
	v_mul_u32_u24_e32 v20, 0x10001, v17
	v_pk_mul_f16 v12, v18, v12
	s_delay_alu instid0(VALU_DEP_1)
	v_pk_fma_f16 v14, v12, v14, v21
	v_add_co_u32 v12, vcc_lo, v114, s11
	s_wait_alu 0xfffd
	v_add_co_ci_u32_e64 v13, null, 0, v115, vcc_lo
	v_add_co_u32 v17, vcc_lo, v112, s11
	s_wait_alu 0xfffd
	v_add_co_ci_u32_e64 v18, null, 0, v113, vcc_lo
	global_load_u16 v12, v[12:13], off
	global_load_b32 v17, v[17:18], off
	s_wait_loadcnt 0x1
	v_mul_u32_u24_e32 v12, 0x10001, v12
	s_wait_loadcnt 0x0
	v_ashrrev_i32_e32 v17, v192, v17
	s_delay_alu instid0(VALU_DEP_1) | instskip(NEXT) | instid1(VALU_DEP_1)
	v_and_b32_e32 v17, 0xf0f0f0f, v17
	v_lshrrev_b32_e32 v18, 16, v17
	s_delay_alu instid0(VALU_DEP_1) | instskip(SKIP_1) | instid1(VALU_DEP_1)
	v_and_b32_e32 v21, 0xf00, v18
	v_lshlrev_b16 v18, 8, v18
	v_add_nc_u16 v18, 0xf800, v18
	s_delay_alu instid0(VALU_DEP_1) | instskip(NEXT) | instid1(VALU_DEP_1)
	v_lshrrev_b16 v18, 8, v18
	v_or_b32_e32 v18, v21, v18
	v_and_b32_e32 v21, 0xf00, v17
	v_lshlrev_b16 v17, 8, v17
	s_delay_alu instid0(VALU_DEP_3) | instskip(NEXT) | instid1(VALU_DEP_2)
	v_add_nc_u16 v18, 0xf800, v18
	v_add_nc_u16 v17, 0xf800, v17
	s_delay_alu instid0(VALU_DEP_1) | instskip(NEXT) | instid1(VALU_DEP_1)
	v_lshrrev_b16 v17, 8, v17
	v_or_b32_e32 v17, v21, v17
	s_wait_dscnt 0x0
	v_lshrrev_b32_e32 v21, 16, v8
	v_and_b32_e32 v8, 0xffff, v8
	s_delay_alu instid0(VALU_DEP_3) | instskip(NEXT) | instid1(VALU_DEP_2)
	v_add_nc_u16 v17, 0xf800, v17
	v_mul_u32_u24_e32 v8, 0x10001, v8
	s_delay_alu instid0(VALU_DEP_2) | instskip(SKIP_1) | instid1(VALU_DEP_2)
	v_lshrrev_b32_e32 v13, 8, v17
	v_bfe_i32 v17, v17, 0, 8
	v_bfe_i32 v13, v13, 0, 8
	s_delay_alu instid0(VALU_DEP_2) | instskip(NEXT) | instid1(VALU_DEP_2)
	v_cvt_f16_i16_e32 v17, v17
	v_cvt_f16_i16_e32 v13, v13
	s_delay_alu instid0(VALU_DEP_1) | instskip(SKIP_2) | instid1(VALU_DEP_3)
	v_pack_b32_f16 v13, v17, v13
	v_lshrrev_b32_e32 v17, 8, v18
	v_bfe_i32 v18, v18, 0, 8
	v_pk_mul_f16 v13, v13, v12
	s_delay_alu instid0(VALU_DEP_3) | instskip(NEXT) | instid1(VALU_DEP_3)
	v_bfe_i32 v17, v17, 0, 8
	v_cvt_f16_i16_e32 v18, v18
	s_delay_alu instid0(VALU_DEP_2) | instskip(NEXT) | instid1(VALU_DEP_1)
	v_cvt_f16_i16_e32 v17, v17
	v_pack_b32_f16 v17, v18, v17
	s_delay_alu instid0(VALU_DEP_1) | instskip(SKIP_1) | instid1(VALU_DEP_2)
	v_pk_mul_f16 v12, v17, v12
	v_pk_fma_f16 v17, v13, v20, v19
	v_pk_fma_f16 v18, v12, v20, v14
	v_and_b32_e32 v12, 0xffff, v15
	s_delay_alu instid0(VALU_DEP_1)
	v_mul_u32_u24_e32 v19, 0x10001, v12
	v_add_co_u32 v12, vcc_lo, v110, s11
	s_wait_alu 0xfffd
	v_add_co_ci_u32_e64 v13, null, 0, v111, vcc_lo
	v_add_co_u32 v14, vcc_lo, v108, s11
	s_wait_alu 0xfffd
	v_add_co_ci_u32_e64 v15, null, 0, v109, vcc_lo
	global_load_u16 v12, v[12:13], off
	global_load_b32 v14, v[14:15], off
	s_wait_loadcnt 0x1
	v_mul_u32_u24_e32 v12, 0x10001, v12
	s_wait_loadcnt 0x0
	v_ashrrev_i32_e32 v14, v192, v14
	s_delay_alu instid0(VALU_DEP_1) | instskip(NEXT) | instid1(VALU_DEP_1)
	v_and_b32_e32 v14, 0xf0f0f0f, v14
	v_lshrrev_b32_e32 v15, 16, v14
	s_delay_alu instid0(VALU_DEP_1) | instskip(SKIP_1) | instid1(VALU_DEP_1)
	v_and_b32_e32 v20, 0xf00, v15
	v_lshlrev_b16 v15, 8, v15
	v_add_nc_u16 v15, 0xf800, v15
	s_delay_alu instid0(VALU_DEP_1) | instskip(NEXT) | instid1(VALU_DEP_1)
	v_lshrrev_b16 v15, 8, v15
	v_or_b32_e32 v15, v20, v15
	v_and_b32_e32 v20, 0xf00, v14
	v_lshlrev_b16 v14, 8, v14
	s_delay_alu instid0(VALU_DEP_3) | instskip(NEXT) | instid1(VALU_DEP_2)
	v_add_nc_u16 v15, 0xf800, v15
	v_add_nc_u16 v14, 0xf800, v14
	s_delay_alu instid0(VALU_DEP_1) | instskip(NEXT) | instid1(VALU_DEP_1)
	v_lshrrev_b16 v14, 8, v14
	v_or_b32_e32 v14, v20, v14
	s_delay_alu instid0(VALU_DEP_1) | instskip(NEXT) | instid1(VALU_DEP_1)
	v_add_nc_u16 v14, 0xf800, v14
	v_lshrrev_b32_e32 v13, 8, v14
	v_bfe_i32 v14, v14, 0, 8
	s_delay_alu instid0(VALU_DEP_2) | instskip(NEXT) | instid1(VALU_DEP_2)
	v_bfe_i32 v13, v13, 0, 8
	v_cvt_f16_i16_e32 v14, v14
	s_delay_alu instid0(VALU_DEP_2) | instskip(NEXT) | instid1(VALU_DEP_1)
	v_cvt_f16_i16_e32 v13, v13
	v_pack_b32_f16 v13, v14, v13
	v_lshrrev_b32_e32 v14, 8, v15
	v_bfe_i32 v15, v15, 0, 8
	s_delay_alu instid0(VALU_DEP_3) | instskip(NEXT) | instid1(VALU_DEP_3)
	v_pk_mul_f16 v13, v13, v12
	v_bfe_i32 v14, v14, 0, 8
	s_delay_alu instid0(VALU_DEP_3) | instskip(NEXT) | instid1(VALU_DEP_3)
	v_cvt_f16_i16_e32 v15, v15
	v_pk_fma_f16 v17, v13, v19, v17
	s_delay_alu instid0(VALU_DEP_3) | instskip(NEXT) | instid1(VALU_DEP_1)
	v_cvt_f16_i16_e32 v14, v14
	v_pack_b32_f16 v14, v15, v14
	s_delay_alu instid0(VALU_DEP_1) | instskip(NEXT) | instid1(VALU_DEP_1)
	v_pk_mul_f16 v12, v14, v12
	v_pk_fma_f16 v18, v12, v19, v18
	v_add_co_u32 v12, vcc_lo, v106, s11
	s_wait_alu 0xfffd
	v_add_co_ci_u32_e64 v13, null, 0, v107, vcc_lo
	v_add_co_u32 v14, vcc_lo, v104, s11
	s_wait_alu 0xfffd
	v_add_co_ci_u32_e64 v15, null, 0, v105, vcc_lo
	global_load_u16 v12, v[12:13], off
	global_load_b32 v14, v[14:15], off
	s_wait_loadcnt 0x1
	v_mul_u32_u24_e32 v12, 0x10001, v12
	s_wait_loadcnt 0x0
	v_ashrrev_i32_e32 v14, v192, v14
	s_delay_alu instid0(VALU_DEP_1) | instskip(NEXT) | instid1(VALU_DEP_1)
	v_and_b32_e32 v14, 0xf0f0f0f, v14
	v_lshrrev_b32_e32 v15, 16, v14
	s_delay_alu instid0(VALU_DEP_1) | instskip(SKIP_1) | instid1(VALU_DEP_1)
	v_and_b32_e32 v19, 0xf00, v15
	v_lshlrev_b16 v15, 8, v15
	v_add_nc_u16 v15, 0xf800, v15
	s_delay_alu instid0(VALU_DEP_1) | instskip(NEXT) | instid1(VALU_DEP_1)
	v_lshrrev_b16 v15, 8, v15
	v_or_b32_e32 v15, v19, v15
	v_and_b32_e32 v19, 0xf00, v14
	v_lshlrev_b16 v14, 8, v14
	s_delay_alu instid0(VALU_DEP_3) | instskip(NEXT) | instid1(VALU_DEP_2)
	v_add_nc_u16 v15, 0xf800, v15
	v_add_nc_u16 v14, 0xf800, v14
	s_delay_alu instid0(VALU_DEP_1) | instskip(NEXT) | instid1(VALU_DEP_1)
	v_lshrrev_b16 v14, 8, v14
	v_or_b32_e32 v14, v19, v14
	s_delay_alu instid0(VALU_DEP_1) | instskip(NEXT) | instid1(VALU_DEP_1)
	v_add_nc_u16 v14, 0xf800, v14
	v_lshrrev_b32_e32 v13, 8, v14
	v_bfe_i32 v14, v14, 0, 8
	s_delay_alu instid0(VALU_DEP_2) | instskip(NEXT) | instid1(VALU_DEP_2)
	v_bfe_i32 v13, v13, 0, 8
	v_cvt_f16_i16_e32 v14, v14
	s_delay_alu instid0(VALU_DEP_2) | instskip(NEXT) | instid1(VALU_DEP_1)
	v_cvt_f16_i16_e32 v13, v13
	v_pack_b32_f16 v13, v14, v13
	v_lshrrev_b32_e32 v14, 8, v15
	v_bfe_i32 v15, v15, 0, 8
	s_delay_alu instid0(VALU_DEP_3) | instskip(NEXT) | instid1(VALU_DEP_3)
	v_pk_mul_f16 v13, v13, v12
	v_bfe_i32 v14, v14, 0, 8
	s_delay_alu instid0(VALU_DEP_3) | instskip(NEXT) | instid1(VALU_DEP_3)
	v_cvt_f16_i16_e32 v15, v15
	v_pk_fma_f16 v19, v13, v16, v17
	s_delay_alu instid0(VALU_DEP_3) | instskip(SKIP_1) | instid1(VALU_DEP_2)
	v_cvt_f16_i16_e32 v14, v14
	v_lshrrev_b32_e32 v13, 16, v10
	v_pack_b32_f16 v14, v15, v14
	v_add_co_u32 v15, vcc_lo, v102, s11
	s_delay_alu instid0(VALU_DEP_2) | instskip(SKIP_1) | instid1(VALU_DEP_2)
	v_pk_mul_f16 v12, v14, v12
	v_lshrrev_b32_e32 v14, 16, v9
	v_pk_fma_f16 v20, v12, v16, v18
	s_wait_alu 0xfffd
	v_add_co_ci_u32_e64 v16, null, 0, v103, vcc_lo
	v_add_co_u32 v17, vcc_lo, v100, s11
	s_wait_alu 0xfffd
	v_add_co_ci_u32_e64 v18, null, 0, v101, vcc_lo
	global_load_u16 v15, v[15:16], off
	v_lshrrev_b32_e32 v12, 16, v11
	global_load_b32 v17, v[17:18], off
	s_wait_loadcnt 0x1
	v_mul_u32_u24_e32 v15, 0x10001, v15
	s_wait_loadcnt 0x0
	v_ashrrev_i32_e32 v17, v192, v17
	s_delay_alu instid0(VALU_DEP_1) | instskip(NEXT) | instid1(VALU_DEP_1)
	v_and_b32_e32 v17, 0xf0f0f0f, v17
	v_lshrrev_b32_e32 v18, 16, v17
	s_delay_alu instid0(VALU_DEP_1) | instskip(SKIP_1) | instid1(VALU_DEP_1)
	v_and_b32_e32 v22, 0xf00, v18
	v_lshlrev_b16 v18, 8, v18
	v_add_nc_u16 v18, 0xf800, v18
	s_delay_alu instid0(VALU_DEP_1) | instskip(NEXT) | instid1(VALU_DEP_1)
	v_lshrrev_b16 v18, 8, v18
	v_or_b32_e32 v18, v22, v18
	v_and_b32_e32 v22, 0xf00, v17
	v_lshlrev_b16 v17, 8, v17
	s_delay_alu instid0(VALU_DEP_3) | instskip(NEXT) | instid1(VALU_DEP_2)
	v_add_nc_u16 v18, 0xf800, v18
	v_add_nc_u16 v17, 0xf800, v17
	s_delay_alu instid0(VALU_DEP_1) | instskip(NEXT) | instid1(VALU_DEP_1)
	v_lshrrev_b16 v17, 8, v17
	v_or_b32_e32 v17, v22, v17
	s_delay_alu instid0(VALU_DEP_1) | instskip(NEXT) | instid1(VALU_DEP_1)
	v_add_nc_u16 v17, 0xf800, v17
	v_lshrrev_b32_e32 v16, 8, v17
	v_bfe_i32 v17, v17, 0, 8
	s_delay_alu instid0(VALU_DEP_2) | instskip(NEXT) | instid1(VALU_DEP_2)
	v_bfe_i32 v16, v16, 0, 8
	v_cvt_f16_i16_e32 v17, v17
	s_delay_alu instid0(VALU_DEP_2) | instskip(NEXT) | instid1(VALU_DEP_1)
	v_cvt_f16_i16_e32 v16, v16
	v_pack_b32_f16 v16, v17, v16
	v_lshrrev_b32_e32 v17, 8, v18
	v_bfe_i32 v18, v18, 0, 8
	s_delay_alu instid0(VALU_DEP_3) | instskip(NEXT) | instid1(VALU_DEP_3)
	v_pk_mul_f16 v16, v16, v15
	v_bfe_i32 v17, v17, 0, 8
	s_delay_alu instid0(VALU_DEP_3) | instskip(NEXT) | instid1(VALU_DEP_3)
	v_cvt_f16_i16_e32 v18, v18
	v_pk_fma_f16 v19, v16, v8, v19
	s_delay_alu instid0(VALU_DEP_3) | instskip(NEXT) | instid1(VALU_DEP_1)
	v_cvt_f16_i16_e32 v17, v17
	v_pack_b32_f16 v17, v18, v17
	s_delay_alu instid0(VALU_DEP_1) | instskip(NEXT) | instid1(VALU_DEP_1)
	v_pk_mul_f16 v15, v17, v15
	v_pk_fma_f16 v8, v15, v8, v20
	v_add_co_u32 v15, vcc_lo, v98, s11
	s_wait_alu 0xfffd
	v_add_co_ci_u32_e64 v16, null, 0, v99, vcc_lo
	v_add_co_u32 v17, vcc_lo, v96, s11
	s_wait_alu 0xfffd
	v_add_co_ci_u32_e64 v18, null, 0, v97, vcc_lo
	global_load_u16 v15, v[15:16], off
	v_mul_u32_u24_e32 v20, 0x10001, v21
	global_load_b32 v17, v[17:18], off
	s_wait_loadcnt 0x1
	v_mul_u32_u24_e32 v15, 0x10001, v15
	s_wait_loadcnt 0x0
	v_ashrrev_i32_e32 v17, v192, v17
	s_delay_alu instid0(VALU_DEP_1) | instskip(NEXT) | instid1(VALU_DEP_1)
	v_and_b32_e32 v17, 0xf0f0f0f, v17
	v_lshrrev_b32_e32 v18, 16, v17
	s_delay_alu instid0(VALU_DEP_1) | instskip(SKIP_1) | instid1(VALU_DEP_1)
	v_and_b32_e32 v21, 0xf00, v18
	v_lshlrev_b16 v18, 8, v18
	v_add_nc_u16 v18, 0xf800, v18
	s_delay_alu instid0(VALU_DEP_1) | instskip(NEXT) | instid1(VALU_DEP_1)
	v_lshrrev_b16 v18, 8, v18
	v_or_b32_e32 v18, v21, v18
	v_and_b32_e32 v21, 0xf00, v17
	v_lshlrev_b16 v17, 8, v17
	s_delay_alu instid0(VALU_DEP_3) | instskip(NEXT) | instid1(VALU_DEP_2)
	v_add_nc_u16 v18, 0xf800, v18
	v_add_nc_u16 v17, 0xf800, v17
	s_delay_alu instid0(VALU_DEP_1) | instskip(NEXT) | instid1(VALU_DEP_1)
	v_lshrrev_b16 v17, 8, v17
	v_or_b32_e32 v17, v21, v17
	s_delay_alu instid0(VALU_DEP_1) | instskip(NEXT) | instid1(VALU_DEP_1)
	v_add_nc_u16 v17, 0xf800, v17
	v_lshrrev_b32_e32 v16, 8, v17
	v_bfe_i32 v17, v17, 0, 8
	s_delay_alu instid0(VALU_DEP_2) | instskip(NEXT) | instid1(VALU_DEP_2)
	v_bfe_i32 v16, v16, 0, 8
	v_cvt_f16_i16_e32 v17, v17
	s_delay_alu instid0(VALU_DEP_2) | instskip(NEXT) | instid1(VALU_DEP_1)
	v_cvt_f16_i16_e32 v16, v16
	v_pack_b32_f16 v16, v17, v16
	v_lshrrev_b32_e32 v17, 8, v18
	v_bfe_i32 v18, v18, 0, 8
	s_delay_alu instid0(VALU_DEP_3) | instskip(NEXT) | instid1(VALU_DEP_3)
	v_pk_mul_f16 v16, v16, v15
	v_bfe_i32 v17, v17, 0, 8
	s_delay_alu instid0(VALU_DEP_3) | instskip(NEXT) | instid1(VALU_DEP_2)
	v_cvt_f16_i16_e32 v18, v18
	v_cvt_f16_i16_e32 v17, v17
	s_delay_alu instid0(VALU_DEP_1) | instskip(NEXT) | instid1(VALU_DEP_1)
	v_pack_b32_f16 v17, v18, v17
	v_pk_mul_f16 v15, v17, v15
	v_pk_fma_f16 v17, v16, v20, v19
	s_delay_alu instid0(VALU_DEP_2) | instskip(SKIP_1) | instid1(VALU_DEP_1)
	v_pk_fma_f16 v18, v15, v20, v8
	v_and_b32_e32 v8, 0xffff, v9
	v_mul_u32_u24_e32 v19, 0x10001, v8
	v_add_co_u32 v8, vcc_lo, v94, s11
	s_wait_alu 0xfffd
	v_add_co_ci_u32_e64 v9, null, 0, v95, vcc_lo
	v_add_co_u32 v15, vcc_lo, v92, s11
	s_wait_alu 0xfffd
	v_add_co_ci_u32_e64 v16, null, 0, v93, vcc_lo
	global_load_u16 v8, v[8:9], off
	global_load_b32 v15, v[15:16], off
	s_wait_loadcnt 0x1
	v_mul_u32_u24_e32 v8, 0x10001, v8
	s_wait_loadcnt 0x0
	v_ashrrev_i32_e32 v15, v192, v15
	s_delay_alu instid0(VALU_DEP_1) | instskip(NEXT) | instid1(VALU_DEP_1)
	v_and_b32_e32 v15, 0xf0f0f0f, v15
	v_lshrrev_b32_e32 v16, 16, v15
	s_delay_alu instid0(VALU_DEP_1) | instskip(SKIP_1) | instid1(VALU_DEP_1)
	v_and_b32_e32 v20, 0xf00, v16
	v_lshlrev_b16 v16, 8, v16
	v_add_nc_u16 v16, 0xf800, v16
	s_delay_alu instid0(VALU_DEP_1) | instskip(NEXT) | instid1(VALU_DEP_1)
	v_lshrrev_b16 v16, 8, v16
	v_or_b32_e32 v16, v20, v16
	v_and_b32_e32 v20, 0xf00, v15
	v_lshlrev_b16 v15, 8, v15
	s_delay_alu instid0(VALU_DEP_3) | instskip(NEXT) | instid1(VALU_DEP_2)
	v_add_nc_u16 v16, 0xf800, v16
	v_add_nc_u16 v15, 0xf800, v15
	s_delay_alu instid0(VALU_DEP_1) | instskip(NEXT) | instid1(VALU_DEP_1)
	v_lshrrev_b16 v15, 8, v15
	v_or_b32_e32 v15, v20, v15
	s_delay_alu instid0(VALU_DEP_1) | instskip(NEXT) | instid1(VALU_DEP_1)
	v_add_nc_u16 v15, 0xf800, v15
	v_lshrrev_b32_e32 v9, 8, v15
	v_bfe_i32 v15, v15, 0, 8
	s_delay_alu instid0(VALU_DEP_2) | instskip(NEXT) | instid1(VALU_DEP_2)
	v_bfe_i32 v9, v9, 0, 8
	v_cvt_f16_i16_e32 v15, v15
	s_delay_alu instid0(VALU_DEP_2) | instskip(NEXT) | instid1(VALU_DEP_1)
	v_cvt_f16_i16_e32 v9, v9
	v_pack_b32_f16 v9, v15, v9
	v_lshrrev_b32_e32 v15, 8, v16
	v_bfe_i32 v16, v16, 0, 8
	s_delay_alu instid0(VALU_DEP_3) | instskip(NEXT) | instid1(VALU_DEP_3)
	v_pk_mul_f16 v9, v9, v8
	v_bfe_i32 v15, v15, 0, 8
	s_delay_alu instid0(VALU_DEP_3) | instskip(NEXT) | instid1(VALU_DEP_2)
	v_cvt_f16_i16_e32 v16, v16
	v_cvt_f16_i16_e32 v15, v15
	s_delay_alu instid0(VALU_DEP_1) | instskip(SKIP_1) | instid1(VALU_DEP_2)
	v_pack_b32_f16 v15, v16, v15
	v_pk_fma_f16 v16, v9, v19, v17
	v_pk_mul_f16 v8, v15, v8
	s_delay_alu instid0(VALU_DEP_1)
	v_pk_fma_f16 v17, v8, v19, v18
	v_add_co_u32 v8, vcc_lo, v90, s11
	v_mul_u32_u24_e32 v18, 0x10001, v14
	s_wait_alu 0xfffd
	v_add_co_ci_u32_e64 v9, null, 0, v91, vcc_lo
	v_add_co_u32 v14, vcc_lo, v88, s11
	s_wait_alu 0xfffd
	v_add_co_ci_u32_e64 v15, null, 0, v89, vcc_lo
	global_load_u16 v8, v[8:9], off
	global_load_b32 v14, v[14:15], off
	s_wait_loadcnt 0x1
	v_mul_u32_u24_e32 v8, 0x10001, v8
	s_wait_loadcnt 0x0
	v_ashrrev_i32_e32 v14, v192, v14
	s_delay_alu instid0(VALU_DEP_1) | instskip(NEXT) | instid1(VALU_DEP_1)
	v_and_b32_e32 v14, 0xf0f0f0f, v14
	v_lshrrev_b32_e32 v15, 16, v14
	s_delay_alu instid0(VALU_DEP_1) | instskip(SKIP_1) | instid1(VALU_DEP_1)
	v_and_b32_e32 v19, 0xf00, v15
	v_lshlrev_b16 v15, 8, v15
	v_add_nc_u16 v15, 0xf800, v15
	s_delay_alu instid0(VALU_DEP_1) | instskip(NEXT) | instid1(VALU_DEP_1)
	v_lshrrev_b16 v15, 8, v15
	v_or_b32_e32 v15, v19, v15
	v_and_b32_e32 v19, 0xf00, v14
	v_lshlrev_b16 v14, 8, v14
	s_delay_alu instid0(VALU_DEP_3) | instskip(NEXT) | instid1(VALU_DEP_2)
	v_add_nc_u16 v15, 0xf800, v15
	v_add_nc_u16 v14, 0xf800, v14
	s_delay_alu instid0(VALU_DEP_1) | instskip(NEXT) | instid1(VALU_DEP_1)
	v_lshrrev_b16 v14, 8, v14
	v_or_b32_e32 v14, v19, v14
	s_delay_alu instid0(VALU_DEP_1) | instskip(NEXT) | instid1(VALU_DEP_1)
	v_add_nc_u16 v14, 0xf800, v14
	v_lshrrev_b32_e32 v9, 8, v14
	v_bfe_i32 v14, v14, 0, 8
	s_delay_alu instid0(VALU_DEP_2) | instskip(NEXT) | instid1(VALU_DEP_2)
	v_bfe_i32 v9, v9, 0, 8
	v_cvt_f16_i16_e32 v14, v14
	s_delay_alu instid0(VALU_DEP_2) | instskip(NEXT) | instid1(VALU_DEP_1)
	v_cvt_f16_i16_e32 v9, v9
	v_pack_b32_f16 v9, v14, v9
	v_lshrrev_b32_e32 v14, 8, v15
	v_bfe_i32 v15, v15, 0, 8
	s_delay_alu instid0(VALU_DEP_3) | instskip(NEXT) | instid1(VALU_DEP_3)
	v_pk_mul_f16 v9, v9, v8
	v_bfe_i32 v14, v14, 0, 8
	s_delay_alu instid0(VALU_DEP_3) | instskip(NEXT) | instid1(VALU_DEP_3)
	v_cvt_f16_i16_e32 v15, v15
	v_pk_fma_f16 v16, v9, v18, v16
	s_delay_alu instid0(VALU_DEP_3) | instskip(NEXT) | instid1(VALU_DEP_1)
	v_cvt_f16_i16_e32 v14, v14
	v_pack_b32_f16 v14, v15, v14
	s_delay_alu instid0(VALU_DEP_1) | instskip(NEXT) | instid1(VALU_DEP_1)
	v_pk_mul_f16 v8, v14, v8
	v_pk_fma_f16 v17, v8, v18, v17
	v_and_b32_e32 v8, 0xffff, v10
	s_delay_alu instid0(VALU_DEP_1)
	v_mul_u32_u24_e32 v10, 0x10001, v8
	v_add_co_u32 v8, vcc_lo, v86, s11
	s_wait_alu 0xfffd
	v_add_co_ci_u32_e64 v9, null, 0, v87, vcc_lo
	v_add_co_u32 v14, vcc_lo, v84, s11
	s_wait_alu 0xfffd
	v_add_co_ci_u32_e64 v15, null, 0, v85, vcc_lo
	global_load_u16 v8, v[8:9], off
	global_load_b32 v14, v[14:15], off
	s_wait_loadcnt 0x1
	v_mul_u32_u24_e32 v8, 0x10001, v8
	s_wait_loadcnt 0x0
	v_ashrrev_i32_e32 v14, v192, v14
	s_delay_alu instid0(VALU_DEP_1) | instskip(NEXT) | instid1(VALU_DEP_1)
	v_and_b32_e32 v14, 0xf0f0f0f, v14
	v_lshrrev_b32_e32 v15, 16, v14
	s_delay_alu instid0(VALU_DEP_1) | instskip(SKIP_1) | instid1(VALU_DEP_1)
	v_and_b32_e32 v18, 0xf00, v15
	v_lshlrev_b16 v15, 8, v15
	v_add_nc_u16 v15, 0xf800, v15
	s_delay_alu instid0(VALU_DEP_1) | instskip(NEXT) | instid1(VALU_DEP_1)
	v_lshrrev_b16 v15, 8, v15
	v_or_b32_e32 v15, v18, v15
	v_and_b32_e32 v18, 0xf00, v14
	v_lshlrev_b16 v14, 8, v14
	s_delay_alu instid0(VALU_DEP_3) | instskip(NEXT) | instid1(VALU_DEP_2)
	v_add_nc_u16 v15, 0xf800, v15
	v_add_nc_u16 v14, 0xf800, v14
	s_delay_alu instid0(VALU_DEP_1) | instskip(NEXT) | instid1(VALU_DEP_1)
	v_lshrrev_b16 v14, 8, v14
	v_or_b32_e32 v14, v18, v14
	s_delay_alu instid0(VALU_DEP_1) | instskip(NEXT) | instid1(VALU_DEP_1)
	v_add_nc_u16 v14, 0xf800, v14
	v_lshrrev_b32_e32 v9, 8, v14
	v_bfe_i32 v14, v14, 0, 8
	s_delay_alu instid0(VALU_DEP_2) | instskip(NEXT) | instid1(VALU_DEP_2)
	v_bfe_i32 v9, v9, 0, 8
	v_cvt_f16_i16_e32 v14, v14
	s_delay_alu instid0(VALU_DEP_2) | instskip(NEXT) | instid1(VALU_DEP_1)
	v_cvt_f16_i16_e32 v9, v9
	v_pack_b32_f16 v9, v14, v9
	v_lshrrev_b32_e32 v14, 8, v15
	v_bfe_i32 v15, v15, 0, 8
	s_delay_alu instid0(VALU_DEP_3) | instskip(NEXT) | instid1(VALU_DEP_3)
	v_pk_mul_f16 v9, v9, v8
	v_bfe_i32 v14, v14, 0, 8
	s_delay_alu instid0(VALU_DEP_3) | instskip(NEXT) | instid1(VALU_DEP_2)
	v_cvt_f16_i16_e32 v15, v15
	v_cvt_f16_i16_e32 v14, v14
	s_delay_alu instid0(VALU_DEP_1) | instskip(SKIP_2) | instid1(VALU_DEP_3)
	v_pack_b32_f16 v14, v15, v14
	v_pk_fma_f16 v15, v9, v10, v16
	v_mul_u32_u24_e32 v16, 0x10001, v13
	v_pk_mul_f16 v8, v14, v8
	s_delay_alu instid0(VALU_DEP_1)
	v_pk_fma_f16 v10, v8, v10, v17
	v_add_co_u32 v8, vcc_lo, v82, s11
	s_wait_alu 0xfffd
	v_add_co_ci_u32_e64 v9, null, 0, v83, vcc_lo
	v_add_co_u32 v13, vcc_lo, v80, s11
	s_wait_alu 0xfffd
	v_add_co_ci_u32_e64 v14, null, 0, v81, vcc_lo
	global_load_u16 v8, v[8:9], off
	global_load_b32 v13, v[13:14], off
	s_wait_loadcnt 0x1
	v_mul_u32_u24_e32 v8, 0x10001, v8
	s_wait_loadcnt 0x0
	v_ashrrev_i32_e32 v13, v192, v13
	s_delay_alu instid0(VALU_DEP_1) | instskip(NEXT) | instid1(VALU_DEP_1)
	v_and_b32_e32 v13, 0xf0f0f0f, v13
	v_lshrrev_b32_e32 v14, 16, v13
	s_delay_alu instid0(VALU_DEP_1) | instskip(SKIP_1) | instid1(VALU_DEP_1)
	v_and_b32_e32 v17, 0xf00, v14
	v_lshlrev_b16 v14, 8, v14
	v_add_nc_u16 v14, 0xf800, v14
	s_delay_alu instid0(VALU_DEP_1) | instskip(NEXT) | instid1(VALU_DEP_1)
	v_lshrrev_b16 v14, 8, v14
	v_or_b32_e32 v14, v17, v14
	v_and_b32_e32 v17, 0xf00, v13
	v_lshlrev_b16 v13, 8, v13
	s_delay_alu instid0(VALU_DEP_3) | instskip(NEXT) | instid1(VALU_DEP_2)
	v_add_nc_u16 v14, 0xf800, v14
	v_add_nc_u16 v13, 0xf800, v13
	s_delay_alu instid0(VALU_DEP_1) | instskip(NEXT) | instid1(VALU_DEP_1)
	v_lshrrev_b16 v13, 8, v13
	v_or_b32_e32 v13, v17, v13
	s_delay_alu instid0(VALU_DEP_1) | instskip(NEXT) | instid1(VALU_DEP_1)
	v_add_nc_u16 v13, 0xf800, v13
	v_lshrrev_b32_e32 v9, 8, v13
	v_bfe_i32 v13, v13, 0, 8
	s_delay_alu instid0(VALU_DEP_2) | instskip(NEXT) | instid1(VALU_DEP_2)
	v_bfe_i32 v9, v9, 0, 8
	v_cvt_f16_i16_e32 v13, v13
	s_delay_alu instid0(VALU_DEP_2) | instskip(NEXT) | instid1(VALU_DEP_1)
	v_cvt_f16_i16_e32 v9, v9
	v_pack_b32_f16 v9, v13, v9
	v_lshrrev_b32_e32 v13, 8, v14
	v_bfe_i32 v14, v14, 0, 8
	s_delay_alu instid0(VALU_DEP_3) | instskip(NEXT) | instid1(VALU_DEP_3)
	v_pk_mul_f16 v9, v9, v8
	v_bfe_i32 v13, v13, 0, 8
	s_delay_alu instid0(VALU_DEP_3) | instskip(NEXT) | instid1(VALU_DEP_2)
	v_cvt_f16_i16_e32 v14, v14
	v_cvt_f16_i16_e32 v13, v13
	s_delay_alu instid0(VALU_DEP_1) | instskip(NEXT) | instid1(VALU_DEP_1)
	v_pack_b32_f16 v13, v14, v13
	v_pk_mul_f16 v8, v13, v8
	v_pk_fma_f16 v13, v9, v16, v15
	s_delay_alu instid0(VALU_DEP_2) | instskip(SKIP_1) | instid1(VALU_DEP_1)
	v_pk_fma_f16 v14, v8, v16, v10
	v_and_b32_e32 v8, 0xffff, v11
	v_mul_u32_u24_e32 v15, 0x10001, v8
	v_add_co_u32 v8, vcc_lo, v78, s11
	s_wait_alu 0xfffd
	v_add_co_ci_u32_e64 v9, null, 0, v79, vcc_lo
	v_add_co_u32 v10, vcc_lo, v76, s11
	s_wait_alu 0xfffd
	v_add_co_ci_u32_e64 v11, null, 0, v77, vcc_lo
	global_load_u16 v8, v[8:9], off
	global_load_b32 v10, v[10:11], off
	s_wait_loadcnt 0x1
	v_mul_u32_u24_e32 v8, 0x10001, v8
	s_wait_loadcnt 0x0
	v_ashrrev_i32_e32 v10, v192, v10
	s_delay_alu instid0(VALU_DEP_1) | instskip(NEXT) | instid1(VALU_DEP_1)
	v_and_b32_e32 v10, 0xf0f0f0f, v10
	v_lshrrev_b32_e32 v11, 16, v10
	s_delay_alu instid0(VALU_DEP_1) | instskip(SKIP_1) | instid1(VALU_DEP_1)
	v_and_b32_e32 v16, 0xf00, v11
	v_lshlrev_b16 v11, 8, v11
	v_add_nc_u16 v11, 0xf800, v11
	s_delay_alu instid0(VALU_DEP_1) | instskip(NEXT) | instid1(VALU_DEP_1)
	v_lshrrev_b16 v11, 8, v11
	v_or_b32_e32 v11, v16, v11
	v_and_b32_e32 v16, 0xf00, v10
	v_lshlrev_b16 v10, 8, v10
	s_delay_alu instid0(VALU_DEP_3) | instskip(NEXT) | instid1(VALU_DEP_2)
	v_add_nc_u16 v11, 0xf800, v11
	v_add_nc_u16 v10, 0xf800, v10
	s_delay_alu instid0(VALU_DEP_1) | instskip(NEXT) | instid1(VALU_DEP_1)
	v_lshrrev_b16 v10, 8, v10
	v_or_b32_e32 v10, v16, v10
	s_delay_alu instid0(VALU_DEP_1) | instskip(NEXT) | instid1(VALU_DEP_1)
	v_add_nc_u16 v10, 0xf800, v10
	v_lshrrev_b32_e32 v9, 8, v10
	v_bfe_i32 v10, v10, 0, 8
	s_delay_alu instid0(VALU_DEP_2) | instskip(NEXT) | instid1(VALU_DEP_2)
	v_bfe_i32 v9, v9, 0, 8
	v_cvt_f16_i16_e32 v10, v10
	s_delay_alu instid0(VALU_DEP_2) | instskip(NEXT) | instid1(VALU_DEP_1)
	v_cvt_f16_i16_e32 v9, v9
	v_pack_b32_f16 v9, v10, v9
	v_lshrrev_b32_e32 v10, 8, v11
	v_bfe_i32 v11, v11, 0, 8
	s_delay_alu instid0(VALU_DEP_3) | instskip(NEXT) | instid1(VALU_DEP_3)
	v_pk_mul_f16 v9, v9, v8
	v_bfe_i32 v10, v10, 0, 8
	s_delay_alu instid0(VALU_DEP_3) | instskip(NEXT) | instid1(VALU_DEP_2)
	v_cvt_f16_i16_e32 v11, v11
	v_cvt_f16_i16_e32 v10, v10
	s_delay_alu instid0(VALU_DEP_1) | instskip(SKIP_1) | instid1(VALU_DEP_2)
	v_pack_b32_f16 v10, v11, v10
	v_mul_u32_u24_e32 v11, 0x10001, v12
	v_pk_mul_f16 v10, v10, v8
	v_pk_fma_f16 v8, v9, v15, v13
	v_add_co_u32 v13, vcc_lo, v74, s11
	s_delay_alu instid0(VALU_DEP_3)
	v_pk_fma_f16 v10, v10, v15, v14
	s_wait_alu 0xfffd
	v_add_co_ci_u32_e64 v14, null, 0, v75, vcc_lo
	v_add_co_u32 v15, vcc_lo, v72, s11
	s_wait_alu 0xfffd
	v_add_co_ci_u32_e64 v16, null, 0, v73, vcc_lo
	global_load_u16 v13, v[13:14], off
	v_add_co_u32 v56, vcc_lo, v56, s20
	global_load_b32 v9, v[15:16], off
	s_wait_alu 0xfffd
	v_add_co_ci_u32_e64 v57, null, 0, v57, vcc_lo
	v_add_co_u32 v40, vcc_lo, v40, s6
	s_wait_alu 0xfffd
	v_add_co_ci_u32_e64 v41, null, s7, v41, vcc_lo
	v_add_co_u32 v58, vcc_lo, v58, s8
	;; [unrolled: 3-line block ×68, first 2 shown]
	s_wait_alu 0xfffd
	v_add_co_ci_u32_e64 v191, null, 0, v191, vcc_lo
	s_wait_loadcnt 0x1
	v_mul_u32_u24_e32 v13, 0x10001, v13
	s_wait_loadcnt 0x0
	v_ashrrev_i32_e32 v9, v192, v9
	s_delay_alu instid0(VALU_DEP_1) | instskip(NEXT) | instid1(VALU_DEP_1)
	v_and_b32_e32 v12, 0xf0f0f0f, v9
	v_lshrrev_b32_e32 v9, 16, v12
	s_delay_alu instid0(VALU_DEP_1) | instskip(SKIP_1) | instid1(VALU_DEP_1)
	v_and_b32_e32 v15, 0xf00, v9
	v_lshlrev_b16 v9, 8, v9
	v_add_nc_u16 v9, 0xf800, v9
	s_delay_alu instid0(VALU_DEP_1) | instskip(NEXT) | instid1(VALU_DEP_1)
	v_lshrrev_b16 v9, 8, v9
	v_or_b32_e32 v9, v15, v9
	v_and_b32_e32 v15, 0xf00, v12
	v_lshlrev_b16 v12, 8, v12
	s_delay_alu instid0(VALU_DEP_3) | instskip(NEXT) | instid1(VALU_DEP_2)
	v_add_nc_u16 v9, 0xf800, v9
	v_add_nc_u16 v12, 0xf800, v12
	s_delay_alu instid0(VALU_DEP_1) | instskip(NEXT) | instid1(VALU_DEP_1)
	v_lshrrev_b16 v12, 8, v12
	v_or_b32_e32 v12, v15, v12
	s_delay_alu instid0(VALU_DEP_1) | instskip(NEXT) | instid1(VALU_DEP_1)
	v_add_nc_u16 v12, 0xf800, v12
	v_lshrrev_b32_e32 v14, 8, v12
	v_bfe_i32 v12, v12, 0, 8
	s_delay_alu instid0(VALU_DEP_2) | instskip(NEXT) | instid1(VALU_DEP_2)
	v_bfe_i32 v14, v14, 0, 8
	v_cvt_f16_i16_e32 v12, v12
	s_delay_alu instid0(VALU_DEP_2) | instskip(NEXT) | instid1(VALU_DEP_1)
	v_cvt_f16_i16_e32 v14, v14
	v_pack_b32_f16 v12, v12, v14
	v_lshrrev_b32_e32 v14, 8, v9
	v_bfe_i32 v9, v9, 0, 8
	s_delay_alu instid0(VALU_DEP_3) | instskip(NEXT) | instid1(VALU_DEP_3)
	v_pk_mul_f16 v12, v12, v13
	v_bfe_i32 v14, v14, 0, 8
	s_delay_alu instid0(VALU_DEP_3) | instskip(NEXT) | instid1(VALU_DEP_2)
	v_cvt_f16_i16_e32 v9, v9
	v_cvt_f16_i16_e32 v14, v14
	s_delay_alu instid0(VALU_DEP_1) | instskip(NEXT) | instid1(VALU_DEP_1)
	v_pack_b32_f16 v9, v9, v14
	v_pk_mul_f16 v13, v9, v13
	v_pk_fma_f16 v9, v12, v11, v8
	s_delay_alu instid0(VALU_DEP_2)
	v_pk_fma_f16 v8, v13, v11, v10
	s_cbranch_scc1 .LBB18_26
; %bb.24:                               ;   in Loop: Header=BB18_11 Depth=1
	v_mov_b32_e32 v10, v193
	s_branch .LBB18_11
.LBB18_25:
	v_dual_mov_b32 v9, 0 :: v_dual_mov_b32 v8, 0
	v_mov_b32_e32 v193, 0xfeffffff
.LBB18_26:
	v_or_b32_e32 v0, s31, v42
	s_cmp_lg_u64 s[12:13], 0
	s_cselect_b32 s3, -1, 0
	s_delay_alu instid0(VALU_DEP_1)
	v_cmp_eq_u32_e32 vcc_lo, 0, v0
	s_wait_alu 0xfffe
	s_and_b32 s4, vcc_lo, s3
	s_wait_alu 0xfffe
	s_and_saveexec_b32 s3, s4
	s_cbranch_execz .LBB18_28
; %bb.27:
	s_lshl_b64 s[4:5], s[28:29], 2
	v_max_num_f32_e32 v0, v193, v193
	s_wait_alu 0xfffe
	s_add_nc_u64 s[4:5], s[12:13], s[4:5]
	s_load_b32 s4, s[4:5], 0x0
	s_wait_kmcnt 0x0
	v_max_num_f32_e64 v1, s4, s4
	s_delay_alu instid0(VALU_DEP_1) | instskip(NEXT) | instid1(VALU_DEP_1)
	v_max_num_f32_e32 v0, v0, v1
	v_sub_f32_e32 v2, s4, v0
	s_delay_alu instid0(VALU_DEP_1) | instskip(NEXT) | instid1(VALU_DEP_1)
	v_mul_f32_e32 v4, 0x3fb8aa3b, v2
	v_fma_f32 v7, 0x3fb8aa3b, v2, -v4
	v_rndne_f32_e32 v10, v4
	s_delay_alu instid0(VALU_DEP_2) | instskip(NEXT) | instid1(VALU_DEP_2)
	v_fmac_f32_e32 v7, 0x32a5705f, v2
	v_dual_sub_f32 v1, v193, v0 :: v_dual_sub_f32 v4, v4, v10
	v_mov_b32_e32 v193, v0
	s_delay_alu instid0(VALU_DEP_2) | instskip(SKIP_1) | instid1(VALU_DEP_2)
	v_dual_mul_f32 v3, 0x3fb8aa3b, v1 :: v_dual_add_f32 v4, v4, v7
	v_cmp_ngt_f32_e32 vcc_lo, 0xc2ce8ed0, v1
	v_fma_f32 v5, 0x3fb8aa3b, v1, -v3
	v_rndne_f32_e32 v6, v3
	s_delay_alu instid0(VALU_DEP_4) | instskip(NEXT) | instid1(VALU_DEP_2)
	v_exp_f32_e32 v4, v4
	v_fmac_f32_e32 v5, 0x32a5705f, v1
	s_delay_alu instid0(VALU_DEP_2) | instskip(NEXT) | instid1(VALU_DEP_1)
	v_sub_f32_e32 v3, v3, v6
	v_add_f32_e32 v3, v3, v5
	v_cvt_i32_f32_e32 v5, v6
	v_cvt_i32_f32_e32 v6, v10
	s_delay_alu instid0(VALU_DEP_3)
	v_exp_f32_e32 v3, v3
	s_delay_alu instid0(TRANS32_DEP_2) | instid1(VALU_DEP_1)
	v_ldexp_f32 v4, v4, v6
	s_delay_alu instid0(TRANS32_DEP_1) | instskip(SKIP_1) | instid1(VALU_DEP_1)
	v_ldexp_f32 v3, v3, v5
	s_wait_alu 0xfffd
	v_cndmask_b32_e32 v3, 0, v3, vcc_lo
	v_cmp_ngt_f32_e32 vcc_lo, 0xc2ce8ed0, v2
	s_wait_alu 0xfffd
	v_cndmask_b32_e32 v4, 0, v4, vcc_lo
	v_cmp_nlt_f32_e32 vcc_lo, 0x42b17218, v1
	s_wait_alu 0xfffd
	v_cndmask_b32_e32 v1, 0x7f800000, v3, vcc_lo
	v_cmp_nlt_f32_e32 vcc_lo, 0x42b17218, v2
	s_delay_alu instid0(VALU_DEP_2) | instskip(SKIP_4) | instid1(VALU_DEP_2)
	v_cvt_f16_f32_e32 v3, v1
	s_wait_alu 0xfffd
	v_cndmask_b32_e32 v2, 0x7f800000, v4, vcc_lo
	v_cmp_eq_u32_e32 vcc_lo, 0, v43
	s_wait_alu 0xfffd
	v_dual_cndmask_b32 v2, 0, v2 :: v_dual_and_b32 v3, 0xffff, v3
	s_delay_alu instid0(VALU_DEP_1) | instskip(NEXT) | instid1(VALU_DEP_2)
	v_fmac_f32_e32 v2, v49, v1
	v_mul_u32_u24_e32 v1, 0x10001, v3
	s_delay_alu instid0(VALU_DEP_2) | instskip(NEXT) | instid1(VALU_DEP_2)
	v_mov_b32_e32 v49, v2
	v_pk_mul_f16 v9, v9, v1
	v_pk_mul_f16 v8, v8, v1
.LBB18_28:
	s_wait_alu 0xfffe
	s_or_b32 exec_lo, exec_lo, s3
	s_and_saveexec_b32 s3, s2
; %bb.29:
	v_dual_mov_b32 v0, 0xfeffffff :: v_dual_mov_b32 v1, 0
	v_add_nc_u32_e32 v2, 0x400, v48
	ds_store_2addr_b32 v2, v0, v1 offset1:32
; %bb.30:
	s_wait_alu 0xfffe
	s_or_b32 exec_lo, exec_lo, s3
	v_cmp_eq_u32_e32 vcc_lo, 0, v43
	v_lshlrev_b32_e32 v2, 2, v42
	s_wait_loadcnt_dscnt 0x0
	s_barrier_signal -1
	s_barrier_wait -1
	global_inv scope:SCOPE_SE
	s_and_saveexec_b32 s2, vcc_lo
; %bb.31:
	ds_store_b32 v2, v193 offset:1024
; %bb.32:
	s_wait_alu 0xfffe
	s_or_b32 exec_lo, exec_lo, s2
	s_wait_loadcnt_dscnt 0x0
	s_barrier_signal -1
	s_barrier_wait -1
	global_inv scope:SCOPE_SE
	ds_load_b32 v0, v48 offset:1024
	v_xor_b32_e32 v1, 16, v44
	v_xor_b32_e32 v4, 8, v44
	s_load_b32 s1, s[0:1], 0xd4
	v_lshlrev_b32_e32 v13, 3, v43
	s_delay_alu instid0(VALU_DEP_3) | instskip(SKIP_1) | instid1(VALU_DEP_1)
	v_cmp_gt_i32_e64 s2, 32, v1
	s_wait_alu 0xf1ff
	v_cndmask_b32_e64 v1, v44, v1, s2
	v_cmp_gt_i32_e64 s2, 32, v4
	s_delay_alu instid0(VALU_DEP_2) | instskip(SKIP_1) | instid1(VALU_DEP_2)
	v_lshlrev_b32_e32 v1, 2, v1
	s_wait_alu 0xf1ff
	v_cndmask_b32_e64 v4, v44, v4, s2
	s_wait_dscnt 0x0
	ds_bpermute_b32 v3, v1, v0
	s_wait_dscnt 0x0
	v_dual_max_num_f32 v0, v0, v0 :: v_dual_max_num_f32 v5, v3, v3
	s_delay_alu instid0(VALU_DEP_1) | instskip(SKIP_4) | instid1(VALU_DEP_1)
	v_dual_max_num_f32 v0, v0, v5 :: v_dual_lshlrev_b32 v3, 2, v4
	v_xor_b32_e32 v5, 4, v44
	ds_bpermute_b32 v4, v3, v0
	v_cmp_gt_i32_e64 s2, 32, v5
	s_wait_alu 0xf1ff
	v_cndmask_b32_e64 v5, v44, v5, s2
	s_wait_dscnt 0x0
	v_max_num_f32_e32 v6, v4, v4
	s_delay_alu instid0(VALU_DEP_2) | instskip(NEXT) | instid1(VALU_DEP_2)
	v_lshlrev_b32_e32 v4, 2, v5
	v_max_num_f32_e32 v0, v0, v6
	v_xor_b32_e32 v6, 2, v44
	ds_bpermute_b32 v5, v4, v0
	v_cmp_gt_i32_e64 s2, 32, v6
	s_wait_alu 0xf1ff
	s_delay_alu instid0(VALU_DEP_1) | instskip(SKIP_2) | instid1(VALU_DEP_1)
	v_cndmask_b32_e64 v6, v44, v6, s2
	s_wait_dscnt 0x0
	v_max_num_f32_e32 v7, v5, v5
	v_dual_max_num_f32 v0, v0, v7 :: v_dual_lshlrev_b32 v5, 2, v6
	v_xor_b32_e32 v7, 1, v44
	ds_bpermute_b32 v6, v5, v0
	v_cmp_gt_i32_e64 s2, 32, v7
	s_wait_alu 0xf1ff
	s_delay_alu instid0(VALU_DEP_1) | instskip(SKIP_2) | instid1(VALU_DEP_2)
	v_cndmask_b32_e64 v7, v44, v7, s2
	s_wait_dscnt 0x0
	v_max_num_f32_e32 v10, v6, v6
	v_lshlrev_b32_e32 v6, 2, v7
	s_delay_alu instid0(VALU_DEP_2) | instskip(SKIP_3) | instid1(VALU_DEP_1)
	v_max_num_f32_e32 v0, v0, v10
	ds_bpermute_b32 v7, v6, v0
	s_wait_dscnt 0x0
	v_max_num_f32_e32 v7, v7, v7
	v_max_num_f32_e32 v0, v0, v7
	s_delay_alu instid0(VALU_DEP_1) | instskip(NEXT) | instid1(VALU_DEP_1)
	v_sub_f32_e32 v7, v193, v0
	v_mul_f32_e32 v10, 0x3fb8aa3b, v7
	v_cmp_ngt_f32_e64 s2, 0xc2ce8ed0, v7
	s_delay_alu instid0(VALU_DEP_2) | instskip(SKIP_1) | instid1(VALU_DEP_1)
	v_fma_f32 v11, 0x3fb8aa3b, v7, -v10
	v_rndne_f32_e32 v12, v10
	v_dual_fmamk_f32 v11, v7, 0x32a5705f, v11 :: v_dual_sub_f32 v10, v10, v12
	s_delay_alu instid0(VALU_DEP_1) | instskip(SKIP_1) | instid1(VALU_DEP_2)
	v_add_f32_e32 v10, v10, v11
	v_cvt_i32_f32_e32 v11, v12
	v_exp_f32_e32 v10, v10
	s_delay_alu instid0(TRANS32_DEP_1) | instskip(SKIP_1) | instid1(VALU_DEP_1)
	v_ldexp_f32 v10, v10, v11
	s_wait_alu 0xf1ff
	v_cndmask_b32_e64 v10, 0, v10, s2
	v_cmp_nlt_f32_e64 s2, 0x42b17218, v7
	s_wait_alu 0xf1ff
	s_delay_alu instid0(VALU_DEP_1) | instskip(NEXT) | instid1(VALU_DEP_1)
	v_cndmask_b32_e64 v10, 0x7f800000, v10, s2
	v_mul_f32_e32 v7, v49, v10
	ds_bpermute_b32 v7, v1, v7
	s_wait_dscnt 0x0
	v_fmac_f32_e32 v7, v49, v10
	ds_bpermute_b32 v11, v3, v7
	s_wait_dscnt 0x0
	v_add_f32_e32 v7, v7, v11
	ds_bpermute_b32 v11, v4, v7
	s_wait_dscnt 0x0
	v_add_f32_e32 v7, v7, v11
	;; [unrolled: 3-line block ×3, first 2 shown]
	v_cvt_f16_f32_e32 v11, v10
	ds_bpermute_b32 v10, v6, v7
	v_and_b32_e32 v11, 0xffff, v11
	s_delay_alu instid0(VALU_DEP_1) | instskip(NEXT) | instid1(VALU_DEP_1)
	v_mul_u32_u24_e32 v12, 0x10001, v11
	v_pk_mul_f16 v11, v9, v12
	v_pk_mul_f16 v12, v8, v12
	v_lshl_add_u32 v8, v42, 8, v13
	ds_store_b64 v8, v[11:12]
	s_and_saveexec_b32 s0, vcc_lo
	s_cbranch_execz .LBB18_34
; %bb.33:
	s_wait_dscnt 0x1
	v_add_f32_e32 v7, v7, v10
	ds_store_b32 v2, v7 offset:1152
.LBB18_34:
	s_or_b32 exec_lo, exec_lo, s0
	s_wait_loadcnt_dscnt 0x0
	s_barrier_signal -1
	s_barrier_wait -1
	global_inv scope:SCOPE_SE
	ds_load_b32 v2, v48 offset:1152
	ds_load_u16 v7, v47 offset:768
	s_mul_i32 s0, s26, s24
	s_mov_b32 s3, 0
	s_add_co_i32 s0, s0, ttmp9
	s_delay_alu instid0(SALU_CYCLE_1) | instskip(NEXT) | instid1(SALU_CYCLE_1)
	s_mul_i32 s0, s0, s25
	s_add_co_i32 s0, s0, s28
	s_wait_kmcnt 0x0
	s_mul_i32 s0, s1, s0
	s_delay_alu instid0(SALU_CYCLE_1)
	s_add_co_i32 s2, s0, s31
	s_cmp_eq_u32 s1, 1
	s_wait_dscnt 0x1
	ds_bpermute_b32 v1, v1, v2
	s_wait_dscnt 0x0
	v_add_f32_e32 v1, v2, v1
	ds_bpermute_b32 v2, v3, v1
	s_wait_dscnt 0x0
	v_add_f32_e32 v1, v1, v2
	;; [unrolled: 3-line block ×3, first 2 shown]
	ds_bpermute_b32 v2, v5, v1
	ds_load_u16 v3, v47
	ds_load_u16 v4, v47 offset:256
	ds_load_u16 v5, v47 offset:512
	s_wait_dscnt 0x1
	v_cvt_f32_f16_e32 v4, v4
	v_add_f32_e32 v1, v1, v2
	v_cvt_f32_f16_e32 v2, v3
	s_wait_dscnt 0x0
	v_cvt_f32_f16_e32 v5, v5
	ds_bpermute_b32 v3, v6, v1
	v_add_f32_e32 v2, 0, v2
	s_delay_alu instid0(VALU_DEP_1) | instskip(SKIP_1) | instid1(VALU_DEP_2)
	v_add_f32_e32 v2, v2, v4
	v_cvt_f32_f16_e32 v4, v7
	v_add_f32_e32 v2, v2, v5
	s_wait_dscnt 0x0
	s_delay_alu instid0(VALU_DEP_1) | instskip(NEXT) | instid1(VALU_DEP_1)
	v_dual_add_f32 v6, v2, v4 :: v_dual_add_f32 v1, v1, v3
	v_div_scale_f32 v2, null, v1, v1, v6
	s_delay_alu instid0(VALU_DEP_1) | instskip(NEXT) | instid1(TRANS32_DEP_1)
	v_rcp_f32_e32 v4, v2
	v_fma_f32 v3, -v2, v4, 1.0
	s_delay_alu instid0(VALU_DEP_1) | instskip(SKIP_1) | instid1(VALU_DEP_1)
	v_fmac_f32_e32 v4, v3, v4
	v_div_scale_f32 v5, vcc_lo, v6, v1, v6
	v_mul_f32_e32 v7, v5, v4
	s_delay_alu instid0(VALU_DEP_1) | instskip(NEXT) | instid1(VALU_DEP_1)
	v_fma_f32 v3, -v2, v7, v5
	v_fmac_f32_e32 v7, v3, v4
	v_mov_b32_e32 v3, 0
	s_delay_alu instid0(VALU_DEP_2) | instskip(SKIP_3) | instid1(VALU_DEP_2)
	v_fma_f32 v5, -v2, v7, v5
	s_wait_alu 0xfffe
	v_lshl_or_b32 v2, s2, 7, v46
	s_wait_alu 0xfffd
	v_div_fmas_f32 v7, v5, v4, v7
	s_delay_alu instid0(VALU_DEP_2) | instskip(SKIP_1) | instid1(VALU_DEP_3)
	v_lshlrev_b64_e32 v[4:5], 2, v[2:3]
	v_cmp_eq_u32_e32 vcc_lo, 0, v46
	v_div_fixup_f32 v2, v7, v1, v6
	s_delay_alu instid0(VALU_DEP_3) | instskip(NEXT) | instid1(VALU_DEP_1)
	v_add_co_u32 v4, s0, s16, v4
	v_add_co_ci_u32_e64 v5, null, s17, v5, s0
	s_cselect_b32 s0, -1, 0
	s_cmp_lg_u32 s1, 1
	s_wait_alu 0xfffe
	v_cndmask_b32_e64 v2, v6, v2, s0
	s_cselect_b32 s0, -1, 0
	s_wait_alu 0xfffe
	s_and_b32 s0, vcc_lo, s0
	global_store_b32 v[4:5], v2, off
	s_wait_alu 0xfffe
	s_and_saveexec_b32 s1, s0
	s_cbranch_execz .LBB18_36
; %bb.35:
	s_lshl_b64 s[0:1], s[2:3], 3
	s_wait_alu 0xfffe
	s_add_nc_u64 s[0:1], s[18:19], s[0:1]
	global_store_b64 v3, v[0:1], s[0:1]
.LBB18_36:
	s_nop 0
	s_sendmsg sendmsg(MSG_DEALLOC_VGPRS)
	s_endpgm
	.section	.rodata,"a",@progbits
	.p2align	6, 0x0
	.amdhsa_kernel _ZL18flash_attn_ext_vecILi128ELi1EL9ggml_type3ELS0_2ELb1EEvPKcS2_S2_S2_S2_PKiPfP15HIP_vector_typeIfLj2EEffffjfiS6_IjLj3EEiiiiiiiiiiiliiliiiiil
		.amdhsa_group_segment_fixed_size 1280
		.amdhsa_private_segment_fixed_size 0
		.amdhsa_kernarg_size 464
		.amdhsa_user_sgpr_count 2
		.amdhsa_user_sgpr_dispatch_ptr 0
		.amdhsa_user_sgpr_queue_ptr 0
		.amdhsa_user_sgpr_kernarg_segment_ptr 1
		.amdhsa_user_sgpr_dispatch_id 0
		.amdhsa_user_sgpr_private_segment_size 0
		.amdhsa_wavefront_size32 1
		.amdhsa_uses_dynamic_stack 0
		.amdhsa_enable_private_segment 0
		.amdhsa_system_sgpr_workgroup_id_x 1
		.amdhsa_system_sgpr_workgroup_id_y 1
		.amdhsa_system_sgpr_workgroup_id_z 1
		.amdhsa_system_sgpr_workgroup_info 0
		.amdhsa_system_vgpr_workitem_id 1
		.amdhsa_next_free_vgpr 219
		.amdhsa_next_free_sgpr 55
		.amdhsa_reserve_vcc 1
		.amdhsa_float_round_mode_32 0
		.amdhsa_float_round_mode_16_64 0
		.amdhsa_float_denorm_mode_32 3
		.amdhsa_float_denorm_mode_16_64 3
		.amdhsa_fp16_overflow 0
		.amdhsa_workgroup_processor_mode 1
		.amdhsa_memory_ordered 1
		.amdhsa_forward_progress 1
		.amdhsa_inst_pref_size 201
		.amdhsa_round_robin_scheduling 0
		.amdhsa_exception_fp_ieee_invalid_op 0
		.amdhsa_exception_fp_denorm_src 0
		.amdhsa_exception_fp_ieee_div_zero 0
		.amdhsa_exception_fp_ieee_overflow 0
		.amdhsa_exception_fp_ieee_underflow 0
		.amdhsa_exception_fp_ieee_inexact 0
		.amdhsa_exception_int_div_zero 0
	.end_amdhsa_kernel
	.section	.text._ZL18flash_attn_ext_vecILi128ELi1EL9ggml_type3ELS0_2ELb1EEvPKcS2_S2_S2_S2_PKiPfP15HIP_vector_typeIfLj2EEffffjfiS6_IjLj3EEiiiiiiiiiiiliiliiiiil,"axG",@progbits,_ZL18flash_attn_ext_vecILi128ELi1EL9ggml_type3ELS0_2ELb1EEvPKcS2_S2_S2_S2_PKiPfP15HIP_vector_typeIfLj2EEffffjfiS6_IjLj3EEiiiiiiiiiiiliiliiiiil,comdat
.Lfunc_end18:
	.size	_ZL18flash_attn_ext_vecILi128ELi1EL9ggml_type3ELS0_2ELb1EEvPKcS2_S2_S2_S2_PKiPfP15HIP_vector_typeIfLj2EEffffjfiS6_IjLj3EEiiiiiiiiiiiliiliiiiil, .Lfunc_end18-_ZL18flash_attn_ext_vecILi128ELi1EL9ggml_type3ELS0_2ELb1EEvPKcS2_S2_S2_S2_PKiPfP15HIP_vector_typeIfLj2EEffffjfiS6_IjLj3EEiiiiiiiiiiiliiliiiiil
                                        ; -- End function
	.set _ZL18flash_attn_ext_vecILi128ELi1EL9ggml_type3ELS0_2ELb1EEvPKcS2_S2_S2_S2_PKiPfP15HIP_vector_typeIfLj2EEffffjfiS6_IjLj3EEiiiiiiiiiiiliiliiiiil.num_vgpr, 219
	.set _ZL18flash_attn_ext_vecILi128ELi1EL9ggml_type3ELS0_2ELb1EEvPKcS2_S2_S2_S2_PKiPfP15HIP_vector_typeIfLj2EEffffjfiS6_IjLj3EEiiiiiiiiiiiliiliiiiil.num_agpr, 0
	.set _ZL18flash_attn_ext_vecILi128ELi1EL9ggml_type3ELS0_2ELb1EEvPKcS2_S2_S2_S2_PKiPfP15HIP_vector_typeIfLj2EEffffjfiS6_IjLj3EEiiiiiiiiiiiliiliiiiil.numbered_sgpr, 55
	.set _ZL18flash_attn_ext_vecILi128ELi1EL9ggml_type3ELS0_2ELb1EEvPKcS2_S2_S2_S2_PKiPfP15HIP_vector_typeIfLj2EEffffjfiS6_IjLj3EEiiiiiiiiiiiliiliiiiil.num_named_barrier, 0
	.set _ZL18flash_attn_ext_vecILi128ELi1EL9ggml_type3ELS0_2ELb1EEvPKcS2_S2_S2_S2_PKiPfP15HIP_vector_typeIfLj2EEffffjfiS6_IjLj3EEiiiiiiiiiiiliiliiiiil.private_seg_size, 0
	.set _ZL18flash_attn_ext_vecILi128ELi1EL9ggml_type3ELS0_2ELb1EEvPKcS2_S2_S2_S2_PKiPfP15HIP_vector_typeIfLj2EEffffjfiS6_IjLj3EEiiiiiiiiiiiliiliiiiil.uses_vcc, 1
	.set _ZL18flash_attn_ext_vecILi128ELi1EL9ggml_type3ELS0_2ELb1EEvPKcS2_S2_S2_S2_PKiPfP15HIP_vector_typeIfLj2EEffffjfiS6_IjLj3EEiiiiiiiiiiiliiliiiiil.uses_flat_scratch, 0
	.set _ZL18flash_attn_ext_vecILi128ELi1EL9ggml_type3ELS0_2ELb1EEvPKcS2_S2_S2_S2_PKiPfP15HIP_vector_typeIfLj2EEffffjfiS6_IjLj3EEiiiiiiiiiiiliiliiiiil.has_dyn_sized_stack, 0
	.set _ZL18flash_attn_ext_vecILi128ELi1EL9ggml_type3ELS0_2ELb1EEvPKcS2_S2_S2_S2_PKiPfP15HIP_vector_typeIfLj2EEffffjfiS6_IjLj3EEiiiiiiiiiiiliiliiiiil.has_recursion, 0
	.set _ZL18flash_attn_ext_vecILi128ELi1EL9ggml_type3ELS0_2ELb1EEvPKcS2_S2_S2_S2_PKiPfP15HIP_vector_typeIfLj2EEffffjfiS6_IjLj3EEiiiiiiiiiiiliiliiiiil.has_indirect_call, 0
	.section	.AMDGPU.csdata,"",@progbits
; Kernel info:
; codeLenInByte = 25664
; TotalNumSgprs: 57
; NumVgprs: 219
; ScratchSize: 0
; MemoryBound: 0
; FloatMode: 240
; IeeeMode: 1
; LDSByteSize: 1280 bytes/workgroup (compile time only)
; SGPRBlocks: 0
; VGPRBlocks: 27
; NumSGPRsForWavesPerEU: 57
; NumVGPRsForWavesPerEU: 219
; Occupancy: 6
; WaveLimiterHint : 0
; COMPUTE_PGM_RSRC2:SCRATCH_EN: 0
; COMPUTE_PGM_RSRC2:USER_SGPR: 2
; COMPUTE_PGM_RSRC2:TRAP_HANDLER: 0
; COMPUTE_PGM_RSRC2:TGID_X_EN: 1
; COMPUTE_PGM_RSRC2:TGID_Y_EN: 1
; COMPUTE_PGM_RSRC2:TGID_Z_EN: 1
; COMPUTE_PGM_RSRC2:TIDIG_COMP_CNT: 1
	.section	.text._ZL18flash_attn_ext_vecILi128ELi2EL9ggml_type3ELS0_2ELb0EEvPKcS2_S2_S2_S2_PKiPfP15HIP_vector_typeIfLj2EEffffjfiS6_IjLj3EEiiiiiiiiiiiliiliiiiil,"axG",@progbits,_ZL18flash_attn_ext_vecILi128ELi2EL9ggml_type3ELS0_2ELb0EEvPKcS2_S2_S2_S2_PKiPfP15HIP_vector_typeIfLj2EEffffjfiS6_IjLj3EEiiiiiiiiiiiliiliiiiil,comdat
	.globl	_ZL18flash_attn_ext_vecILi128ELi2EL9ggml_type3ELS0_2ELb0EEvPKcS2_S2_S2_S2_PKiPfP15HIP_vector_typeIfLj2EEffffjfiS6_IjLj3EEiiiiiiiiiiiliiliiiiil ; -- Begin function _ZL18flash_attn_ext_vecILi128ELi2EL9ggml_type3ELS0_2ELb0EEvPKcS2_S2_S2_S2_PKiPfP15HIP_vector_typeIfLj2EEffffjfiS6_IjLj3EEiiiiiiiiiiiliiliiiiil
	.p2align	8
	.type	_ZL18flash_attn_ext_vecILi128ELi2EL9ggml_type3ELS0_2ELb0EEvPKcS2_S2_S2_S2_PKiPfP15HIP_vector_typeIfLj2EEffffjfiS6_IjLj3EEiiiiiiiiiiiliiliiiiil,@function
_ZL18flash_attn_ext_vecILi128ELi2EL9ggml_type3ELS0_2ELb0EEvPKcS2_S2_S2_S2_PKiPfP15HIP_vector_typeIfLj2EEffffjfiS6_IjLj3EEiiiiiiiiiiiliiliiiiil: ; @_ZL18flash_attn_ext_vecILi128ELi2EL9ggml_type3ELS0_2ELb0EEvPKcS2_S2_S2_S2_PKiPfP15HIP_vector_typeIfLj2EEffffjfiS6_IjLj3EEiiiiiiiiiiiliiliiiiil
; %bb.0:
	s_clause 0x2
	s_load_b64 s[24:25], s[2:3], 0x64
	s_load_b64 s[34:35], s[2:3], 0x80
	;; [unrolled: 1-line block ×3, first 2 shown]
	s_lshr_b32 s6, ttmp7, 16
	s_load_b128 s[20:23], s[2:3], 0x40
	v_mov_b32_e32 v219, 1.0
	s_mov_b32 s37, 0
	s_wait_kmcnt 0x0
	s_cvt_f32_u32 s4, s25
	s_sub_co_i32 s5, 0, s25
	s_delay_alu instid0(SALU_CYCLE_2) | instskip(NEXT) | instid1(TRANS32_DEP_1)
	v_rcp_iflag_f32_e32 v1, s4
	v_readfirstlane_b32 s4, v1
	s_mul_f32 s4, s4, 0x4f7ffffe
	s_wait_alu 0xfffe
	s_delay_alu instid0(SALU_CYCLE_2) | instskip(SKIP_1) | instid1(SALU_CYCLE_2)
	s_cvt_u32_f32 s4, s4
	s_wait_alu 0xfffe
	s_mul_i32 s5, s5, s4
	s_wait_alu 0xfffe
	s_mul_hi_u32 s5, s4, s5
	s_wait_alu 0xfffe
	s_add_co_i32 s4, s4, s5
	s_wait_alu 0xfffe
	s_mul_hi_u32 s4, s6, s4
	s_wait_alu 0xfffe
	s_mul_i32 s5, s4, s25
	s_add_co_i32 s7, s4, 1
	s_wait_alu 0xfffe
	s_sub_co_i32 s5, s6, s5
	s_wait_alu 0xfffe
	s_sub_co_i32 s8, s5, s25
	s_cmp_ge_u32 s5, s25
	s_cselect_b32 s4, s7, s4
	s_cselect_b32 s5, s8, s5
	s_wait_alu 0xfffe
	s_add_co_i32 s7, s4, 1
	s_cmp_ge_u32 s5, s25
	s_cselect_b32 s26, s7, s4
	s_abs_i32 s4, s35
	s_abs_i32 s9, s25
	s_wait_alu 0xfffe
	s_cvt_f32_u32 s5, s4
	s_sub_co_i32 s7, 0, s4
	s_xor_b32 s8, s25, s35
	s_wait_alu 0xfffe
	v_rcp_iflag_f32_e32 v1, s5
	s_ashr_i32 s8, s8, 31
	s_delay_alu instid0(TRANS32_DEP_1) | instskip(SKIP_2) | instid1(SALU_CYCLE_2)
	v_readfirstlane_b32 s5, v1
	s_mul_f32 s5, s5, 0x4f7ffffe
	s_wait_alu 0xfffe
	s_cvt_u32_f32 s5, s5
	s_wait_alu 0xfffe
	s_delay_alu instid0(SALU_CYCLE_2) | instskip(NEXT) | instid1(SALU_CYCLE_1)
	s_mul_i32 s7, s7, s5
	s_mul_hi_u32 s7, s5, s7
	s_delay_alu instid0(SALU_CYCLE_1)
	s_add_co_i32 s5, s5, s7
	s_mul_i32 s7, s26, s25
	s_wait_alu 0xfffe
	s_mul_hi_u32 s5, s9, s5
	s_sub_co_i32 s28, s6, s7
	s_wait_alu 0xfffe
	s_mul_i32 s10, s5, s4
	s_add_co_i32 s7, s5, 1
	s_sub_co_i32 s6, s9, s10
	s_delay_alu instid0(SALU_CYCLE_1)
	s_sub_co_i32 s9, s6, s4
	s_cmp_ge_u32 s6, s4
	s_cselect_b32 s5, s7, s5
	s_cselect_b32 s6, s9, s6
	s_wait_alu 0xfffe
	s_add_co_i32 s7, s5, 1
	s_cmp_ge_u32 s6, s4
	s_cselect_b32 s4, s7, s5
	s_abs_i32 s30, s38
	s_wait_alu 0xfffe
	s_xor_b32 s5, s4, s8
	s_load_b32 s4, s[2:3], 0x50
	s_sub_co_i32 s27, s5, s8
	s_cvt_f32_u32 s5, s30
	s_abs_i32 s38, s27
	s_cmp_le_f32 s21, 0
	s_cvt_f32_u32 s6, s38
	s_wait_alu 0xfffe
	v_rcp_iflag_f32_e32 v1, s5
	s_delay_alu instid0(SALU_CYCLE_1) | instskip(NEXT) | instid1(TRANS32_DEP_2)
	v_rcp_iflag_f32_e32 v2, s6
	v_readfirstlane_b32 s35, v1
	s_delay_alu instid0(TRANS32_DEP_1)
	v_readfirstlane_b32 s36, v2
	s_cbranch_scc1 .LBB19_2
; %bb.1:
	s_wait_kmcnt 0x0
	v_sub_co_u32 v1, s4, s28, s4
	s_and_b32 s6, s4, exec_lo
	s_cselect_b32 s6, s22, s23
	s_add_co_i32 s7, s28, 1
	v_readfirstlane_b32 s5, v1
	s_lshl_b32 s5, s5, 1
	s_wait_alu 0xfffe
	s_or_b32 s5, s5, 1
	s_and_b32 s4, s4, exec_lo
	s_wait_alu 0xfffe
	s_cselect_b32 s4, s7, s5
	s_cmp_neq_f32 s6, 1.0
	s_wait_alu 0xfffe
	s_cvt_f32_i32 s4, s4
	s_wait_alu 0xfffe
	s_delay_alu instid0(SALU_CYCLE_2)
	s_cselect_b32 s5, s4, 1.0
	s_wait_alu 0xfffe
	s_cmp_neq_f32 s5, 0
	s_cselect_b32 s4, s6, 1.0
	s_wait_alu 0xfffe
	v_frexp_mant_f32_e64 v1, |s4|
	s_delay_alu instid0(VALU_DEP_1)
	v_readfirstlane_b32 s6, v1
	v_cvt_f64_f32_e64 v[1:2], |s4|
	s_cmp_lt_f32 s6, 0x3f2aaaab
	s_cselect_b32 s7, -1, 0
	s_wait_alu 0xfffe
	s_and_b32 s8, s7, exec_lo
	s_cselect_b32 s8, 2.0, 1.0
	s_delay_alu instid0(SALU_CYCLE_1) | instskip(SKIP_1) | instid1(SALU_CYCLE_2)
	s_mul_f32 s6, s6, s8
	s_wait_alu 0xfffe
	s_add_f32 s8, s6, 1.0
	s_add_f32 s10, s6, -1.0
	s_delay_alu instid0(SALU_CYCLE_2) | instskip(SKIP_1) | instid1(SALU_CYCLE_3)
	v_s_rcp_f32 s9, s8
	s_add_f32 s13, s8, -1.0
	s_sub_f32 s6, s6, s13
	s_delay_alu instid0(TRANS32_DEP_1) | instskip(NEXT) | instid1(SALU_CYCLE_3)
	s_mul_f32 s11, s10, s9
	s_mul_f32 s12, s8, s11
	s_delay_alu instid0(SALU_CYCLE_3) | instskip(NEXT) | instid1(VALU_DEP_1)
	s_xor_b32 s14, s12, 0x80000000
	v_frexp_exp_i32_f64_e32 v1, v[1:2]
	s_fmac_f32 s14, s11, s8
	s_wait_alu 0xfffe
	s_delay_alu instid0(SALU_CYCLE_2) | instskip(NEXT) | instid1(SALU_CYCLE_3)
	s_fmac_f32 s14, s11, s6
	s_add_f32 s6, s12, s14
	s_wait_alu 0xfffe
	s_delay_alu instid0(SALU_CYCLE_2) | instskip(SKIP_2) | instid1(SALU_CYCLE_1)
	s_sub_f32 s8, s10, s6
	s_sub_f32 s12, s6, s12
	s_wait_alu 0xfffe
	s_sub_f32 s10, s10, s8
	s_delay_alu instid0(SALU_CYCLE_1) | instskip(NEXT) | instid1(SALU_CYCLE_2)
	s_sub_f32 s12, s12, s14
	s_sub_f32 s6, s10, s6
	s_wait_alu 0xfffe
	s_delay_alu instid0(SALU_CYCLE_2) | instskip(SKIP_2) | instid1(SALU_CYCLE_1)
	s_add_f32 s6, s12, s6
	s_mov_b32 s12, 0x3e76c4e1
	s_wait_alu 0xfffe
	s_add_f32 s6, s8, s6
	s_wait_alu 0xfffe
	s_delay_alu instid0(SALU_CYCLE_2) | instskip(SKIP_1) | instid1(SALU_CYCLE_2)
	s_mul_f32 s6, s9, s6
	s_wait_alu 0xfffe
	s_add_f32 s8, s11, s6
	s_wait_alu 0xfffe
	s_delay_alu instid0(SALU_CYCLE_2) | instskip(SKIP_2) | instid1(SALU_CYCLE_1)
	s_sub_f32 s9, s8, s11
	s_mul_f32 s10, s8, s8
	s_wait_alu 0xfffe
	s_sub_f32 s6, s6, s9
	s_delay_alu instid0(SALU_CYCLE_1) | instskip(SKIP_4) | instid1(SALU_CYCLE_2)
	s_xor_b32 s9, s10, 0x80000000
	s_wait_alu 0xfffe
	s_fmac_f32 s9, s8, s8
	s_add_f32 s11, s6, s6
	s_wait_alu 0xfffe
	s_fmac_f32 s9, s8, s11
	s_wait_alu 0xfffe
	s_delay_alu instid0(SALU_CYCLE_2) | instskip(NEXT) | instid1(SALU_CYCLE_3)
	s_add_f32 s11, s10, s9
	s_fmaak_f32 s12, s11, s12, 0x3e91f4c4
	s_sub_f32 s10, s11, s10
	s_delay_alu instid0(SALU_CYCLE_2) | instskip(NEXT) | instid1(SALU_CYCLE_2)
	s_fmaak_f32 s12, s11, s12, 0x3ecccdef
	s_sub_f32 s9, s9, s10
	s_mul_f32 s10, s8, s11
	s_delay_alu instid0(SALU_CYCLE_1) | instskip(NEXT) | instid1(SALU_CYCLE_2)
	s_mul_f32 s13, s11, s12
	s_xor_b32 s15, s10, 0x80000000
	s_delay_alu instid0(SALU_CYCLE_2) | instskip(SKIP_2) | instid1(SALU_CYCLE_2)
	s_xor_b32 s14, s13, 0x80000000
	s_fmac_f32 s15, s11, s8
	s_fmac_f32 s14, s11, s12
	;; [unrolled: 1-line block ×3, first 2 shown]
	s_wait_alu 0xfffe
	s_delay_alu instid0(SALU_CYCLE_1) | instskip(NEXT) | instid1(SALU_CYCLE_1)
	s_fmac_f32 s14, s9, s12
	s_fmac_f32 s15, s9, s8
	s_delay_alu instid0(SALU_CYCLE_2) | instskip(NEXT) | instid1(SALU_CYCLE_3)
	s_add_f32 s12, s13, s14
	s_sub_f32 s13, s12, s13
	s_add_f32 s16, s12, 0x3f2aaaaa
	s_delay_alu instid0(SALU_CYCLE_2) | instskip(NEXT) | instid1(SALU_CYCLE_2)
	s_sub_f32 s13, s14, s13
	s_add_f32 s14, s16, 0xbf2aaaaa
	s_delay_alu instid0(SALU_CYCLE_2) | instskip(NEXT) | instid1(SALU_CYCLE_2)
	s_add_f32 s11, s13, 0x31739010
	s_sub_f32 s12, s12, s14
	s_delay_alu instid0(SALU_CYCLE_3) | instskip(SKIP_2) | instid1(SALU_CYCLE_1)
	s_add_f32 s9, s11, s12
	s_add_f32 s11, s10, s15
	s_wait_alu 0xfffe
	s_add_f32 s12, s16, s9
	s_delay_alu instid0(SALU_CYCLE_1) | instskip(NEXT) | instid1(SALU_CYCLE_2)
	s_sub_f32 s10, s11, s10
	s_mul_f32 s13, s11, s12
	s_sub_f32 s14, s16, s12
	s_delay_alu instid0(SALU_CYCLE_1) | instskip(NEXT) | instid1(SALU_CYCLE_1)
	s_sub_f32 s10, s15, s10
	s_xor_b32 s16, s13, 0x80000000
	s_delay_alu instid0(SALU_CYCLE_1)
	s_add_f32 s9, s9, s14
	s_fmac_f32 s16, s11, s12
	v_readfirstlane_b32 s14, v1
	v_ldexp_f32 v1, s8, 1
	s_cmp_lg_u32 s7, 0
	s_wait_alu 0xfffe
	s_fmac_f32 s16, s11, s9
	s_sub_co_ci_u32 s7, s14, 0
	v_readfirstlane_b32 s8, v1
	s_delay_alu instid0(SALU_CYCLE_1)
	s_fmac_f32 s16, s10, s12
	s_wait_alu 0xfffe
	s_cvt_f32_i32 s7, s7
	v_ldexp_f32 v1, s6, 1
	s_add_f32 s9, s13, s16
	s_wait_alu 0xfffe
	s_mul_f32 s6, s7, 0x3f317218
	s_delay_alu instid0(VALU_DEP_1)
	v_readfirstlane_b32 s12, v1
	s_add_f32 s10, s8, s9
	s_sub_f32 s11, s9, s13
	s_wait_alu 0xfffe
	s_xor_b32 s13, s6, 0x80000000
	s_sub_f32 s8, s10, s8
	s_sub_f32 s11, s16, s11
	s_fmamk_f32 s13, s7, 0x3f317218, s13
	s_wait_alu 0xfffe
	s_sub_f32 s8, s9, s8
	s_add_f32 s9, s12, s11
	s_fmamk_f32 s7, s7, 0xb102e308, s13
	s_wait_alu 0xfffe
	s_delay_alu instid0(SALU_CYCLE_1) | instskip(NEXT) | instid1(SALU_CYCLE_1)
	s_add_f32 s8, s9, s8
	s_add_f32 s9, s6, s7
	s_wait_alu 0xfffe
	s_delay_alu instid0(SALU_CYCLE_1) | instskip(NEXT) | instid1(SALU_CYCLE_1)
	s_add_f32 s11, s10, s8
	s_sub_f32 s6, s9, s6
	s_delay_alu instid0(SALU_CYCLE_2)
	s_add_f32 s12, s9, s11
	s_sub_f32 s10, s11, s10
	s_wait_alu 0xfffe
	s_sub_f32 s6, s7, s6
	s_sub_f32 s13, s12, s9
	;; [unrolled: 1-line block ×3, first 2 shown]
	s_delay_alu instid0(SALU_CYCLE_2)
	s_sub_f32 s14, s12, s13
	s_sub_f32 s8, s11, s13
	s_wait_alu 0xfffe
	s_add_f32 s10, s6, s7
	s_sub_f32 s9, s9, s14
	s_wait_alu 0xfffe
	s_delay_alu instid0(SALU_CYCLE_2) | instskip(SKIP_2) | instid1(SALU_CYCLE_1)
	s_add_f32 s8, s8, s9
	s_sub_f32 s9, s10, s6
	s_wait_alu 0xfffe
	s_add_f32 s8, s10, s8
	s_delay_alu instid0(SALU_CYCLE_1) | instskip(SKIP_4) | instid1(SALU_CYCLE_2)
	s_sub_f32 s10, s10, s9
	s_sub_f32 s7, s7, s9
	s_wait_alu 0xfffe
	s_add_f32 s11, s12, s8
	s_sub_f32 s6, s6, s10
	s_sub_f32 s9, s11, s12
	s_wait_alu 0xfffe
	s_delay_alu instid0(SALU_CYCLE_1) | instskip(NEXT) | instid1(SALU_CYCLE_1)
	s_add_f32 s6, s7, s6
	s_sub_f32 s7, s8, s9
	s_wait_alu 0xfffe
	s_delay_alu instid0(SALU_CYCLE_2) | instskip(SKIP_1) | instid1(SALU_CYCLE_2)
	s_add_f32 s6, s6, s7
	s_wait_alu 0xfffe
	s_add_f32 s7, s11, s6
	s_wait_alu 0xfffe
	s_delay_alu instid0(SALU_CYCLE_2) | instskip(SKIP_2) | instid1(SALU_CYCLE_1)
	s_mul_f32 s8, s5, s7
	s_sub_f32 s9, s7, s11
	s_wait_alu 0xfffe
	s_xor_b32 s10, s8, 0x80000000
	s_delay_alu instid0(SALU_CYCLE_1) | instskip(SKIP_2) | instid1(SALU_CYCLE_2)
	s_sub_f32 s6, s6, s9
	s_fmac_f32 s10, s5, s7
	s_wait_alu 0xfffe
	s_fmac_f32 s10, s5, s6
	v_cmp_class_f32_e64 s6, s8, 0x204
	s_delay_alu instid0(SALU_CYCLE_2) | instskip(SKIP_2) | instid1(SALU_CYCLE_1)
	s_add_f32 s7, s8, s10
	s_and_b32 s6, s6, exec_lo
	s_wait_alu 0xfffe
	s_sub_f32 s6, s7, s8
	s_cselect_b32 s7, s8, s7
	s_wait_alu 0xfffe
	s_and_b32 s8, s7, 0x7fffffff
	s_sub_f32 s6, s10, s6
	s_wait_alu 0xfffe
	s_cmp_neq_f32 s8, 0x7f800000
	s_delay_alu instid0(SALU_CYCLE_1)
	s_cselect_b32 s6, s6, 0
	s_cmp_eq_f32 s7, 0x42b17218
	s_cselect_b32 s8, 0x37000000, 0
	s_wait_alu 0xfffe
	s_sub_f32 s7, s7, s8
	s_add_f32 s6, s8, s6
	s_wait_alu 0xfffe
	s_delay_alu instid0(SALU_CYCLE_1) | instskip(SKIP_1) | instid1(SALU_CYCLE_2)
	s_mul_f32 s9, s7, 0x3fb8aa3b
	s_wait_alu 0xfffe
	s_xor_b32 s10, s9, 0x80000000
	s_rndne_f32 s11, s9
	s_fmamk_f32 s10, s7, 0x3fb8aa3b, s10
	s_cmp_nlt_f32 s7, 0xc2ce8ed0
	s_delay_alu instid0(SALU_CYCLE_1) | instskip(NEXT) | instid1(SALU_CYCLE_1)
	s_sub_f32 s9, s9, s11
	s_fmamk_f32 s10, s7, 0x32a5705f, s10
	s_cselect_b32 vcc_lo, -1, 0
	s_cmp_ngt_f32 s7, 0x42b17218
	s_trunc_f32 s7, s5
	s_wait_alu 0xfffe
	s_add_f32 s9, s9, s10
	s_cvt_i32_f32 s10, s11
	s_wait_alu 0xfffe
	s_delay_alu instid0(SALU_CYCLE_1) | instskip(SKIP_1) | instid1(TRANS32_DEP_1)
	v_s_exp_f32 s9, s9
	s_wait_alu 0xf1ff
	v_ldexp_f32 v1, s9, s10
	s_mul_f32 s9, s5, 0.5
	s_delay_alu instid0(VALU_DEP_1)
	v_cndmask_b32_e32 v1, 0, v1, vcc_lo
	s_cselect_b32 vcc_lo, -1, 0
	s_cmp_eq_f32 s7, s5
	s_wait_alu 0xfffe
	s_trunc_f32 s10, s9
	v_cndmask_b32_e32 v1, 0x7f800000, v1, vcc_lo
	s_cselect_b32 s11, -1, 0
	s_wait_alu 0xfffe
	s_cmp_neq_f32 s10, s9
	s_delay_alu instid0(VALU_DEP_1)
	v_fma_f32 v2, s6, v1, v1
	v_cmp_class_f32_e64 vcc_lo, v1, 0x204
	s_cselect_b32 s8, -1, 0
	s_wait_alu 0xfffe
	s_and_b32 s6, s11, s8
	s_wait_alu 0xfffd
	v_cndmask_b32_e32 v1, v2, v1, vcc_lo
	s_wait_alu 0xfffe
	s_and_b32 s8, s6, exec_lo
	s_cselect_b32 s8, s4, 1.0
	s_cmp_eq_f32 s7, s5
	v_cmp_class_f32_e64 s7, s4, 0x204
	s_wait_alu 0xfffe
	v_bfi_b32 v1, 0x7fffffff, v1, s8
	s_cselect_b32 vcc_lo, -1, 0
	s_cmp_lt_f32 s4, 0
	s_wait_alu 0xfffe
	s_delay_alu instid0(VALU_DEP_1) | instskip(SKIP_3) | instid1(VALU_DEP_1)
	v_cndmask_b32_e32 v2, 0x7fc00000, v1, vcc_lo
	s_cselect_b32 vcc_lo, -1, 0
	s_cmp_eq_f32 s4, 0
	s_wait_alu 0xfffe
	v_cndmask_b32_e32 v1, v1, v2, vcc_lo
	s_cselect_b32 s8, -1, 0
	s_wait_alu 0xfffe
	s_or_b32 vcc_lo, s8, s7
	s_cmp_lt_f32 s5, 0
	s_cselect_b32 s5, -1, 0
	s_wait_alu 0xfffe
	s_xor_b32 s5, s5, s8
	s_wait_alu 0xfffe
	s_and_b32 s5, s5, exec_lo
	s_cselect_b32 s5, 0, 0x7f800000
	s_and_b32 s6, s6, exec_lo
	s_cselect_b32 s6, s4, 0
	s_cmp_o_f32 s4, s4
	s_wait_alu 0xfffe
	v_mov_b32_e32 v2, s6
	s_delay_alu instid0(VALU_DEP_1) | instskip(NEXT) | instid1(VALU_DEP_1)
	v_bfi_b32 v2, 0x7fffffff, s5, v2
	v_cndmask_b32_e32 v1, v1, v2, vcc_lo
	s_cselect_b32 vcc_lo, -1, 0
	s_wait_alu 0xfffe
	s_delay_alu instid0(VALU_DEP_1)
	v_cndmask_b32_e32 v219, 0x7fc00000, v1, vcc_lo
.LBB19_2:
	s_load_b64 s[0:1], s[0:1], 0x4
	v_bfe_u32 v30, v0, 10, 10
	v_dual_mov_b32 v12, 0 :: v_dual_and_b32 v217, 0x3ff, v0
	s_wait_kmcnt 0x0
	s_load_b512 s[4:19], s[2:3], 0x0
	v_bfe_u32 v0, v0, 20, 10
	v_lshlrev_b32_e32 v31, 8, v30
	v_lshlrev_b32_e32 v32, 2, v217
	s_lshl_b32 s33, ttmp9, 1
	s_mov_b32 s21, exec_lo
	v_mul_u32_u24_e32 v1, s1, v30
	s_lshr_b32 s0, s0, 16
	s_wait_alu 0xfffe
	s_mul_i32 s0, s0, s1
	s_wait_alu 0xfffe
	v_mad_u32_u24 v1, s0, v217, v1
	v_cmp_lt_u32_e64 s0, 1, v30
	s_delay_alu instid0(VALU_DEP_2) | instskip(NEXT) | instid1(VALU_DEP_1)
	v_add_lshl_u32 v18, v1, v0, 4
	v_add_nc_u32_e32 v0, 0x604, v18
	v_add_nc_u32_e32 v1, 0x400, v18
	ds_store_2addr_b32 v0, v12, v12 offset1:1
	ds_store_2addr_b32 v1, v12, v12 offset0:128 offset1:131
	v_cmpx_gt_u32_e32 2, v30
	s_cbranch_execz .LBB19_13
; %bb.3:
	v_or_b32_e32 v0, s33, v30
	v_add_nc_u32_e32 v1, v31, v32
	s_mov_b32 s1, exec_lo
	s_delay_alu instid0(VALU_DEP_2)
	v_cmpx_le_i32_e64 s24, v0
	s_wait_alu 0xfffe
	s_xor_b32 s1, exec_lo, s1
	s_cbranch_execz .LBB19_7
; %bb.4:
	v_mov_b32_e32 v0, 0
	s_mov_b32 s22, exec_lo
	ds_store_b32 v1, v0
	v_cmpx_gt_u32_e32 4, v217
; %bb.5:
	v_dual_mov_b32 v1, v0 :: v_dual_add_nc_u32 v2, v1, v32
	ds_store_b64 v2, v[0:1] offset:128
; %bb.6:
	s_or_b32 exec_lo, exec_lo, s22
                                        ; implicit-def: $vgpr1
.LBB19_7:
	s_wait_alu 0xfffe
	s_and_not1_saveexec_b32 s1, s1
	s_cbranch_execz .LBB19_13
; %bb.8:
	s_load_b96 s[40:42], s[2:3], 0x70
	v_lshlrev_b32_e32 v2, 2, v32
	s_wait_kmcnt 0x0
	v_mul_lo_u32 v0, s40, v30
	s_mul_i32 s1, s26, s42
	s_mul_i32 s22, s40, s33
	;; [unrolled: 1-line block ×3, first 2 shown]
	s_wait_alu 0xfffe
	s_add_co_i32 s1, s1, s22
	s_wait_alu 0xfffe
	s_add_co_i32 s22, s1, s23
	s_delay_alu instid0(SALU_CYCLE_1)
	s_ashr_i32 s23, s22, 31
	v_ashrrev_i32_e32 v3, 31, v0
	s_add_nc_u64 s[4:5], s[4:5], s[22:23]
	s_wait_alu 0xfffe
	v_add_co_u32 v0, vcc_lo, s4, v0
	s_wait_alu 0xfffd
	v_add_co_ci_u32_e64 v3, null, s5, v3, vcc_lo
	s_delay_alu instid0(VALU_DEP_2) | instskip(SKIP_1) | instid1(VALU_DEP_2)
	v_add_co_u32 v2, vcc_lo, v0, v2
	s_wait_alu 0xfffd
	v_add_co_ci_u32_e64 v3, null, 0, v3, vcc_lo
	v_mbcnt_lo_u32_b32 v0, -1, 0
	global_load_b128 v[8:11], v[2:3], off
	v_xor_b32_e32 v3, 4, v0
	v_xor_b32_e32 v13, 2, v0
	;; [unrolled: 1-line block ×3, first 2 shown]
	s_delay_alu instid0(VALU_DEP_3) | instskip(SKIP_3) | instid1(VALU_DEP_2)
	v_cmp_gt_i32_e32 vcc_lo, 32, v3
	s_wait_alu 0xfffd
	v_cndmask_b32_e32 v3, v0, v3, vcc_lo
	v_cmp_gt_i32_e32 vcc_lo, 32, v13
	v_lshlrev_b32_e32 v3, 2, v3
	s_wait_alu 0xfffd
	v_cndmask_b32_e32 v13, v0, v13, vcc_lo
	v_cmp_gt_i32_e32 vcc_lo, 32, v14
	s_wait_alu 0xfffd
	v_cndmask_b32_e32 v0, v0, v14, vcc_lo
	s_delay_alu instid0(VALU_DEP_1) | instskip(SKIP_4) | instid1(VALU_DEP_2)
	v_lshlrev_b32_e32 v0, 2, v0
	s_wait_loadcnt 0x0
	v_dual_mul_f32 v2, s20, v8 :: v_dual_mul_f32 v7, s20, v10
	v_mul_f32_e32 v4, s20, v9
	v_mul_f32_e32 v6, s20, v11
	v_max_num_f32_e64 v5, |v2|, |v4|
	v_fma_f32 v8, s20, v8, v4
	v_lshlrev_b32_e32 v13, 2, v13
	s_delay_alu instid0(VALU_DEP_3) | instskip(NEXT) | instid1(VALU_DEP_3)
	v_max3_num_f32 v5, v5, |v7|, |v6|
	v_fmac_f32_e32 v8, s20, v10
	ds_bpermute_b32 v9, v3, v5
	v_fmac_f32_e32 v8, s20, v11
	s_mov_b32 s20, exec_lo
	ds_bpermute_b32 v3, v3, v8
	s_wait_dscnt 0x1
	v_max_num_f32_e32 v9, v9, v9
	s_delay_alu instid0(VALU_DEP_1)
	v_max_num_f32_e32 v5, v5, v9
	s_wait_dscnt 0x0
	v_add_f32_e32 v3, v8, v3
	ds_bpermute_b32 v9, v13, v5
	ds_bpermute_b32 v8, v13, v3
	s_wait_dscnt 0x1
	v_max_num_f32_e32 v9, v9, v9
	s_wait_dscnt 0x0
	v_dual_add_f32 v3, v3, v8 :: v_dual_mov_b32 v8, 0
	s_delay_alu instid0(VALU_DEP_2) | instskip(SKIP_3) | instid1(VALU_DEP_1)
	v_max_num_f32_e32 v5, v5, v9
	ds_bpermute_b32 v9, v0, v5
	s_wait_dscnt 0x0
	v_max_num_f32_e32 v9, v9, v9
	v_max_num_f32_e32 v9, v5, v9
	s_delay_alu instid0(VALU_DEP_1) | instskip(SKIP_1) | instid1(VALU_DEP_2)
	v_div_scale_f32 v10, null, 0x42fe0000, 0x42fe0000, v9
	v_div_scale_f32 v13, vcc_lo, v9, 0x42fe0000, v9
	v_rcp_f32_e32 v11, v10
	s_delay_alu instid0(TRANS32_DEP_1) | instskip(NEXT) | instid1(VALU_DEP_1)
	v_fma_f32 v5, -v10, v11, 1.0
	v_fmac_f32_e32 v11, v5, v11
	s_delay_alu instid0(VALU_DEP_1) | instskip(NEXT) | instid1(VALU_DEP_1)
	v_mul_f32_e32 v14, v13, v11
	v_fma_f32 v5, -v10, v14, v13
	s_delay_alu instid0(VALU_DEP_1) | instskip(SKIP_3) | instid1(VALU_DEP_1)
	v_fmac_f32_e32 v14, v5, v11
	ds_bpermute_b32 v5, v0, v3
	v_fma_f32 v0, -v10, v14, v13
	s_wait_alu 0xfffd
	v_div_fmas_f32 v0, v0, v11, v14
	s_delay_alu instid0(VALU_DEP_1) | instskip(NEXT) | instid1(VALU_DEP_1)
	v_div_fixup_f32 v0, v0, 0x42fe0000, v9
	v_cmpx_neq_f32_e32 0, v0
	s_cbranch_execz .LBB19_10
; %bb.9:
	v_div_scale_f32 v8, null, v0, v0, v2
	v_div_scale_f32 v9, null, v0, v0, v4
	;; [unrolled: 1-line block ×4, first 2 shown]
	s_delay_alu instid0(VALU_DEP_4) | instskip(NEXT) | instid1(VALU_DEP_3)
	v_rcp_f32_e32 v10, v8
	v_rcp_f32_e32 v14, v9
	s_delay_alu instid0(VALU_DEP_2) | instskip(NEXT) | instid1(VALU_DEP_1)
	v_rcp_f32_e32 v15, v11
	v_rcp_f32_e32 v16, v13
	v_div_scale_f32 v20, vcc_lo, v2, v0, v2
	v_fma_f32 v17, -v8, v10, 1.0
	s_delay_alu instid0(TRANS32_DEP_3) | instskip(NEXT) | instid1(TRANS32_DEP_2)
	v_fma_f32 v19, -v9, v14, 1.0
	v_fma_f32 v21, -v11, v15, 1.0
	s_delay_alu instid0(TRANS32_DEP_1) | instskip(NEXT) | instid1(VALU_DEP_4)
	v_fma_f32 v22, -v13, v16, 1.0
	v_fmac_f32_e32 v10, v17, v10
	s_delay_alu instid0(VALU_DEP_3) | instskip(SKIP_1) | instid1(VALU_DEP_4)
	v_dual_fmac_f32 v14, v19, v14 :: v_dual_fmac_f32 v15, v21, v15
	v_div_scale_f32 v17, s1, v4, v0, v4
	v_fmac_f32_e32 v16, v22, v16
	v_div_scale_f32 v21, s5, v6, v0, v6
	v_div_scale_f32 v19, s4, v7, v0, v7
	s_delay_alu instid0(VALU_DEP_4) | instskip(NEXT) | instid1(VALU_DEP_3)
	v_mul_f32_e32 v23, v17, v14
	v_dual_mul_f32 v22, v20, v10 :: v_dual_mul_f32 v25, v21, v16
	s_delay_alu instid0(VALU_DEP_2) | instskip(NEXT) | instid1(VALU_DEP_2)
	v_fma_f32 v27, -v9, v23, v17
	v_fma_f32 v26, -v8, v22, v20
	s_delay_alu instid0(VALU_DEP_3) | instskip(SKIP_1) | instid1(VALU_DEP_2)
	v_fma_f32 v29, -v13, v25, v21
	v_mul_f32_e32 v24, v19, v15
	v_dual_fmac_f32 v22, v26, v10 :: v_dual_fmac_f32 v25, v29, v16
	s_delay_alu instid0(VALU_DEP_2) | instskip(SKIP_1) | instid1(VALU_DEP_3)
	v_fma_f32 v28, -v11, v24, v19
	v_fmac_f32_e32 v23, v27, v14
	v_fma_f32 v8, -v8, v22, v20
	s_delay_alu instid0(VALU_DEP_3) | instskip(NEXT) | instid1(VALU_DEP_3)
	v_fmac_f32_e32 v24, v28, v15
	v_fma_f32 v9, -v9, v23, v17
	s_wait_alu 0xfffd
	s_delay_alu instid0(VALU_DEP_3)
	v_div_fmas_f32 v8, v8, v10, v22
	s_mov_b32 vcc_lo, s1
	v_fma_f32 v11, -v11, v24, v19
	s_wait_alu 0xfffe
	v_div_fmas_f32 v9, v9, v14, v23
	s_mov_b32 vcc_lo, s4
	v_div_fixup_f32 v2, v8, v0, v2
	s_wait_alu 0xfffe
	v_div_fmas_f32 v10, v11, v15, v24
	v_fma_f32 v11, -v13, v25, v21
	s_mov_b32 vcc_lo, s5
	v_div_fixup_f32 v4, v9, v0, v4
	v_trunc_f32_e32 v14, v2
	v_div_fixup_f32 v7, v10, v0, v7
	s_wait_alu 0xfffe
	v_div_fmas_f32 v10, v11, v16, v25
	s_delay_alu instid0(VALU_DEP_2) | instskip(NEXT) | instid1(VALU_DEP_2)
	v_trunc_f32_e32 v9, v7
	v_div_fixup_f32 v6, v10, v0, v6
	v_trunc_f32_e32 v10, v4
	s_delay_alu instid0(VALU_DEP_3) | instskip(NEXT) | instid1(VALU_DEP_3)
	v_sub_f32_e32 v11, v7, v9
	v_trunc_f32_e32 v8, v6
	s_delay_alu instid0(VALU_DEP_3) | instskip(NEXT) | instid1(VALU_DEP_3)
	v_sub_f32_e32 v13, v4, v10
	v_cmp_ge_f32_e64 s1, |v11|, 0.5
	s_delay_alu instid0(VALU_DEP_3) | instskip(SKIP_1) | instid1(VALU_DEP_2)
	v_sub_f32_e32 v15, v6, v8
	s_wait_alu 0xf1ff
	v_cndmask_b32_e64 v11, 0, 1.0, s1
	v_cmp_ge_f32_e64 s1, |v13|, 0.5
	s_delay_alu instid0(VALU_DEP_2) | instskip(SKIP_1) | instid1(VALU_DEP_2)
	v_bfi_b32 v7, 0x7fffffff, v11, v7
	s_wait_alu 0xf1ff
	v_cndmask_b32_e64 v13, 0, 1.0, s1
	v_cmp_ge_f32_e64 s1, |v15|, 0.5
	s_delay_alu instid0(VALU_DEP_3) | instskip(NEXT) | instid1(VALU_DEP_3)
	v_add_f32_e32 v7, v9, v7
	v_bfi_b32 v4, 0x7fffffff, v13, v4
	s_wait_alu 0xf1ff
	s_delay_alu instid0(VALU_DEP_3) | instskip(NEXT) | instid1(VALU_DEP_3)
	v_cndmask_b32_e64 v15, 0, 1.0, s1
	v_cvt_i32_f32_e32 v7, v7
	s_delay_alu instid0(VALU_DEP_3) | instskip(NEXT) | instid1(VALU_DEP_3)
	v_add_f32_e32 v4, v10, v4
	v_bfi_b32 v6, 0x7fffffff, v15, v6
	s_delay_alu instid0(VALU_DEP_2) | instskip(SKIP_1) | instid1(VALU_DEP_3)
	v_cvt_i32_f32_e32 v4, v4
	v_sub_f32_e32 v11, v2, v14
	v_add_f32_e32 v6, v8, v6
	s_delay_alu instid0(VALU_DEP_3) | instskip(NEXT) | instid1(VALU_DEP_3)
	v_and_b32_e32 v4, 0xff, v4
	v_cmp_ge_f32_e64 s1, |v11|, 0.5
	s_delay_alu instid0(VALU_DEP_3) | instskip(NEXT) | instid1(VALU_DEP_3)
	v_cvt_i32_f32_e32 v6, v6
	v_lshlrev_b32_e32 v4, 8, v4
	s_wait_alu 0xf1ff
	s_delay_alu instid0(VALU_DEP_3) | instskip(NEXT) | instid1(VALU_DEP_1)
	v_cndmask_b32_e64 v9, 0, 1.0, s1
	v_bfi_b32 v2, 0x7fffffff, v9, v2
	s_delay_alu instid0(VALU_DEP_1) | instskip(NEXT) | instid1(VALU_DEP_1)
	v_dual_add_f32 v2, v14, v2 :: v_dual_and_b32 v7, 0xff, v7
	v_lshlrev_b32_e32 v7, 16, v7
	s_delay_alu instid0(VALU_DEP_2) | instskip(NEXT) | instid1(VALU_DEP_2)
	v_cvt_i32_f32_e32 v2, v2
	v_lshl_or_b32 v6, v6, 24, v7
	s_delay_alu instid0(VALU_DEP_2) | instskip(NEXT) | instid1(VALU_DEP_1)
	v_and_b32_e32 v2, 0xff, v2
	v_or3_b32 v8, v6, v4, v2
.LBB19_10:
	s_wait_alu 0xfffe
	s_or_b32 exec_lo, exec_lo, s20
	v_and_b32_e32 v2, 7, v217
	s_mov_b32 s1, exec_lo
	ds_store_b32 v1, v8
	v_cmpx_eq_u32_e32 0, v2
	s_cbranch_execz .LBB19_12
; %bb.11:
	s_wait_dscnt 0x1
	v_add_f32_e32 v1, v3, v5
	v_add_nc_u32_e32 v2, v31, v217
	ds_store_b64 v2, v[0:1] offset:128
.LBB19_12:
	s_wait_alu 0xfffe
	s_or_b32 exec_lo, exec_lo, s1
.LBB19_13:
	s_delay_alu instid0(SALU_CYCLE_1)
	s_or_b32 exec_lo, exec_lo, s21
	v_and_b32_e32 v19, 1, v217
	s_wait_dscnt 0x0
	s_barrier_signal -1
	s_barrier_wait -1
	global_inv scope:SCOPE_SE
	v_lshlrev_b32_e32 v16, 2, v19
	s_wait_kmcnt 0x0
	s_cmp_eq_u64 s[14:15], 0
	s_mov_b32 s29, s34
	ds_load_2addr_b32 v[220:221], v16 offset1:2
	ds_load_2addr_b32 v[222:223], v16 offset0:4 offset1:6
	ds_load_2addr_b32 v[224:225], v16 offset0:8 offset1:10
	;; [unrolled: 1-line block ×3, first 2 shown]
	ds_load_b128 v[0:3], v12 offset:128
	ds_load_b128 v[4:7], v12 offset:144
	ds_load_2addr_b32 v[228:229], v16 offset0:16 offset1:18
	ds_load_2addr_b32 v[230:231], v16 offset0:20 offset1:22
	;; [unrolled: 1-line block ×9, first 2 shown]
	ds_load_b128 v[8:11], v12 offset:384
	ds_load_b128 v[12:15], v12 offset:400
	ds_load_2addr_b32 v[50:51], v16 offset0:84 offset1:86
	ds_load_2addr_b32 v[52:53], v16 offset0:88 offset1:90
	;; [unrolled: 1-line block ×3, first 2 shown]
	s_wait_loadcnt_dscnt 0x0
	s_barrier_signal -1
	s_barrier_wait -1
	global_inv scope:SCOPE_SE
	s_cbranch_scc1 .LBB19_15
; %bb.14:
	s_load_b32 s1, s[2:3], 0xd0
	s_mov_b32 s5, 0
	s_wait_kmcnt 0x0
	s_mul_i32 s1, s1, s26
	s_wait_alu 0xfffe
	s_add_co_i32 s4, s1, ttmp9
	s_wait_alu 0xfffe
	s_lshl_b64 s[4:5], s[4:5], 2
	s_wait_alu 0xfffe
	s_add_nc_u64 s[4:5], s[14:15], s[4:5]
	s_load_b32 s29, s[4:5], 0x0
.LBB19_15:
	v_lshlrev_b32_e32 v17, 5, v30
	s_and_b32 s14, ttmp7, 0xffff
	v_add_nc_u32_e32 v213, 0x600, v18
	v_mbcnt_lo_u32_b32 v122, -1, 0
	s_lshl_b32 s15, s14, 7
	v_add_nc_u32_e32 v20, v17, v217
	s_wait_kmcnt 0x0
	s_wait_alu 0xfffe
	s_cmp_ge_i32 s15, s29
	s_mov_b32 s31, 0
	v_lshlrev_b32_e32 v18, 1, v20
	scratch_store_b32 off, v18, off         ; 4-byte Folded Spill
	s_cbranch_scc1 .LBB19_27
; %bb.16:
	s_mul_f32 s50, s36, 0x4f7ffffe
	s_mul_f32 s51, s35, 0x4f7ffffe
	s_sub_co_i32 s44, 0, s38
	s_sub_co_i32 s42, 0, s30
	s_cvt_u32_f32 s50, s50
	s_cvt_u32_f32 s51, s51
	s_abs_i32 s36, s28
	s_mov_b32 s45, s37
	s_mul_i32 s44, s44, s50
	s_clause 0x2
	scratch_store_b32 off, v20, off offset:124
	scratch_store_b32 off, v31, off offset:120
	;; [unrolled: 1-line block ×3, first 2 shown]
	s_mul_hi_u32 s44, s50, s44
	s_clause 0x1
	s_load_b128 s[20:23], s[2:3], 0x98
	s_load_b64 s[4:5], s[2:3], 0x8c
	s_add_co_i32 s44, s50, s44
	s_mul_i32 s42, s42, s51
	s_mul_u64 s[44:45], s[36:37], s[44:45]
	s_mov_b32 s41, s37
	s_mov_b32 s43, s37
	s_mul_hi_u32 s42, s51, s42
	s_mul_i32 s37, s45, s38
	s_abs_i32 s40, s26
	s_ashr_i32 s52, s28, 31
	s_ashr_i32 s53, s27, 31
	s_add_co_i32 s42, s51, s42
	s_sub_co_i32 s36, s36, s37
	s_ashr_i32 s27, s26, 31
	s_xor_b32 s52, s52, s53
	s_wait_alu 0xfffe
	s_mul_u64 s[42:43], s[40:41], s[42:43]
	s_add_co_i32 s37, s45, 1
	s_sub_co_i32 s41, s36, s38
	s_cmp_ge_u32 s36, s38
	scratch_store_b32 off, v32, off offset:128 ; 4-byte Folded Spill
	s_cselect_b32 s37, s37, s45
	s_wait_alu 0xfffe
	s_cselect_b32 s36, s41, s36
	s_add_co_i32 s41, s37, 1
	s_cmp_ge_u32 s36, s38
	s_clause 0x2
	s_load_b64 s[46:47], s[2:3], 0xa8
	s_load_b64 s[48:49], s[2:3], 0xc8
	s_load_b32 s54, s[2:3], 0xd4
	s_cselect_b32 s36, s41, s37
	s_mul_i32 s37, s43, s30
	s_xor_b32 s36, s36, s52
	s_sub_co_i32 s38, s40, s37
	s_sub_co_i32 s37, s36, s52
	;; [unrolled: 1-line block ×3, first 2 shown]
	s_wait_kmcnt 0x0
	s_mul_i32 s36, s37, s5
	s_mul_i32 s40, s37, s23
	s_ashr_i32 s37, s36, 31
	s_wait_alu 0xfffe
	s_ashr_i32 s41, s40, 31
	s_cmp_ge_u32 s38, s30
	v_and_b32_e32 v18, 0x7e, v217
	s_cselect_b32 s5, s42, s38
	s_mul_i32 s35, s39, s33
	s_wait_alu 0xfffe
	s_sub_co_i32 s23, s5, s30
	s_cmp_ge_u32 s5, s30
	v_bfe_u32 v21, v217, 3, 27
	s_cselect_b32 s5, s23, s5
	v_add_nc_u32_e32 v18, v17, v18
	s_wait_alu 0xfffe
	s_xor_b32 s5, s5, s27
	v_mul_lo_u32 v28, v17, s22
	s_wait_alu 0xfffe
	s_sub_co_i32 s42, s5, s27
	s_ashr_i32 s5, s35, 31
	s_ashr_i32 s43, s42, 31
	s_cmp_lg_u64 s[10:11], 0
	v_mul_hi_u32_u24_e32 v22, 18, v21
	s_cselect_b32 s44, -1, 0
	s_lshl_b32 s30, s54, 7
	s_cmp_lt_i32 s33, s24
	v_mul_u32_u24_e32 v21, 18, v21
	v_add_nc_u32_e32 v23, s34, v18
	s_cselect_b32 s23, -1, 0
	s_or_b32 s38, s33, 1
	s_wait_alu 0xfffe
	s_and_b32 s23, s44, s23
	s_cmp_lt_i32 s38, s24
	v_ashrrev_i32_e32 v24, 31, v23
	v_mad_co_u64_u32 v[35:36], null, s46, s26, v[21:22]
	s_cselect_b32 s45, -1, 0
	s_ashr_i32 s50, s34, 31
	v_add_co_u32 v21, s34, s34, v18
	s_wait_alu 0xf1ff
	v_add_co_ci_u32_e64 v22, null, s50, 0, s34
	s_mov_b32 s39, s31
	v_lshlrev_b64_e32 v[23:24], 1, v[23:24]
	s_lshl_b32 s38, s15, 1
	s_mul_u64 s[42:43], s[48:49], s[42:43]
	s_add_nc_u64 s[48:49], s[10:11], s[38:39]
	v_lshlrev_b64_e32 v[21:22], 1, v[21:22]
	s_add_nc_u64 s[48:49], s[48:49], s[42:43]
	s_mul_i32 s34, s47, s26
	s_mul_i32 s46, s46, s27
	v_add_co_u32 v67, vcc_lo, s48, v23
	v_and_b32_e32 v29, 12, v32
	v_ashrrev_i32_e32 v31, 31, v28
	s_wait_alu 0xfffe
	v_add3_u32 v36, s46, s34, v36
	s_wait_alu 0xfffd
	v_add_co_ci_u32_e64 v68, null, s49, v24, vcc_lo
	v_add_co_u32 v23, vcc_lo, s48, v21
	v_cmp_eq_u32_e64 s1, 0, v19
	v_add_nc_u32_e32 v19, s22, v28
	v_add_nc_u32_e32 v32, 31, v17
	s_wait_alu 0xfffd
	v_add_co_ci_u32_e64 v24, null, s49, v22, vcc_lo
	v_add_co_u32 v21, vcc_lo, v35, v28
	s_wait_alu 0xfffd
	v_add_co_ci_u32_e64 v22, null, v36, v31, vcc_lo
	v_add_co_u32 v38, vcc_lo, v35, v29
	v_add_nc_u32_e32 v20, s22, v19
	s_wait_alu 0xfffd
	v_add_co_ci_u32_e64 v39, null, 0, v36, vcc_lo
	v_mul_lo_u32 v40, s22, v32
	v_add_co_u32 v28, vcc_lo, v38, v28
	v_add_nc_u32_e32 v25, s22, v20
	s_wait_alu 0xfffd
	v_add_co_ci_u32_e64 v29, null, v39, v31, vcc_lo
	v_add_co_u32 v75, vcc_lo, v38, s40
	s_wait_alu 0xfffd
	v_add_co_ci_u32_e64 v76, null, s41, v39, vcc_lo
	v_add_nc_u32_e32 v39, 30, v17
	v_ashrrev_i32_e32 v38, 31, v40
	v_add_nc_u32_e32 v26, s22, v25
	v_add_co_u32 v31, vcc_lo, v75, v40
	s_delay_alu instid0(VALU_DEP_4)
	v_mul_lo_u32 v39, s22, v39
	s_wait_alu 0xfffd
	v_add_co_ci_u32_e64 v32, null, v76, v38, vcc_lo
	v_add_co_u32 v83, vcc_lo, v35, s40
	v_add_nc_u32_e32 v41, 29, v17
	v_dual_mov_b32 v218, 0 :: v_dual_add_nc_u32 v27, s22, v26
	s_wait_alu 0xfffd
	v_add_co_ci_u32_e64 v84, null, s41, v36, vcc_lo
	v_add_co_u32 v35, vcc_lo, v83, v40
	v_mul_lo_u32 v40, s22, v41
	v_add_nc_u32_e32 v30, s22, v27
	s_wait_alu 0xfffd
	v_add_co_ci_u32_e64 v36, null, v84, v38, vcc_lo
	v_ashrrev_i32_e32 v38, 31, v39
	v_add_nc_u32_e32 v41, 28, v17
	v_add_co_u32 v56, vcc_lo, v75, v39
	v_add_nc_u32_e32 v33, s22, v30
	s_wait_alu 0xfffd
	v_add_co_ci_u32_e64 v57, null, v76, v38, vcc_lo
	v_add_co_u32 v59, vcc_lo, v83, v39
	v_mul_lo_u32 v39, s22, v41
	s_wait_alu 0xfffd
	v_add_co_ci_u32_e64 v60, null, v84, v38, vcc_lo
	v_ashrrev_i32_e32 v38, 31, v40
	v_add_nc_u32_e32 v34, s22, v33
	v_add_co_u32 v63, vcc_lo, v75, v40
	v_add_nc_u32_e32 v41, 27, v17
	s_wait_alu 0xfffd
	v_add_co_ci_u32_e64 v64, null, v76, v38, vcc_lo
	v_add_co_u32 v61, vcc_lo, v83, v40
	s_wait_alu 0xfffd
	v_add_co_ci_u32_e64 v62, null, v84, v38, vcc_lo
	v_ashrrev_i32_e32 v38, 31, v39
	v_add_nc_u32_e32 v37, s22, v34
	v_add_co_u32 v72, vcc_lo, v75, v39
	v_add_nc_u32_e32 v40, 26, v17
	s_wait_alu 0xfffd
	v_add_co_ci_u32_e64 v73, null, v76, v38, vcc_lo
	v_add_co_u32 v107, vcc_lo, v83, v39
	v_add_nc_u32_e32 v58, s22, v37
	s_wait_alu 0xfffd
	v_add_co_ci_u32_e64 v108, null, v84, v38, vcc_lo
	v_mul_lo_u32 v38, s22, v41
	v_add_nc_u32_e32 v42, 25, v17
	v_add_nc_u32_e32 v65, s22, v58
	v_mul_lo_u32 v40, s22, v40
	v_add_nc_u32_e32 v43, 24, v17
	v_add_nc_u32_e32 v44, 21, v17
	v_mul_lo_u32 v39, s22, v42
	v_add_nc_u32_e32 v66, s22, v65
	v_ashrrev_i32_e32 v109, 31, v38
	v_add_nc_u32_e32 v42, 23, v17
	v_add_co_u32 v111, vcc_lo, v75, v38
	v_mul_lo_u32 v41, s22, v43
	v_ashrrev_i32_e32 v88, 31, v40
	s_wait_alu 0xfffd
	v_add_co_ci_u32_e64 v112, null, v76, v109, vcc_lo
	v_add_co_u32 v38, vcc_lo, v83, v38
	v_add_nc_u32_e32 v69, s22, v66
	v_add_nc_u32_e32 v43, 22, v17
	s_wait_alu 0xfffd
	v_add_co_ci_u32_e64 v113, null, v84, v109, vcc_lo
	v_add_co_u32 v114, vcc_lo, v75, v40
	v_mul_lo_u32 v42, s22, v42
	v_ashrrev_i32_e32 v89, 31, v39
	s_wait_alu 0xfffd
	v_add_co_ci_u32_e64 v115, null, v76, v88, vcc_lo
	v_add_co_u32 v40, vcc_lo, v83, v40
	v_add_nc_u32_e32 v70, s22, v69
	s_wait_alu 0xfffd
	v_add_co_ci_u32_e64 v116, null, v84, v88, vcc_lo
	v_add_co_u32 v117, vcc_lo, v75, v39
	v_mul_lo_u32 v43, s22, v43
	v_ashrrev_i32_e32 v90, 31, v41
	s_wait_alu 0xfffd
	v_add_co_ci_u32_e64 v118, null, v76, v89, vcc_lo
	v_add_co_u32 v39, vcc_lo, v83, v39
	v_add_nc_u32_e32 v45, 20, v17
	s_wait_alu 0xfffd
	v_add_co_ci_u32_e64 v120, null, v84, v89, vcc_lo
	v_add_co_u32 v119, vcc_lo, v75, v41
	v_add_nc_u32_e32 v74, s22, v70
	v_mul_lo_u32 v44, s22, v44
	v_ashrrev_i32_e32 v91, 31, v42
	s_wait_alu 0xfffd
	v_add_co_ci_u32_e64 v121, null, v76, v90, vcc_lo
	v_add_co_u32 v41, vcc_lo, v83, v41
	v_add_nc_u32_e32 v87, 19, v17
	s_wait_alu 0xfffd
	v_add_co_ci_u32_e64 v124, null, v84, v90, vcc_lo
	v_add_co_u32 v123, vcc_lo, v75, v42
	v_mul_lo_u32 v45, s22, v45
	v_ashrrev_i32_e32 v92, 31, v43
	v_add_nc_u32_e32 v79, s22, v74
	s_wait_alu 0xfffd
	v_add_co_ci_u32_e64 v125, null, v76, v91, vcc_lo
	v_add_co_u32 v42, vcc_lo, v83, v42
	s_wait_alu 0xfffd
	v_add_co_ci_u32_e64 v128, null, v84, v91, vcc_lo
	v_add_co_u32 v127, vcc_lo, v75, v43
	v_mul_lo_u32 v87, s22, v87
	v_ashrrev_i32_e32 v93, 31, v44
	s_wait_alu 0xfffd
	v_add_co_ci_u32_e64 v129, null, v76, v92, vcc_lo
	v_add_co_u32 v43, vcc_lo, v83, v43
	v_add_nc_u32_e32 v82, s22, v79
	s_wait_alu 0xfffd
	v_add_co_ci_u32_e64 v132, null, v84, v92, vcc_lo
	v_add_co_u32 v131, vcc_lo, v75, v44
	v_ashrrev_i32_e32 v94, 31, v45
	s_wait_alu 0xfffd
	v_add_co_ci_u32_e64 v133, null, v76, v93, vcc_lo
	v_add_co_u32 v44, vcc_lo, v83, v44
	v_add_nc_u32_e32 v86, s22, v82
	s_wait_alu 0xfffd
	v_add_co_ci_u32_e64 v136, null, v84, v93, vcc_lo
	v_add_co_u32 v135, vcc_lo, v75, v45
	v_ashrrev_i32_e32 v95, 31, v87
	s_wait_alu 0xfffd
	v_add_co_ci_u32_e64 v137, null, v76, v94, vcc_lo
	v_add_co_u32 v45, vcc_lo, v83, v45
	s_wait_alu 0xfffd
	v_add_co_ci_u32_e64 v140, null, v84, v94, vcc_lo
	v_add_co_u32 v139, vcc_lo, v75, v87
	v_ashrrev_i32_e32 v96, 31, v86
	s_wait_alu 0xfffd
	v_add_co_ci_u32_e64 v141, null, v76, v95, vcc_lo
	v_add_co_u32 v143, vcc_lo, v83, v87
	;; [unrolled: 7-line block ×18, first 2 shown]
	s_wait_alu 0xfffd
	v_add_co_ci_u32_e64 v208, null, v84, v105, vcc_lo
	v_add_co_u32 v207, vcc_lo, v75, v20
	v_ashrrev_i32_e32 v110, 31, v19
	v_and_b32_e32 v71, 30, v122
	s_wait_alu 0xfffd
	v_add_co_ci_u32_e64 v209, null, v76, v106, vcc_lo
	v_add_co_u32 v20, vcc_lo, v83, v20
	s_wait_alu 0xfffd
	v_add_co_ci_u32_e64 v212, null, v84, v106, vcc_lo
	v_add_co_u32 v75, vcc_lo, v75, v19
	s_wait_alu 0xfffd
	v_add_co_ci_u32_e64 v211, null, v76, v110, vcc_lo
	v_add_nc_u32_e32 v71, 2, v71
	v_xor_b32_e32 v76, 1, v122
	v_add_co_u32 v215, vcc_lo, v83, v19
	s_wait_alu 0xfffd
	v_add_co_ci_u32_e64 v216, null, v84, v110, vcc_lo
	s_delay_alu instid0(VALU_DEP_3)
	v_cmp_lt_i32_e32 vcc_lo, v76, v71
	v_xor_b32_e32 v77, 8, v122
	v_xor_b32_e32 v78, 16, v122
	s_mul_u64 s[46:47], s[20:21], s[26:27]
	s_mul_i32 s21, s4, s15
	s_wait_alu 0xfffd
	v_cndmask_b32_e32 v19, v122, v76, vcc_lo
	v_xor_b32_e32 v76, 2, v122
	s_mul_i32 s27, s30, s4
	s_add_nc_u64 s[38:39], s[42:43], s[38:39]
	s_add_nc_u64 s[48:49], s[6:7], s[36:37]
	v_lshlrev_b32_e32 v71, 2, v19
	v_xor_b32_e32 v19, 4, v122
	v_cmp_gt_i32_e32 vcc_lo, 32, v76
	s_add_nc_u64 s[10:11], s[10:11], s[38:39]
	s_clause 0x1
	scratch_store_b32 off, v213, off offset:132
	scratch_store_b32 off, v217, off offset:112
	s_wait_alu 0xfffd
	v_dual_cndmask_b32 v76, v122, v76 :: v_dual_and_b32 v217, 4, v217
	v_cmp_gt_i32_e32 vcc_lo, 32, v19
	s_mul_i32 s20, s22, s15
	s_wait_alu 0xfffd
	s_delay_alu instid0(VALU_DEP_2) | instskip(SKIP_3) | instid1(VALU_DEP_4)
	v_dual_cndmask_b32 v19, v122, v19 :: v_dual_lshlrev_b32 v76, 2, v76
	v_cmp_gt_i32_e32 vcc_lo, 32, v77
	v_mul_lo_u32 v91, v18, s4
	v_lshlrev_b32_e32 v18, 1, v18
	v_lshlrev_b32_e32 v19, 2, v19
	s_wait_alu 0xfffd
	v_cndmask_b32_e32 v77, v122, v77, vcc_lo
	v_cmp_gt_i32_e32 vcc_lo, 32, v78
	scratch_store_b32 off, v76, off offset:4 ; 4-byte Folded Spill
	v_ashrrev_i32_e32 v92, 31, v91
	v_lshlrev_b32_e32 v76, 2, v77
	s_wait_alu 0xfffd
	v_cndmask_b32_e32 v78, v122, v78, vcc_lo
	scratch_store_b32 off, v19, off offset:8 ; 4-byte Folded Spill
	v_add_nc_u32_e32 v19, s4, v91
	s_wait_alu 0xfffe
	v_add_co_u32 v16, s4, s46, v16
	scratch_store_b32 off, v76, off offset:12 ; 4-byte Folded Spill
	v_lshlrev_b32_e32 v76, 2, v78
	s_wait_alu 0xf1ff
	v_add_co_ci_u32_e64 v81, null, s47, 0, s4
	v_add_co_u32 v77, vcc_lo, v16, v19
	scratch_store_b32 off, v76, off offset:16 ; 4-byte Folded Spill
	v_lshlrev_b32_e32 v76, 1, v17
	v_ashrrev_i32_e32 v17, 31, v19
	v_add_co_u32 v18, s4, s10, v18
	s_wait_alu 0xf1ff
	v_add_co_ci_u32_e64 v80, null, s11, 0, s4
	s_wait_alu 0xfffd
	v_add_co_ci_u32_e64 v78, null, v81, v17, vcc_lo
	v_add_co_u32 v77, vcc_lo, s48, v77
	s_add_nc_u64 s[10:11], s[48:49], s[46:47]
	s_wait_alu 0xfffd
	v_add_co_ci_u32_e64 v78, null, s49, v78, vcc_lo
	v_add_co_u32 v79, vcc_lo, v18, 2
	s_wait_alu 0xfffd
	v_add_co_ci_u32_e64 v80, null, 0, v80, vcc_lo
	v_add_co_u32 v16, vcc_lo, v16, s36
	s_wait_alu 0xfffd
	v_add_co_ci_u32_e64 v18, null, s37, v81, vcc_lo
	s_delay_alu instid0(VALU_DEP_2) | instskip(SKIP_1) | instid1(VALU_DEP_2)
	v_add_co_u32 v16, vcc_lo, v16, v91
	s_wait_alu 0xfffd
	v_add_co_ci_u32_e64 v18, null, v18, v92, vcc_lo
	s_wait_alu 0xfffe
	v_add_co_u32 v81, vcc_lo, s10, v19
	s_wait_alu 0xfffd
	v_add_co_ci_u32_e64 v82, null, s11, v17, vcc_lo
	v_add_co_u32 v83, vcc_lo, s6, v16
	s_wait_alu 0xfffd
	v_add_co_ci_u32_e64 v84, null, s7, v18, vcc_lo
	v_add_co_u32 v85, vcc_lo, v23, 2
	s_add_nc_u64 s[10:11], s[8:9], s[40:41]
	s_wait_alu 0xfffd
	v_add_co_ci_u32_e64 v86, null, 0, v24, vcc_lo
	s_wait_alu 0xfffe
	v_add_co_u32 v87, vcc_lo, s10, v21
	s_wait_alu 0xfffd
	v_add_co_ci_u32_e64 v88, null, s11, v22, vcc_lo
	v_add_co_u32 v16, vcc_lo, s10, v28
	s_wait_alu 0xfffd
	v_add_co_ci_u32_e64 v17, null, s11, v29, vcc_lo
	s_add_nc_u64 s[10:11], s[46:47], s[36:37]
	v_add_co_u32 v89, vcc_lo, v16, 2
	s_wait_alu 0xfffe
	s_add_nc_u64 s[6:7], s[6:7], s[10:11]
	s_wait_alu 0xfffd
	v_add_co_ci_u32_e64 v90, null, 0, v17, vcc_lo
	s_wait_alu 0xfffe
	v_add_co_u32 v16, vcc_lo, s6, v91
	s_wait_alu 0xfffd
	v_add_co_ci_u32_e64 v17, null, s7, v92, vcc_lo
	v_add_co_u32 v18, vcc_lo, s8, v31
	s_wait_alu 0xfffd
	v_add_co_ci_u32_e64 v19, null, s9, v32, vcc_lo
	v_add_co_u32 v91, vcc_lo, v16, 60
	s_wait_alu 0xfffd
	v_add_co_ci_u32_e64 v92, null, 0, v17, vcc_lo
	v_add_co_u32 v93, vcc_lo, v18, 2
	s_wait_alu 0xfffd
	v_add_co_ci_u32_e64 v94, null, 0, v19, vcc_lo
	v_add_co_u32 v16, vcc_lo, s8, v56
	s_wait_alu 0xfffd
	v_add_co_ci_u32_e64 v17, null, s9, v57, vcc_lo
	v_add_co_u32 v95, vcc_lo, s8, v35
	s_wait_alu 0xfffd
	v_add_co_ci_u32_e64 v96, null, s9, v36, vcc_lo
	v_add_co_u32 v97, vcc_lo, v16, 2
	s_wait_alu 0xfffd
	v_add_co_ci_u32_e64 v98, null, 0, v17, vcc_lo
	v_add_co_u32 v16, vcc_lo, s8, v63
	s_wait_alu 0xfffd
	v_add_co_ci_u32_e64 v17, null, s9, v64, vcc_lo
	v_add_co_u32 v99, vcc_lo, s8, v59
	s_wait_alu 0xfffd
	v_add_co_ci_u32_e64 v100, null, s9, v60, vcc_lo
	v_add_co_u32 v101, vcc_lo, v16, 2
	s_wait_alu 0xfffd
	v_add_co_ci_u32_e64 v102, null, 0, v17, vcc_lo
	v_add_co_u32 v16, vcc_lo, s8, v72
	s_wait_alu 0xfffd
	v_add_co_ci_u32_e64 v17, null, s9, v73, vcc_lo
	v_add_co_u32 v103, vcc_lo, s8, v61
	s_wait_alu 0xfffd
	v_add_co_ci_u32_e64 v104, null, s9, v62, vcc_lo
	v_add_co_u32 v105, vcc_lo, v16, 2
	s_wait_alu 0xfffd
	v_add_co_ci_u32_e64 v106, null, 0, v17, vcc_lo
	v_add_co_u32 v16, vcc_lo, s8, v111
	s_wait_alu 0xfffd
	v_add_co_ci_u32_e64 v17, null, s9, v112, vcc_lo
	v_add_co_u32 v107, vcc_lo, s8, v107
	s_wait_alu 0xfffd
	v_add_co_ci_u32_e64 v108, null, s9, v108, vcc_lo
	v_add_co_u32 v109, vcc_lo, v16, 2
	s_wait_alu 0xfffd
	v_add_co_ci_u32_e64 v110, null, 0, v17, vcc_lo
	v_add_co_u32 v16, vcc_lo, s8, v114
	s_wait_alu 0xfffd
	v_add_co_ci_u32_e64 v17, null, s9, v115, vcc_lo
	v_add_co_u32 v111, vcc_lo, s8, v38
	s_wait_alu 0xfffd
	v_add_co_ci_u32_e64 v112, null, s9, v113, vcc_lo
	v_add_co_u32 v113, vcc_lo, v16, 2
	s_wait_alu 0xfffd
	v_add_co_ci_u32_e64 v114, null, 0, v17, vcc_lo
	v_add_co_u32 v16, vcc_lo, s8, v117
	s_wait_alu 0xfffd
	v_add_co_ci_u32_e64 v17, null, s9, v118, vcc_lo
	v_add_co_u32 v115, vcc_lo, s8, v40
	s_wait_alu 0xfffd
	v_add_co_ci_u32_e64 v116, null, s9, v116, vcc_lo
	v_add_co_u32 v117, vcc_lo, v16, 2
	s_wait_alu 0xfffd
	v_add_co_ci_u32_e64 v118, null, 0, v17, vcc_lo
	v_add_co_u32 v16, vcc_lo, s8, v119
	s_wait_alu 0xfffd
	v_add_co_ci_u32_e64 v17, null, s9, v121, vcc_lo
	v_add_co_u32 v119, vcc_lo, s8, v39
	s_wait_alu 0xfffd
	v_add_co_ci_u32_e64 v120, null, s9, v120, vcc_lo
	v_add_co_u32 v121, vcc_lo, v16, 2
	s_wait_alu 0xfffd
	v_add_co_ci_u32_e64 v122, null, 0, v17, vcc_lo
	v_add_co_u32 v16, vcc_lo, s8, v123
	s_wait_alu 0xfffd
	v_add_co_ci_u32_e64 v17, null, s9, v125, vcc_lo
	v_add_co_u32 v123, vcc_lo, s8, v41
	s_wait_alu 0xfffd
	v_add_co_ci_u32_e64 v124, null, s9, v124, vcc_lo
	v_add_co_u32 v125, vcc_lo, v16, 2
	s_wait_alu 0xfffd
	v_add_co_ci_u32_e64 v126, null, 0, v17, vcc_lo
	v_add_co_u32 v16, vcc_lo, s8, v127
	s_wait_alu 0xfffd
	v_add_co_ci_u32_e64 v17, null, s9, v129, vcc_lo
	v_add_co_u32 v127, vcc_lo, s8, v42
	s_wait_alu 0xfffd
	v_add_co_ci_u32_e64 v128, null, s9, v128, vcc_lo
	v_add_co_u32 v129, vcc_lo, v16, 2
	s_wait_alu 0xfffd
	v_add_co_ci_u32_e64 v130, null, 0, v17, vcc_lo
	v_add_co_u32 v16, vcc_lo, s8, v131
	s_wait_alu 0xfffd
	v_add_co_ci_u32_e64 v17, null, s9, v133, vcc_lo
	v_add_co_u32 v131, vcc_lo, s8, v43
	s_wait_alu 0xfffd
	v_add_co_ci_u32_e64 v132, null, s9, v132, vcc_lo
	v_add_co_u32 v133, vcc_lo, v16, 2
	s_wait_alu 0xfffd
	v_add_co_ci_u32_e64 v134, null, 0, v17, vcc_lo
	v_add_co_u32 v16, vcc_lo, s8, v135
	s_wait_alu 0xfffd
	v_add_co_ci_u32_e64 v17, null, s9, v137, vcc_lo
	v_add_co_u32 v135, vcc_lo, s8, v44
	s_wait_alu 0xfffd
	v_add_co_ci_u32_e64 v136, null, s9, v136, vcc_lo
	v_add_co_u32 v137, vcc_lo, v16, 2
	s_wait_alu 0xfffd
	v_add_co_ci_u32_e64 v138, null, 0, v17, vcc_lo
	v_add_co_u32 v16, vcc_lo, s8, v139
	s_wait_alu 0xfffd
	v_add_co_ci_u32_e64 v17, null, s9, v141, vcc_lo
	v_add_co_u32 v139, vcc_lo, s8, v45
	s_wait_alu 0xfffd
	v_add_co_ci_u32_e64 v140, null, s9, v140, vcc_lo
	v_add_co_u32 v141, vcc_lo, v16, 2
	s_wait_alu 0xfffd
	v_add_co_ci_u32_e64 v142, null, 0, v17, vcc_lo
	v_add_co_u32 v16, vcc_lo, s8, v145
	s_wait_alu 0xfffd
	v_add_co_ci_u32_e64 v17, null, s9, v146, vcc_lo
	v_add_co_u32 v143, vcc_lo, s8, v143
	s_wait_alu 0xfffd
	v_add_co_ci_u32_e64 v144, null, s9, v144, vcc_lo
	v_add_co_u32 v145, vcc_lo, v16, 2
	s_wait_alu 0xfffd
	v_add_co_ci_u32_e64 v146, null, 0, v17, vcc_lo
	v_add_co_u32 v16, vcc_lo, s8, v149
	s_wait_alu 0xfffd
	v_add_co_ci_u32_e64 v17, null, s9, v150, vcc_lo
	v_add_co_u32 v147, vcc_lo, s8, v147
	s_wait_alu 0xfffd
	v_add_co_ci_u32_e64 v148, null, s9, v148, vcc_lo
	v_add_co_u32 v149, vcc_lo, v16, 2
	s_wait_alu 0xfffd
	v_add_co_ci_u32_e64 v150, null, 0, v17, vcc_lo
	v_add_co_u32 v16, vcc_lo, s8, v153
	s_wait_alu 0xfffd
	v_add_co_ci_u32_e64 v17, null, s9, v154, vcc_lo
	v_add_co_u32 v151, vcc_lo, s8, v151
	s_wait_alu 0xfffd
	v_add_co_ci_u32_e64 v152, null, s9, v152, vcc_lo
	v_add_co_u32 v153, vcc_lo, v16, 2
	s_wait_alu 0xfffd
	v_add_co_ci_u32_e64 v154, null, 0, v17, vcc_lo
	v_add_co_u32 v16, vcc_lo, s8, v157
	s_wait_alu 0xfffd
	v_add_co_ci_u32_e64 v17, null, s9, v158, vcc_lo
	v_add_co_u32 v155, vcc_lo, s8, v155
	s_wait_alu 0xfffd
	v_add_co_ci_u32_e64 v156, null, s9, v156, vcc_lo
	v_add_co_u32 v157, vcc_lo, v16, 2
	s_wait_alu 0xfffd
	v_add_co_ci_u32_e64 v158, null, 0, v17, vcc_lo
	v_add_co_u32 v16, vcc_lo, s8, v159
	s_wait_alu 0xfffd
	v_add_co_ci_u32_e64 v17, null, s9, v161, vcc_lo
	v_add_co_u32 v159, vcc_lo, s8, v74
	s_wait_alu 0xfffd
	v_add_co_ci_u32_e64 v160, null, s9, v160, vcc_lo
	v_add_co_u32 v161, vcc_lo, v16, 2
	s_wait_alu 0xfffd
	v_add_co_ci_u32_e64 v162, null, 0, v17, vcc_lo
	v_add_co_u32 v16, vcc_lo, s8, v163
	s_wait_alu 0xfffd
	v_add_co_ci_u32_e64 v17, null, s9, v165, vcc_lo
	v_add_co_u32 v163, vcc_lo, s8, v70
	s_wait_alu 0xfffd
	v_add_co_ci_u32_e64 v164, null, s9, v164, vcc_lo
	v_add_co_u32 v165, vcc_lo, v16, 2
	s_wait_alu 0xfffd
	v_add_co_ci_u32_e64 v166, null, 0, v17, vcc_lo
	v_add_co_u32 v16, vcc_lo, s8, v167
	s_wait_alu 0xfffd
	v_add_co_ci_u32_e64 v17, null, s9, v169, vcc_lo
	v_add_co_u32 v167, vcc_lo, s8, v69
	s_wait_alu 0xfffd
	v_add_co_ci_u32_e64 v168, null, s9, v168, vcc_lo
	v_add_co_u32 v169, vcc_lo, v16, 2
	s_wait_alu 0xfffd
	v_add_co_ci_u32_e64 v170, null, 0, v17, vcc_lo
	v_add_co_u32 v16, vcc_lo, s8, v171
	s_wait_alu 0xfffd
	v_add_co_ci_u32_e64 v17, null, s9, v173, vcc_lo
	v_add_co_u32 v171, vcc_lo, s8, v66
	s_wait_alu 0xfffd
	v_add_co_ci_u32_e64 v172, null, s9, v172, vcc_lo
	v_add_co_u32 v173, vcc_lo, v16, 2
	s_wait_alu 0xfffd
	v_add_co_ci_u32_e64 v174, null, 0, v17, vcc_lo
	v_add_co_u32 v16, vcc_lo, s8, v175
	s_wait_alu 0xfffd
	v_add_co_ci_u32_e64 v17, null, s9, v177, vcc_lo
	v_add_co_u32 v175, vcc_lo, s8, v65
	s_wait_alu 0xfffd
	v_add_co_ci_u32_e64 v176, null, s9, v176, vcc_lo
	v_add_co_u32 v177, vcc_lo, v16, 2
	s_wait_alu 0xfffd
	v_add_co_ci_u32_e64 v178, null, 0, v17, vcc_lo
	v_add_co_u32 v16, vcc_lo, s8, v179
	s_wait_alu 0xfffd
	v_add_co_ci_u32_e64 v17, null, s9, v181, vcc_lo
	v_add_co_u32 v179, vcc_lo, s8, v58
	s_wait_alu 0xfffd
	v_add_co_ci_u32_e64 v180, null, s9, v180, vcc_lo
	v_add_co_u32 v181, vcc_lo, v16, 2
	s_wait_alu 0xfffd
	v_add_co_ci_u32_e64 v182, null, 0, v17, vcc_lo
	v_add_co_u32 v16, vcc_lo, s8, v183
	s_wait_alu 0xfffd
	v_add_co_ci_u32_e64 v17, null, s9, v185, vcc_lo
	v_add_co_u32 v183, vcc_lo, s8, v37
	s_wait_alu 0xfffd
	v_add_co_ci_u32_e64 v184, null, s9, v184, vcc_lo
	v_add_co_u32 v185, vcc_lo, v16, 2
	s_wait_alu 0xfffd
	v_add_co_ci_u32_e64 v186, null, 0, v17, vcc_lo
	v_add_co_u32 v16, vcc_lo, s8, v187
	s_wait_alu 0xfffd
	v_add_co_ci_u32_e64 v17, null, s9, v189, vcc_lo
	v_add_co_u32 v187, vcc_lo, s8, v34
	s_wait_alu 0xfffd
	v_add_co_ci_u32_e64 v188, null, s9, v188, vcc_lo
	v_add_co_u32 v189, vcc_lo, v16, 2
	s_wait_alu 0xfffd
	v_add_co_ci_u32_e64 v190, null, 0, v17, vcc_lo
	v_add_co_u32 v16, vcc_lo, s8, v191
	s_wait_alu 0xfffd
	v_add_co_ci_u32_e64 v17, null, s9, v193, vcc_lo
	v_add_co_u32 v191, vcc_lo, s8, v33
	s_wait_alu 0xfffd
	v_add_co_ci_u32_e64 v192, null, s9, v192, vcc_lo
	v_add_co_u32 v193, vcc_lo, v16, 2
	s_wait_alu 0xfffd
	v_add_co_ci_u32_e64 v194, null, 0, v17, vcc_lo
	v_add_co_u32 v16, vcc_lo, s8, v195
	s_wait_alu 0xfffd
	v_add_co_ci_u32_e64 v17, null, s9, v197, vcc_lo
	v_add_co_u32 v195, vcc_lo, s8, v30
	s_wait_alu 0xfffd
	v_add_co_ci_u32_e64 v196, null, s9, v196, vcc_lo
	v_add_co_u32 v197, vcc_lo, v16, 2
	s_wait_alu 0xfffd
	v_add_co_ci_u32_e64 v198, null, 0, v17, vcc_lo
	v_add_co_u32 v16, vcc_lo, s8, v199
	s_wait_alu 0xfffd
	v_add_co_ci_u32_e64 v17, null, s9, v201, vcc_lo
	v_add_co_u32 v199, vcc_lo, s8, v27
	s_wait_alu 0xfffd
	v_add_co_ci_u32_e64 v200, null, s9, v200, vcc_lo
	v_add_co_u32 v201, vcc_lo, v16, 2
	s_wait_alu 0xfffd
	v_add_co_ci_u32_e64 v202, null, 0, v17, vcc_lo
	v_add_co_u32 v16, vcc_lo, s8, v203
	s_wait_alu 0xfffd
	v_add_co_ci_u32_e64 v17, null, s9, v205, vcc_lo
	v_add_co_u32 v203, vcc_lo, s8, v26
	s_wait_alu 0xfffd
	v_add_co_ci_u32_e64 v204, null, s9, v204, vcc_lo
	v_add_co_u32 v205, vcc_lo, v16, 2
	s_wait_alu 0xfffd
	v_add_co_ci_u32_e64 v206, null, 0, v17, vcc_lo
	v_add_co_u32 v16, vcc_lo, s8, v207
	s_wait_alu 0xfffd
	v_add_co_ci_u32_e64 v17, null, s9, v209, vcc_lo
	v_add_co_u32 v207, vcc_lo, s8, v25
	s_wait_alu 0xfffd
	v_add_co_ci_u32_e64 v208, null, s9, v208, vcc_lo
	v_add_co_u32 v209, vcc_lo, v16, 2
	s_wait_alu 0xfffd
	v_add_co_ci_u32_e64 v210, null, 0, v17, vcc_lo
	ds_load_b128 v[16:19], v213
	v_add_co_u32 v21, vcc_lo, s8, v75
	s_wait_alu 0xfffd
	v_add_co_ci_u32_e64 v22, null, s9, v211, vcc_lo
	v_add_co_u32 v211, vcc_lo, s8, v20
	s_wait_alu 0xfffd
	v_add_co_ci_u32_e64 v212, null, s9, v212, vcc_lo
	;; [unrolled: 3-line block ×4, first 2 shown]
	v_mov_b32_e32 v70, 0
	v_dual_mov_b32 v20, 0xfeffffff :: v_dual_mov_b32 v69, 0
	v_mov_b32_e32 v21, 0xfeffffff
	s_mul_i32 s8, s30, s22
	s_and_b32 s9, s44, s45
	s_lshl_b64 s[6:7], s[30:31], 1
	s_clause 0xb
	scratch_store_b32 off, v219, off offset:20
	scratch_store_b64 off, v[220:221], off offset:24
	scratch_store_b64 off, v[222:223], off offset:32
	;; [unrolled: 1-line block ×11, first 2 shown]
.LBB19_17:                              ; =>This Inner Loop Header: Depth=1
	v_add_co_u32 v22, vcc_lo, v83, s21
	s_wait_alu 0xfffd
	v_add_co_ci_u32_e64 v23, null, 0, v84, vcc_lo
	v_add_co_u32 v24, vcc_lo, v91, s21
	s_wait_alu 0xfffd
	v_add_co_ci_u32_e64 v25, null, 0, v92, vcc_lo
	global_load_b32 v26, v[22:23], off offset:4
	global_load_b32 v27, v[24:25], off offset:-60
	s_clause 0x1
	global_load_b32 v28, v[22:23], off offset:12
	global_load_b32 v29, v[22:23], off offset:24
	global_load_b32 v30, v[24:25], off offset:-40
	s_clause 0x1
	global_load_b32 v32, v[22:23], off offset:32
	;; [unrolled: 4-line block ×3, first 2 shown]
	global_load_b32 v38, v[22:23], off offset:64
	global_load_b32 v39, v[24:25], off
	global_load_b32 v22, v[22:23], off offset:72
	s_and_b32 vcc_lo, exec_lo, s23
	s_wait_loadcnt 0xb
	v_lshrrev_b32_e32 v41, 4, v26
	s_wait_loadcnt 0xa
	v_lshrrev_b32_e32 v40, 16, v27
	v_cvt_f32_f16_e32 v57, v27
	s_wait_loadcnt 0x9
	v_and_b32_e32 v56, 0xf0f0f0f, v28
	s_wait_loadcnt 0x7
	v_cvt_f32_f16_e32 v34, v30
	v_and_b32_e32 v35, 0xf0f0f0f, v29
	v_lshrrev_b32_e32 v30, 16, v30
	s_wait_loadcnt 0x6
	v_and_b32_e32 v31, 0xf0f0f0f, v32
	v_lshrrev_b32_e32 v29, 4, v29
	v_lshrrev_b32_e32 v32, 4, v32
	s_wait_loadcnt 0x4
	v_cvt_f32_f16_e32 v27, v36
	v_lshrrev_b32_e32 v36, 16, v36
	v_cvt_f32_f16_e32 v63, v40
	v_and_b32_e32 v59, 0xf0f0f0f, v26
	v_lshrrev_b32_e32 v42, 4, v28
	v_and_b32_e32 v28, 0xf0f0f0f, v33
	v_lshrrev_b32_e32 v43, 4, v33
	s_wait_loadcnt 0x3
	v_lshrrev_b32_e32 v44, 4, v37
	v_cvt_f32_f16_e32 v58, v30
	v_dual_mul_f32 v30, v1, v63 :: v_dual_and_b32 v33, 0xf0f0f0f, v32
	v_cvt_f32_f16_e32 v32, v36
	v_and_b32_e32 v26, 0xf0f0f0f, v37
	s_delay_alu instid0(VALU_DEP_4) | instskip(SKIP_4) | instid1(VALU_DEP_4)
	v_dual_mul_f32 v64, v3, v58 :: v_dual_and_b32 v37, 0xf0f0f0f, v29
	v_dot4_i32_iu8 v29, v59, v220, 0 neg_lo:[1,1,0]
	v_and_b32_e32 v62, 0xf0f0f0f, v41
	v_dual_mul_f32 v36, v0, v57 :: v_dual_and_b32 v61, 0xf0f0f0f, v42
	v_mul_f32_e32 v42, 0x3e000000, v30
	v_cvt_f32_i32_e32 v41, v29
	v_and_b32_e32 v30, 0xf0f0f0f, v43
	v_dot4_i32_iu8 v43, v62, v222, 0 neg_lo:[1,1,0]
	v_mul_f32_e32 v60, v2, v34
	s_wait_loadcnt 0x1
	v_cvt_f32_f16_e32 v24, v39
	v_fma_f32 v41, v36, v41, v42
	v_lshrrev_b32_e32 v39, 16, v39
	v_cvt_f32_i32_e32 v43, v43
	s_delay_alu instid0(VALU_DEP_3) | instskip(SKIP_1) | instid1(VALU_DEP_3)
	v_dual_mul_f32 v64, 0x3e000000, v64 :: v_dual_add_f32 v41, 0, v41
	v_dot4_i32_iu8 v40, v56, v221, 0 neg_lo:[1,1,0]
	v_fma_f32 v43, v36, v43, v42
	s_delay_alu instid0(VALU_DEP_2) | instskip(NEXT) | instid1(VALU_DEP_1)
	v_cvt_f32_i32_e32 v40, v40
	v_fma_f32 v40, v36, v40, v42
	v_and_b32_e32 v25, 0xf0f0f0f, v38
	v_lshrrev_b32_e32 v38, 4, v38
	s_delay_alu instid0(VALU_DEP_3) | instskip(SKIP_1) | instid1(VALU_DEP_2)
	v_add_f32_e32 v40, v41, v40
	v_dot4_i32_iu8 v41, v31, v225, 0 neg_lo:[1,1,0]
	v_add_f32_e32 v40, v40, v43
	v_dot4_i32_iu8 v45, v61, v223, 0 neg_lo:[1,1,0]
	s_delay_alu instid0(VALU_DEP_1) | instskip(SKIP_3) | instid1(VALU_DEP_3)
	v_cvt_f32_i32_e32 v45, v45
	s_wait_loadcnt 0x0
	v_and_b32_e32 v23, 0xf0f0f0f, v22
	v_lshrrev_b32_e32 v22, 4, v22
	v_fmac_f32_e32 v42, v36, v45
	v_cvt_f32_f16_e32 v36, v39
	v_cvt_f32_i32_e32 v39, v41
	v_dot4_i32_iu8 v41, v37, v226, 0 neg_lo:[1,1,0]
	s_delay_alu instid0(VALU_DEP_4) | instskip(SKIP_2) | instid1(VALU_DEP_4)
	v_dual_mul_f32 v45, v5, v32 :: v_dual_add_f32 v40, v40, v42
	v_and_b32_e32 v29, 0xf0f0f0f, v44
	v_dot4_i32_iu8 v44, v35, v224, 0 neg_lo:[1,1,0]
	v_cvt_f32_i32_e32 v41, v41
	v_fma_f32 v39, v60, v39, v64
	v_mul_f32_e32 v45, 0x3e000000, v45
	s_delay_alu instid0(VALU_DEP_4) | instskip(NEXT) | instid1(VALU_DEP_4)
	v_cvt_f32_i32_e32 v44, v44
	v_fma_f32 v41, v60, v41, v64
	s_delay_alu instid0(VALU_DEP_2) | instskip(SKIP_1) | instid1(VALU_DEP_2)
	v_fma_f32 v43, v60, v44, v64
	v_dot4_i32_iu8 v44, v33, v227, 0 neg_lo:[1,1,0]
	v_add_f32_e32 v40, v40, v43
	v_mul_f32_e32 v43, v4, v27
	v_dot4_i32_iu8 v42, v28, v228, 0 neg_lo:[1,1,0]
	s_delay_alu instid0(VALU_DEP_4) | instskip(NEXT) | instid1(VALU_DEP_4)
	v_cvt_f32_i32_e32 v44, v44
	v_add_f32_e32 v39, v40, v39
	v_dot4_i32_iu8 v40, v26, v229, 0 neg_lo:[1,1,0]
	s_delay_alu instid0(VALU_DEP_4) | instskip(NEXT) | instid1(VALU_DEP_4)
	v_cvt_f32_i32_e32 v42, v42
	v_fmac_f32_e32 v64, v60, v44
	v_dot4_i32_iu8 v44, v29, v231, 0 neg_lo:[1,1,0]
	v_dual_add_f32 v39, v39, v41 :: v_dual_and_b32 v60, 0xf0f0f0f, v38
	v_cvt_f32_i32_e32 v38, v40
	v_dot4_i32_iu8 v40, v30, v230, 0 neg_lo:[1,1,0]
	v_fma_f32 v41, v43, v42, v45
	s_delay_alu instid0(VALU_DEP_4)
	v_add_f32_e32 v39, v39, v64
	v_dot4_i32_iu8 v42, v25, v232, 0 neg_lo:[1,1,0]
	v_fma_f32 v38, v43, v38, v45
	v_cvt_f32_i32_e32 v40, v40
	v_mul_f32_e32 v64, v7, v36
	v_add_f32_e32 v39, v39, v41
	v_mul_f32_e32 v41, v6, v24
	v_cvt_f32_i32_e32 v44, v44
	v_fma_f32 v40, v43, v40, v45
	v_cvt_f32_i32_e32 v42, v42
	v_add_f32_e32 v38, v39, v38
	v_dot4_i32_iu8 v39, v23, v233, 0 neg_lo:[1,1,0]
	v_fmac_f32_e32 v45, v43, v44
	s_delay_alu instid0(VALU_DEP_3)
	v_add_f32_e32 v38, v38, v40
	v_mul_f32_e32 v65, 0x3e000000, v64
	v_and_b32_e32 v64, 0xf0f0f0f, v22
	v_cvt_f32_i32_e32 v22, v39
	v_dot4_i32_iu8 v39, v60, v234, 0 neg_lo:[1,1,0]
	v_add_f32_e32 v38, v38, v45
	v_fma_f32 v40, v41, v42, v65
	v_dot4_i32_iu8 v42, v64, v235, 0 neg_lo:[1,1,0]
	v_fma_f32 v22, v41, v22, v65
	v_cvt_f32_i32_e32 v39, v39
	s_delay_alu instid0(VALU_DEP_4) | instskip(NEXT) | instid1(VALU_DEP_4)
	v_add_f32_e32 v38, v38, v40
	v_cvt_f32_i32_e32 v40, v42
	s_delay_alu instid0(VALU_DEP_3) | instskip(NEXT) | instid1(VALU_DEP_2)
	v_fma_f32 v39, v41, v39, v65
	v_dual_add_f32 v22, v38, v22 :: v_dual_fmac_f32 v65, v41, v40
	s_delay_alu instid0(VALU_DEP_1) | instskip(NEXT) | instid1(VALU_DEP_1)
	v_add_f32_e32 v22, v22, v39
	v_add_f32_e32 v22, v22, v65
	ds_bpermute_b32 v38, v71, v22
	s_wait_dscnt 0x0
	v_add_f32_e32 v22, v22, v38
	s_wait_alu 0xfffe
	s_cbranch_vccz .LBB19_19
; %bb.18:                               ;   in Loop: Header=BB19_17 Depth=1
	v_add_co_u32 v38, vcc_lo, v79, s35
	s_wait_alu 0xfffd
	v_add_co_ci_u32_e64 v39, null, s5, v80, vcc_lo
	global_load_u16 v38, v[38:39], off offset:-2
	s_wait_loadcnt 0x0
	v_fma_mix_f32 v22, v219, v38, v22 op_sel_hi:[0,1,0]
.LBB19_19:                              ;   in Loop: Header=BB19_17 Depth=1
	v_dot4_i32_iu8 v38, v59, v236, 0 neg_lo:[1,1,0]
	v_dual_mul_f32 v39, v9, v63 :: v_dual_mul_f32 v40, v8, v57
	v_dot4_i32_iu8 v41, v56, v237, 0 neg_lo:[1,1,0]
	v_dot4_i32_iu8 v42, v62, v238, 0 neg_lo:[1,1,0]
	s_delay_alu instid0(VALU_DEP_4) | instskip(NEXT) | instid1(VALU_DEP_4)
	v_cvt_f32_i32_e32 v38, v38
	v_mul_f32_e32 v39, 0x3e000000, v39
	v_dot4_i32_iu8 v43, v61, v239, 0 neg_lo:[1,1,0]
	v_cvt_f32_i32_e32 v41, v41
	v_cvt_f32_i32_e32 v42, v42
	v_dot4_i32_iu8 v31, v31, v241, 0 neg_lo:[1,1,0]
	v_fma_f32 v38, v40, v38, v39
	v_cvt_f32_i32_e32 v43, v43
	v_dot4_i32_iu8 v35, v35, v240, 0 neg_lo:[1,1,0]
	v_dot4_i32_iu8 v37, v37, v46, 0 neg_lo:[1,1,0]
	v_cvt_f32_i32_e32 v31, v31
	v_add_f32_e32 v38, 0, v38
	v_fma_f32 v41, v40, v41, v39
	v_mul_f32_e32 v44, v11, v58
	v_fma_f32 v42, v40, v42, v39
	v_dual_fmac_f32 v39, v40, v43 :: v_dual_mul_f32 v34, v10, v34
	s_delay_alu instid0(VALU_DEP_4) | instskip(NEXT) | instid1(VALU_DEP_4)
	v_dual_add_f32 v38, v38, v41 :: v_dual_mul_f32 v27, v12, v27
	v_mul_f32_e32 v41, 0x3e000000, v44
	v_cvt_f32_i32_e32 v35, v35
	v_cvt_f32_i32_e32 v37, v37
	v_dot4_i32_iu8 v33, v33, v47, 0 neg_lo:[1,1,0]
	v_dot4_i32_iu8 v28, v28, v48, 0 neg_lo:[1,1,0]
	v_fma_f32 v31, v34, v31, v41
	v_add_f32_e32 v38, v38, v42
	v_fma_f32 v35, v34, v35, v41
	v_fma_f32 v37, v34, v37, v41
	v_cvt_f32_i32_e32 v33, v33
	v_dot4_i32_iu8 v26, v26, v49, 0 neg_lo:[1,1,0]
	v_add_f32_e32 v38, v38, v39
	v_mul_f32_e32 v32, v13, v32
	v_cvt_f32_i32_e32 v28, v28
	v_dot4_i32_iu8 v30, v30, v50, 0 neg_lo:[1,1,0]
	v_cvt_f32_i32_e32 v26, v26
	s_delay_alu instid0(VALU_DEP_4) | instskip(SKIP_3) | instid1(VALU_DEP_4)
	v_dual_add_f32 v35, v38, v35 :: v_dual_mul_f32 v32, 0x3e000000, v32
	v_fmac_f32_e32 v41, v34, v33
	v_dot4_i32_iu8 v29, v29, v51, 0 neg_lo:[1,1,0]
	v_dot4_i32_iu8 v23, v23, v53, 0 neg_lo:[1,1,0]
	v_add_f32_e32 v31, v35, v31
	v_fma_f32 v28, v27, v28, v32
	v_fma_f32 v26, v27, v26, v32
	v_cvt_f32_i32_e32 v30, v30
	v_cvt_f32_i32_e32 v29, v29
	v_dual_add_f32 v31, v31, v37 :: v_dual_mul_f32 v24, v14, v24
	v_cvt_f32_i32_e32 v23, v23
	s_delay_alu instid0(VALU_DEP_4) | instskip(SKIP_1) | instid1(VALU_DEP_4)
	v_fma_f32 v30, v27, v30, v32
	v_dot4_i32_iu8 v25, v25, v52, 0 neg_lo:[1,1,0]
	v_add_f32_e32 v31, v31, v41
	s_and_not1_b32 vcc_lo, exec_lo, s9
	s_delay_alu instid0(VALU_DEP_2) | instskip(NEXT) | instid1(VALU_DEP_2)
	v_cvt_f32_i32_e32 v25, v25
	v_add_f32_e32 v28, v31, v28
	s_delay_alu instid0(VALU_DEP_1) | instskip(NEXT) | instid1(VALU_DEP_1)
	v_dual_mul_f32 v31, v15, v36 :: v_dual_add_f32 v26, v28, v26
	v_mul_f32_e32 v28, 0x3e000000, v31
	s_delay_alu instid0(VALU_DEP_1) | instskip(SKIP_3) | instid1(VALU_DEP_2)
	v_fma_f32 v23, v24, v23, v28
	v_fmac_f32_e32 v32, v27, v29
	v_dot4_i32_iu8 v27, v60, v54, 0 neg_lo:[1,1,0]
	v_fma_f32 v25, v24, v25, v28
	v_cvt_f32_i32_e32 v27, v27
	s_delay_alu instid0(VALU_DEP_1) | instskip(SKIP_1) | instid1(VALU_DEP_1)
	v_fma_f32 v27, v24, v27, v28
	v_add_f32_e32 v26, v26, v30
	v_add_f32_e32 v26, v26, v32
	s_delay_alu instid0(VALU_DEP_1) | instskip(SKIP_1) | instid1(VALU_DEP_2)
	v_add_f32_e32 v25, v26, v25
	v_dot4_i32_iu8 v26, v64, v55, 0 neg_lo:[1,1,0]
	v_add_f32_e32 v23, v25, v23
	s_delay_alu instid0(VALU_DEP_2) | instskip(NEXT) | instid1(VALU_DEP_1)
	v_cvt_f32_i32_e32 v25, v26
	v_dual_add_f32 v23, v23, v27 :: v_dual_fmac_f32 v28, v24, v25
	s_delay_alu instid0(VALU_DEP_1)
	v_add_f32_e32 v23, v23, v28
	ds_bpermute_b32 v24, v71, v23
	s_wait_dscnt 0x0
	v_add_f32_e32 v23, v23, v24
	s_wait_alu 0xfffe
	s_cbranch_vccnz .LBB19_21
; %bb.20:                               ;   in Loop: Header=BB19_17 Depth=1
	v_add_co_u32 v24, vcc_lo, v67, s35
	s_wait_alu 0xfffd
	v_add_co_ci_u32_e64 v25, null, s5, v68, vcc_lo
	global_load_u16 v24, v[24:25], off
	s_wait_loadcnt 0x0
	v_fma_mix_f32 v23, v219, v24, v23 op_sel_hi:[0,1,0]
.LBB19_21:                              ;   in Loop: Header=BB19_17 Depth=1
	v_add_co_u32 v24, vcc_lo, v77, s21
	s_wait_alu 0xfffd
	v_add_co_ci_u32_e64 v25, null, 0, v78, vcc_lo
	v_add_co_u32 v26, vcc_lo, v81, s21
	s_wait_alu 0xfffd
	v_add_co_ci_u32_e64 v27, null, 0, v82, vcc_lo
	global_load_b32 v28, v[24:25], off offset:4
	global_load_b32 v29, v[26:27], off
	s_clause 0x1
	global_load_b32 v30, v[24:25], off offset:12
	global_load_b32 v31, v[24:25], off offset:24
	global_load_b32 v32, v[26:27], off offset:20
	s_clause 0x1
	global_load_b32 v34, v[24:25], off offset:32
	global_load_b32 v35, v[24:25], off offset:44
	global_load_b32 v38, v[26:27], off offset:40
	;; [unrolled: 4-line block ×3, first 2 shown]
	global_load_b32 v24, v[24:25], off offset:72
	s_and_not1_b32 vcc_lo, exec_lo, s23
	s_wait_loadcnt 0xb
	v_lshrrev_b32_e32 v43, 4, v28
	s_wait_loadcnt 0xa
	v_lshrrev_b32_e32 v42, 16, v29
	v_cvt_f32_f16_e32 v60, v29
	s_wait_loadcnt 0x8
	v_and_b32_e32 v37, 0xf0f0f0f, v31
	s_wait_loadcnt 0x7
	v_cvt_f32_f16_e32 v36, v32
	v_lshrrev_b32_e32 v32, 16, v32
	v_lshrrev_b32_e32 v31, 4, v31
	v_cvt_f32_f16_e32 v65, v42
	v_and_b32_e32 v61, 0xf0f0f0f, v28
	v_lshrrev_b32_e32 v44, 4, v30
	s_wait_loadcnt 0x6
	v_dual_mul_f32 v62, v2, v36 :: v_dual_and_b32 v33, 0xf0f0f0f, v34
	v_lshrrev_b32_e32 v34, 4, v34
	s_wait_loadcnt 0x4
	v_cvt_f32_f16_e32 v29, v38
	v_lshrrev_b32_e32 v38, 16, v38
	v_cvt_f32_f16_e32 v59, v32
	v_and_b32_e32 v56, 0xf0f0f0f, v31
	v_mul_f32_e32 v32, v1, v65
	v_dot4_i32_iu8 v31, v61, v220, 0 neg_lo:[1,1,0]
	v_and_b32_e32 v58, 0xf0f0f0f, v30
	v_and_b32_e32 v30, 0xf0f0f0f, v35
	v_lshrrev_b32_e32 v45, 4, v35
	v_and_b32_e32 v64, 0xf0f0f0f, v43
	v_and_b32_e32 v35, 0xf0f0f0f, v34
	v_cvt_f32_f16_e32 v34, v38
	v_mul_f32_e32 v38, v0, v60
	v_and_b32_e32 v63, 0xf0f0f0f, v44
	v_cvt_f32_i32_e32 v43, v31
	v_mul_f32_e32 v44, 0x3e000000, v32
	s_wait_loadcnt 0x1
	v_cvt_f32_f16_e32 v26, v41
	v_and_b32_e32 v28, 0xf0f0f0f, v39
	v_lshrrev_b32_e32 v39, 4, v39
	v_dot4_i32_iu8 v57, v63, v223, 0 neg_lo:[1,1,0]
	v_fma_f32 v43, v38, v43, v44
	v_dual_mul_f32 v66, v3, v59 :: v_dual_and_b32 v27, 0xf0f0f0f, v40
	s_delay_alu instid0(VALU_DEP_4) | instskip(SKIP_1) | instid1(VALU_DEP_4)
	v_and_b32_e32 v31, 0xf0f0f0f, v39
	v_dot4_i32_iu8 v39, v64, v222, 0 neg_lo:[1,1,0]
	v_add_f32_e32 v43, 0, v43
	v_dot4_i32_iu8 v42, v58, v221, 0 neg_lo:[1,1,0]
	v_and_b32_e32 v32, 0xf0f0f0f, v45
	v_dot4_i32_iu8 v45, v37, v224, 0 neg_lo:[1,1,0]
	v_cvt_f32_i32_e32 v39, v39
	v_cvt_f32_i32_e32 v57, v57
	;; [unrolled: 1-line block ×3, first 2 shown]
	v_lshrrev_b32_e32 v41, 16, v41
	v_cvt_f32_i32_e32 v45, v45
	v_fma_f32 v39, v38, v39, v44
	v_mul_f32_e32 v66, 0x3e000000, v66
	v_fma_f32 v42, v38, v42, v44
	s_wait_loadcnt 0x0
	v_dual_fmac_f32 v44, v38, v57 :: v_dual_and_b32 v25, 0xf0f0f0f, v24
	v_cvt_f32_f16_e32 v57, v41
	v_dot4_i32_iu8 v41, v56, v226, 0 neg_lo:[1,1,0]
	v_add_f32_e32 v42, v43, v42
	v_dot4_i32_iu8 v43, v33, v225, 0 neg_lo:[1,1,0]
	v_lshrrev_b32_e32 v40, 4, v40
	v_lshrrev_b32_e32 v24, 4, v24
	v_cvt_f32_i32_e32 v41, v41
	v_add_f32_e32 v38, v42, v39
	v_cvt_f32_i32_e32 v39, v43
	v_fma_f32 v42, v62, v45, v66
	v_mul_f32_e32 v45, v5, v34
	v_dot4_i32_iu8 v43, v30, v228, 0 neg_lo:[1,1,0]
	v_add_f32_e32 v38, v38, v44
	v_dot4_i32_iu8 v44, v35, v227, 0 neg_lo:[1,1,0]
	v_fma_f32 v39, v62, v39, v66
	v_fma_f32 v41, v62, v41, v66
	v_cvt_f32_i32_e32 v43, v43
	v_add_f32_e32 v38, v38, v42
	v_cvt_f32_i32_e32 v44, v44
	v_mul_f32_e32 v42, v4, v29
	s_delay_alu instid0(VALU_DEP_3) | instskip(NEXT) | instid1(VALU_DEP_3)
	v_dual_mul_f32 v45, 0x3e000000, v45 :: v_dual_add_f32 v38, v38, v39
	v_fmac_f32_e32 v66, v62, v44
	v_and_b32_e32 v62, 0xf0f0f0f, v40
	v_dot4_i32_iu8 v40, v32, v230, 0 neg_lo:[1,1,0]
	v_dot4_i32_iu8 v44, v31, v231, 0 neg_lo:[1,1,0]
	v_add_f32_e32 v38, v38, v41
	v_fma_f32 v41, v42, v43, v45
	v_dot4_i32_iu8 v43, v27, v232, 0 neg_lo:[1,1,0]
	v_cvt_f32_i32_e32 v40, v40
	v_cvt_f32_i32_e32 v44, v44
	v_add_f32_e32 v38, v38, v66
	v_mul_f32_e32 v66, v7, v57
	v_cvt_f32_i32_e32 v43, v43
	v_fma_f32 v40, v42, v40, v45
	s_delay_alu instid0(VALU_DEP_4) | instskip(SKIP_4) | instid1(VALU_DEP_3)
	v_add_f32_e32 v38, v38, v41
	v_mul_f32_e32 v41, v6, v26
	v_dot4_i32_iu8 v39, v28, v229, 0 neg_lo:[1,1,0]
	v_mul_f32_e32 v72, 0x3e000000, v66
	v_and_b32_e32 v66, 0xf0f0f0f, v24
	v_cvt_f32_i32_e32 v39, v39
	s_delay_alu instid0(VALU_DEP_1) | instskip(SKIP_2) | instid1(VALU_DEP_3)
	v_fma_f32 v39, v42, v39, v45
	v_fmac_f32_e32 v45, v42, v44
	v_fma_f32 v42, v41, v43, v72
	v_add_f32_e32 v38, v38, v39
	v_dot4_i32_iu8 v39, v25, v233, 0 neg_lo:[1,1,0]
	s_delay_alu instid0(VALU_DEP_2) | instskip(NEXT) | instid1(VALU_DEP_2)
	v_add_f32_e32 v38, v38, v40
	v_cvt_f32_i32_e32 v39, v39
	v_dot4_i32_iu8 v40, v62, v234, 0 neg_lo:[1,1,0]
	s_delay_alu instid0(VALU_DEP_3) | instskip(NEXT) | instid1(VALU_DEP_3)
	v_add_f32_e32 v38, v38, v45
	v_fma_f32 v39, v41, v39, v72
	s_delay_alu instid0(VALU_DEP_3) | instskip(SKIP_1) | instid1(VALU_DEP_4)
	v_cvt_f32_i32_e32 v24, v40
	v_dot4_i32_iu8 v40, v66, v235, 0 neg_lo:[1,1,0]
	v_add_f32_e32 v38, v38, v42
	s_delay_alu instid0(VALU_DEP_3) | instskip(NEXT) | instid1(VALU_DEP_2)
	v_fma_f32 v24, v41, v24, v72
	v_add_f32_e32 v38, v38, v39
	s_delay_alu instid0(VALU_DEP_4) | instskip(NEXT) | instid1(VALU_DEP_2)
	v_cvt_f32_i32_e32 v39, v40
	v_add_f32_e32 v24, v38, v24
	s_delay_alu instid0(VALU_DEP_2) | instskip(NEXT) | instid1(VALU_DEP_1)
	v_fmac_f32_e32 v72, v41, v39
	v_add_f32_e32 v24, v24, v72
	ds_bpermute_b32 v38, v71, v24
	s_wait_dscnt 0x0
	v_add_f32_e32 v24, v24, v38
	s_wait_alu 0xfffe
	s_cbranch_vccnz .LBB19_23
; %bb.22:                               ;   in Loop: Header=BB19_17 Depth=1
	v_add_co_u32 v38, vcc_lo, v79, s35
	s_wait_alu 0xfffd
	v_add_co_ci_u32_e64 v39, null, s5, v80, vcc_lo
	global_load_u16 v38, v[38:39], off
	s_wait_loadcnt 0x0
	v_fma_mix_f32 v24, v219, v38, v24 op_sel_hi:[0,1,0]
.LBB19_23:                              ;   in Loop: Header=BB19_17 Depth=1
	v_dot4_i32_iu8 v38, v61, v236, 0 neg_lo:[1,1,0]
	v_dual_mul_f32 v39, v9, v65 :: v_dual_mul_f32 v40, v8, v60
	v_dot4_i32_iu8 v41, v58, v237, 0 neg_lo:[1,1,0]
	v_dot4_i32_iu8 v42, v64, v238, 0 neg_lo:[1,1,0]
	s_delay_alu instid0(VALU_DEP_4) | instskip(NEXT) | instid1(VALU_DEP_4)
	v_cvt_f32_i32_e32 v38, v38
	v_mul_f32_e32 v39, 0x3e000000, v39
	v_dot4_i32_iu8 v43, v63, v239, 0 neg_lo:[1,1,0]
	v_cvt_f32_i32_e32 v41, v41
	v_cvt_f32_i32_e32 v42, v42
	v_dot4_i32_iu8 v37, v37, v240, 0 neg_lo:[1,1,0]
	v_fma_f32 v38, v40, v38, v39
	v_cvt_f32_i32_e32 v43, v43
	v_dot4_i32_iu8 v33, v33, v241, 0 neg_lo:[1,1,0]
	v_dot4_i32_iu8 v35, v35, v47, 0 neg_lo:[1,1,0]
	v_cvt_f32_i32_e32 v37, v37
	v_add_f32_e32 v38, 0, v38
	v_fma_f32 v41, v40, v41, v39
	v_fma_f32 v42, v40, v42, v39
	v_dual_mul_f32 v36, v10, v36 :: v_dual_fmac_f32 v39, v40, v43
	v_dot4_i32_iu8 v40, v56, v46, 0 neg_lo:[1,1,0]
	s_delay_alu instid0(VALU_DEP_4)
	v_add_f32_e32 v38, v38, v41
	v_cvt_f32_i32_e32 v33, v33
	v_dot4_i32_iu8 v30, v30, v48, 0 neg_lo:[1,1,0]
	v_mul_f32_e32 v29, v12, v29
	v_cvt_f32_i32_e32 v35, v35
	v_add_f32_e32 v38, v38, v42
	v_dot4_i32_iu8 v28, v28, v49, 0 neg_lo:[1,1,0]
	v_cvt_f32_i32_e32 v30, v30
	v_dot4_i32_iu8 v32, v32, v50, 0 neg_lo:[1,1,0]
	v_dot4_i32_iu8 v31, v31, v51, 0 neg_lo:[1,1,0]
	v_add_f32_e32 v38, v38, v39
	v_mul_f32_e32 v44, v11, v59
	v_cvt_f32_i32_e32 v39, v40
	v_cvt_f32_i32_e32 v28, v28
	v_cvt_f32_i32_e32 v32, v32
	v_cvt_f32_i32_e32 v31, v31
	v_dual_mul_f32 v41, 0x3e000000, v44 :: v_dual_mul_f32 v34, v13, v34
	v_dot4_i32_iu8 v27, v27, v52, 0 neg_lo:[1,1,0]
	v_dot4_i32_iu8 v25, v25, v53, 0 neg_lo:[1,1,0]
	s_and_not1_b32 vcc_lo, exec_lo, s9
	s_delay_alu instid0(VALU_DEP_3) | instskip(SKIP_3) | instid1(VALU_DEP_4)
	v_fma_f32 v37, v36, v37, v41
	v_fma_f32 v33, v36, v33, v41
	v_cvt_f32_i32_e32 v27, v27
	v_cvt_f32_i32_e32 v25, v25
	v_add_f32_e32 v37, v38, v37
	v_fma_f32 v38, v36, v39, v41
	v_fmac_f32_e32 v41, v36, v35
	s_delay_alu instid0(VALU_DEP_3) | instskip(NEXT) | instid1(VALU_DEP_1)
	v_add_f32_e32 v33, v37, v33
	v_add_f32_e32 v33, v33, v38
	s_delay_alu instid0(VALU_DEP_1) | instskip(NEXT) | instid1(VALU_DEP_1)
	v_dual_mul_f32 v34, 0x3e000000, v34 :: v_dual_add_f32 v33, v33, v41
	v_fma_f32 v30, v29, v30, v34
	v_fma_f32 v28, v29, v28, v34
	v_fma_f32 v32, v29, v32, v34
	v_fmac_f32_e32 v34, v29, v31
	v_dot4_i32_iu8 v29, v62, v54, 0 neg_lo:[1,1,0]
	v_dual_add_f32 v30, v33, v30 :: v_dual_mul_f32 v33, v15, v57
	s_delay_alu instid0(VALU_DEP_2) | instskip(NEXT) | instid1(VALU_DEP_2)
	v_cvt_f32_i32_e32 v29, v29
	v_add_f32_e32 v28, v30, v28
	s_delay_alu instid0(VALU_DEP_3) | instskip(NEXT) | instid1(VALU_DEP_2)
	v_mul_f32_e32 v30, 0x3e000000, v33
	v_add_f32_e32 v28, v28, v32
	s_delay_alu instid0(VALU_DEP_1) | instskip(SKIP_1) | instid1(VALU_DEP_1)
	v_add_f32_e32 v28, v28, v34
	v_mul_f32_e32 v26, v14, v26
	v_fma_f32 v27, v26, v27, v30
	s_delay_alu instid0(VALU_DEP_1) | instskip(SKIP_3) | instid1(VALU_DEP_3)
	v_add_f32_e32 v27, v28, v27
	v_fma_f32 v25, v26, v25, v30
	v_dot4_i32_iu8 v28, v66, v55, 0 neg_lo:[1,1,0]
	v_fma_f32 v29, v26, v29, v30
	v_add_f32_e32 v25, v27, v25
	s_delay_alu instid0(VALU_DEP_3) | instskip(NEXT) | instid1(VALU_DEP_1)
	v_cvt_f32_i32_e32 v27, v28
	v_dual_add_f32 v25, v25, v29 :: v_dual_fmac_f32 v30, v26, v27
	s_delay_alu instid0(VALU_DEP_1)
	v_add_f32_e32 v25, v25, v30
	ds_bpermute_b32 v26, v71, v25
	s_wait_dscnt 0x0
	v_add_f32_e32 v25, v25, v26
	s_wait_alu 0xfffe
	s_cbranch_vccnz .LBB19_25
; %bb.24:                               ;   in Loop: Header=BB19_17 Depth=1
	v_add_co_u32 v26, vcc_lo, v85, s35
	s_wait_alu 0xfffd
	v_add_co_ci_u32_e64 v27, null, s5, v86, vcc_lo
	global_load_u16 v26, v[26:27], off
	s_wait_loadcnt 0x0
	v_fma_mix_f32 v25, v219, v26, v25 op_sel_hi:[0,1,0]
.LBB19_25:                              ;   in Loop: Header=BB19_17 Depth=1
	scratch_load_b32 v29, off, off offset:4 ; 4-byte Folded Reload
	v_dual_add_f32 v26, 0x40051340, v23 :: v_dual_add_f32 v27, 0x40051340, v25
	s_add_co_i32 s15, s15, s30
	v_add_f32_e32 v28, 0x40051340, v24
	s_cmp_ge_i32 s15, s29
	s_delay_alu instid0(VALU_DEP_2) | instskip(SKIP_1) | instid1(VALU_DEP_1)
	v_max3_num_f32 v26, v21, v26, v27
	v_add_f32_e32 v27, 0x40051340, v22
	v_max3_num_f32 v27, v20, v27, v28
	s_wait_loadcnt 0x0
	ds_bpermute_b32 v28, v29, v26
	s_wait_dscnt 0x0
	v_max_num_f32_e32 v28, v28, v28
	s_delay_alu instid0(VALU_DEP_1) | instskip(SKIP_4) | instid1(VALU_DEP_1)
	v_max_num_f32_e32 v26, v26, v28
	ds_bpermute_b32 v28, v29, v27
	scratch_load_b32 v29, off, off offset:8 ; 4-byte Folded Reload
	s_wait_dscnt 0x0
	v_max_num_f32_e32 v28, v28, v28
	v_max_num_f32_e32 v27, v27, v28
	s_wait_loadcnt 0x0
	ds_bpermute_b32 v28, v29, v26
	s_wait_dscnt 0x0
	v_max_num_f32_e32 v28, v28, v28
	s_delay_alu instid0(VALU_DEP_1) | instskip(SKIP_4) | instid1(VALU_DEP_1)
	v_max_num_f32_e32 v26, v26, v28
	ds_bpermute_b32 v28, v29, v27
	scratch_load_b32 v29, off, off offset:12 ; 4-byte Folded Reload
	s_wait_dscnt 0x0
	v_max_num_f32_e32 v28, v28, v28
	v_max_num_f32_e32 v27, v27, v28
	;; [unrolled: 11-line block ×3, first 2 shown]
	s_wait_loadcnt 0x0
	ds_bpermute_b32 v28, v29, v26
	ds_bpermute_b32 v29, v29, v27
	s_wait_dscnt 0x0
	v_dual_max_num_f32 v28, v28, v28 :: v_dual_max_num_f32 v29, v29, v29
	s_delay_alu instid0(VALU_DEP_1) | instskip(NEXT) | instid1(VALU_DEP_1)
	v_dual_max_num_f32 v57, v26, v28 :: v_dual_max_num_f32 v56, v27, v29
	v_dual_sub_f32 v21, v21, v57 :: v_dual_sub_f32 v20, v20, v56
	s_delay_alu instid0(VALU_DEP_1) | instskip(SKIP_1) | instid1(VALU_DEP_3)
	v_mul_f32_e32 v26, 0x3fb8aa3b, v21
	v_cmp_ngt_f32_e32 vcc_lo, 0xc2ce8ed0, v21
	v_cmp_ngt_f32_e64 s4, 0xc2ce8ed0, v20
	s_delay_alu instid0(VALU_DEP_3) | instskip(SKIP_1) | instid1(VALU_DEP_1)
	v_fma_f32 v27, 0x3fb8aa3b, v21, -v26
	v_rndne_f32_e32 v28, v26
	v_dual_fmac_f32 v27, 0x32a5705f, v21 :: v_dual_sub_f32 v26, v26, v28
	v_cvt_i32_f32_e32 v28, v28
	s_delay_alu instid0(VALU_DEP_2) | instskip(NEXT) | instid1(VALU_DEP_1)
	v_dual_add_f32 v26, v26, v27 :: v_dual_mul_f32 v27, 0x3fb8aa3b, v20
	v_exp_f32_e32 v26, v26
	s_delay_alu instid0(VALU_DEP_1) | instskip(SKIP_1) | instid1(VALU_DEP_2)
	v_fma_f32 v29, 0x3fb8aa3b, v20, -v27
	v_rndne_f32_e32 v30, v27
	v_fmac_f32_e32 v29, 0x32a5705f, v20
	s_delay_alu instid0(VALU_DEP_2) | instskip(NEXT) | instid1(TRANS32_DEP_1)
	v_sub_f32_e32 v27, v27, v30
	v_ldexp_f32 v26, v26, v28
	v_cvt_i32_f32_e32 v28, v30
	s_wait_alu 0xfffd
	s_delay_alu instid0(VALU_DEP_2) | instskip(SKIP_1) | instid1(VALU_DEP_2)
	v_dual_add_f32 v27, v27, v29 :: v_dual_cndmask_b32 v26, 0, v26
	v_cmp_nlt_f32_e32 vcc_lo, 0x42b17218, v21
	v_exp_f32_e32 v27, v27
	s_wait_alu 0xfffd
	s_delay_alu instid0(VALU_DEP_2) | instskip(NEXT) | instid1(TRANS32_DEP_1)
	v_cndmask_b32_e32 v220, 0x7f800000, v26, vcc_lo
	v_ldexp_f32 v27, v27, v28
	s_wait_alu 0xf1ff
	s_delay_alu instid0(VALU_DEP_1) | instskip(SKIP_2) | instid1(VALU_DEP_1)
	v_cndmask_b32_e64 v21, 0, v27, s4
	v_cmp_nlt_f32_e64 s4, 0x42b17218, v20
	s_wait_alu 0xf1ff
	v_cndmask_b32_e64 v219, 0x7f800000, v21, s4
	v_cvt_f16_f32_e64 v21, v220
	s_delay_alu instid0(VALU_DEP_2) | instskip(NEXT) | instid1(VALU_DEP_2)
	v_cvt_f16_f32_e64 v20, v219
	v_and_b32_e32 v21, 0xffff, v21
	s_delay_alu instid0(VALU_DEP_2) | instskip(NEXT) | instid1(VALU_DEP_2)
	v_and_b32_e32 v20, 0xffff, v20
	v_mul_u32_u24_e32 v21, 0x10001, v21
	s_delay_alu instid0(VALU_DEP_2) | instskip(NEXT) | instid1(VALU_DEP_2)
	v_mul_u32_u24_e32 v20, 0x10001, v20
	v_pk_mul_f16 v225, v18, v21
	v_pk_mul_f16 v224, v19, v21
	s_delay_alu instid0(VALU_DEP_3) | instskip(SKIP_3) | instid1(VALU_DEP_2)
	v_pk_mul_f16 v223, v16, v20
	v_pk_mul_f16 v222, v17, v20
	v_cndmask_b32_e64 v16, v218, v22, s1
	v_cndmask_b32_e64 v17, v25, v23, s1
	;; [unrolled: 1-line block ×3, first 2 shown]
	s_delay_alu instid0(VALU_DEP_1) | instskip(NEXT) | instid1(VALU_DEP_1)
	v_dual_sub_f32 v17, v17, v57 :: v_dual_sub_f32 v16, v16, v56
	v_mul_f32_e32 v18, 0x3fb8aa3b, v17
	v_cmp_ngt_f32_e32 vcc_lo, 0xc2ce8ed0, v17
	s_delay_alu instid0(VALU_DEP_3) | instskip(NEXT) | instid1(VALU_DEP_3)
	v_cmp_ngt_f32_e64 s4, 0xc2ce8ed0, v16
	v_fma_f32 v19, 0x3fb8aa3b, v17, -v18
	v_rndne_f32_e32 v20, v18
	s_delay_alu instid0(VALU_DEP_1) | instskip(SKIP_1) | instid1(VALU_DEP_2)
	v_dual_fmac_f32 v19, 0x32a5705f, v17 :: v_dual_sub_f32 v18, v18, v20
	v_cvt_i32_f32_e32 v20, v20
	v_dual_add_f32 v18, v18, v19 :: v_dual_mul_f32 v19, 0x3fb8aa3b, v16
	s_delay_alu instid0(VALU_DEP_1) | instskip(NEXT) | instid1(VALU_DEP_1)
	v_exp_f32_e32 v18, v18
	v_fma_f32 v21, 0x3fb8aa3b, v16, -v19
	v_rndne_f32_e32 v22, v19
	s_delay_alu instid0(VALU_DEP_1) | instskip(NEXT) | instid1(TRANS32_DEP_1)
	v_sub_f32_e32 v19, v19, v22
	v_ldexp_f32 v18, v18, v20
	s_delay_alu instid0(VALU_DEP_4) | instskip(SKIP_2) | instid1(VALU_DEP_3)
	v_fmac_f32_e32 v21, 0x32a5705f, v16
	v_cvt_i32_f32_e32 v20, v22
	s_wait_alu 0xfffd
	v_cndmask_b32_e32 v18, 0, v18, vcc_lo
	v_cmp_nlt_f32_e32 vcc_lo, 0x42b17218, v17
	v_add_f32_e32 v19, v19, v21
	s_wait_alu 0xfffd
	s_delay_alu instid0(VALU_DEP_3) | instskip(SKIP_3) | instid1(TRANS32_DEP_1)
	v_cndmask_b32_e32 v221, 0x7f800000, v18, vcc_lo
	scratch_load_b32 v18, off, off          ; 4-byte Folded Reload
	v_exp_f32_e32 v19, v19
	v_fma_f32 v69, v69, v220, v221
	v_ldexp_f32 v19, v19, v20
	s_wait_alu 0xf1ff
	s_delay_alu instid0(VALU_DEP_1) | instskip(SKIP_2) | instid1(VALU_DEP_1)
	v_cndmask_b32_e64 v17, 0, v19, s4
	v_cmp_nlt_f32_e64 s4, 0x42b17218, v16
	s_wait_alu 0xf1ff
	v_cndmask_b32_e64 v218, 0x7f800000, v17, s4
	v_cvt_f16_f32_e64 v17, v221
	s_delay_alu instid0(VALU_DEP_2)
	v_cvt_f16_f32_e64 v16, v218
	v_fma_f32 v70, v70, v219, v218
	s_wait_loadcnt 0x0
	ds_store_b16 v18, v16
	ds_store_b16 v18, v17 offset:256
	ds_load_b128 v[20:23], v76
	ds_load_b128 v[16:19], v76 offset:16
	s_wait_dscnt 0x1
	v_lshrrev_b32_e32 v232, 16, v20
	v_lshrrev_b32_e32 v230, 16, v21
	;; [unrolled: 1-line block ×4, first 2 shown]
	v_and_b32_e32 v233, 0xffff, v20
	v_and_b32_e32 v231, 0xffff, v21
	v_and_b32_e32 v229, 0xffff, v22
	v_and_b32_e32 v227, 0xffff, v23
	ds_load_b128 v[20:23], v76 offset:256
	ds_load_b128 v[24:27], v76 offset:272
	s_wait_dscnt 0x2
	v_lshrrev_b32_e32 v242, 16, v16
	v_lshrrev_b32_e32 v238, 16, v17
	v_and_b32_e32 v244, 0xffff, v16
	v_lshrrev_b32_e32 v234, 16, v18
	v_and_b32_e32 v240, 0xffff, v17
	v_and_b32_e32 v236, 0xffff, v18
	s_wait_dscnt 0x1
	v_lshrrev_b32_e32 v254, 16, v20
	v_lshrrev_b32_e32 v248, 16, v22
	v_and_b32_e32 v64, 0xffff, v20
	v_and_b32_e32 v249, 0xffff, v22
	v_lshrrev_b32_e32 v20, 16, v19
	v_and_b32_e32 v22, 0xffff, v19
	ds_load_b128 v[16:19], v76 offset:32
	ds_load_b128 v[37:40], v76 offset:48
	s_wait_dscnt 0x2
	v_lshrrev_b32_e32 v235, 16, v26
	v_and_b32_e32 v237, 0xffff, v26
	v_lshrrev_b32_e32 v250, 16, v21
	v_lshrrev_b32_e32 v246, 16, v23
	v_and_b32_e32 v252, 0xffff, v21
	v_and_b32_e32 v247, 0xffff, v23
	v_lshrrev_b32_e32 v243, 16, v24
	v_lshrrev_b32_e32 v21, 16, v27
	v_and_b32_e32 v245, 0xffff, v24
	v_and_b32_e32 v23, 0xffff, v27
	v_lshrrev_b32_e32 v239, 16, v25
	v_and_b32_e32 v241, 0xffff, v25
	v_mul_u32_u24_e32 v22, 0x10001, v22
	v_mul_u32_u24_e32 v20, 0x10001, v20
	;; [unrolled: 1-line block ×4, first 2 shown]
	s_wait_dscnt 0x1
	v_lshrrev_b32_e32 v24, 16, v16
	s_wait_dscnt 0x0
	v_lshrrev_b32_e32 v75, 16, v37
	v_and_b32_e32 v26, 0xffff, v37
	v_add_co_u32 v37, vcc_lo, v89, s20
	v_lshrrev_b32_e32 v59, 16, v38
	v_and_b32_e32 v72, 0xffff, v38
	s_wait_alu 0xfffd
	v_add_co_ci_u32_e64 v38, null, 0, v90, vcc_lo
	v_lshrrev_b32_e32 v62, 16, v17
	v_and_b32_e32 v27, 0xffff, v16
	v_lshrrev_b32_e32 v60, 16, v18
	v_lshrrev_b32_e32 v251, 16, v19
	v_and_b32_e32 v73, 0xffff, v17
	v_and_b32_e32 v66, 0xffff, v18
	;; [unrolled: 1-line block ×3, first 2 shown]
	ds_load_b128 v[16:19], v76 offset:288
	ds_load_b128 v[41:44], v76 offset:304
	v_lshrrev_b32_e32 v255, 16, v39
	v_and_b32_e32 v61, 0xffff, v39
	global_load_b32 v39, v[37:38], off
	v_add_co_u32 v37, vcc_lo, v87, s20
	s_wait_alu 0xfffd
	v_add_co_ci_u32_e64 v38, null, 0, v88, vcc_lo
	global_load_u16 v37, v[37:38], off
	s_wait_dscnt 0x1
	v_lshrrev_b32_e32 v35, 16, v16
	v_lshrrev_b32_e32 v31, 16, v18
	v_and_b32_e32 v36, 0xffff, v16
	v_and_b32_e32 v32, 0xffff, v18
	v_lshrrev_b32_e32 v16, 16, v40
	v_and_b32_e32 v18, 0xffff, v40
	s_wait_dscnt 0x0
	v_lshrrev_b32_e32 v25, 16, v41
	v_lshrrev_b32_e32 v65, 16, v42
	v_and_b32_e32 v28, 0xffff, v41
	v_and_b32_e32 v74, 0xffff, v42
	v_lshrrev_b32_e32 v63, 16, v43
	v_and_b32_e32 v58, 0xffff, v43
	v_lshrrev_b32_e32 v33, 16, v17
	v_lshrrev_b32_e32 v29, 16, v19
	v_and_b32_e32 v34, 0xffff, v17
	v_and_b32_e32 v30, 0xffff, v19
	v_lshrrev_b32_e32 v17, 16, v44
	v_and_b32_e32 v19, 0xffff, v44
	v_mul_u32_u24_e32 v33, 0x10001, v33
	v_mul_u32_u24_e32 v34, 0x10001, v34
	;; [unrolled: 1-line block ×9, first 2 shown]
	s_wait_loadcnt 0x1
	v_ashrrev_i32_e32 v38, v217, v39
	s_delay_alu instid0(VALU_DEP_1) | instskip(SKIP_2) | instid1(VALU_DEP_2)
	v_and_b32_e32 v38, 0xf0f0f0f, v38
	s_wait_loadcnt 0x0
	v_mul_u32_u24_e32 v37, 0x10001, v37
	v_lshlrev_b16 v39, 8, v38
	v_and_b32_e32 v40, 0xf00, v38
	v_lshrrev_b32_e32 v38, 16, v38
	s_delay_alu instid0(VALU_DEP_3) | instskip(NEXT) | instid1(VALU_DEP_1)
	v_add_nc_u16 v39, 0xf800, v39
	v_lshrrev_b16 v39, 8, v39
	s_delay_alu instid0(VALU_DEP_1) | instskip(NEXT) | instid1(VALU_DEP_4)
	v_or_b32_e32 v39, v40, v39
	v_lshlrev_b16 v40, 8, v38
	v_and_b32_e32 v38, 0xf00, v38
	s_delay_alu instid0(VALU_DEP_3) | instskip(NEXT) | instid1(VALU_DEP_3)
	v_add_nc_u16 v39, 0xf800, v39
	v_add_nc_u16 v40, 0xf800, v40
	s_delay_alu instid0(VALU_DEP_1) | instskip(NEXT) | instid1(VALU_DEP_1)
	v_lshrrev_b16 v40, 8, v40
	v_or_b32_e32 v38, v38, v40
	s_delay_alu instid0(VALU_DEP_4) | instskip(SKIP_1) | instid1(VALU_DEP_3)
	v_lshrrev_b32_e32 v40, 8, v39
	v_bfe_i32 v39, v39, 0, 8
	v_add_nc_u16 v38, 0xf800, v38
	s_delay_alu instid0(VALU_DEP_3) | instskip(NEXT) | instid1(VALU_DEP_3)
	v_bfe_i32 v40, v40, 0, 8
	v_cvt_f16_i16_e32 v39, v39
	s_delay_alu instid0(VALU_DEP_2) | instskip(NEXT) | instid1(VALU_DEP_1)
	v_cvt_f16_i16_e32 v40, v40
	v_pack_b32_f16 v39, v39, v40
	v_lshrrev_b32_e32 v40, 8, v38
	v_bfe_i32 v38, v38, 0, 8
	s_delay_alu instid0(VALU_DEP_3) | instskip(NEXT) | instid1(VALU_DEP_3)
	v_pk_mul_f16 v39, v39, v37
	v_bfe_i32 v40, v40, 0, 8
	s_delay_alu instid0(VALU_DEP_3) | instskip(NEXT) | instid1(VALU_DEP_2)
	v_cvt_f16_i16_e32 v38, v38
	v_cvt_f16_i16_e32 v40, v40
	s_delay_alu instid0(VALU_DEP_1) | instskip(SKIP_1) | instid1(VALU_DEP_2)
	v_pack_b32_f16 v38, v38, v40
	v_mul_u32_u24_e32 v40, 0x10001, v64
	v_pk_mul_f16 v37, v38, v37
	v_mul_u32_u24_e32 v38, 0x10001, v233
	s_delay_alu instid0(VALU_DEP_1) | instskip(NEXT) | instid1(VALU_DEP_4)
	v_pk_fma_f16 v41, v39, v38, v223
	v_pk_fma_f16 v39, v39, v40, v225
	s_delay_alu instid0(VALU_DEP_4)
	v_pk_fma_f16 v42, v37, v38, v222
	v_pk_fma_f16 v40, v37, v40, v224
	v_add_co_u32 v37, vcc_lo, v213, s20
	s_wait_alu 0xfffd
	v_add_co_ci_u32_e64 v38, null, 0, v214, vcc_lo
	global_load_b32 v43, v[37:38], off
	v_add_co_u32 v37, vcc_lo, v215, s20
	s_wait_alu 0xfffd
	v_add_co_ci_u32_e64 v38, null, 0, v216, vcc_lo
	global_load_u16 v37, v[37:38], off
	s_wait_loadcnt 0x1
	v_ashrrev_i32_e32 v38, v217, v43
	s_delay_alu instid0(VALU_DEP_1) | instskip(SKIP_2) | instid1(VALU_DEP_2)
	v_and_b32_e32 v38, 0xf0f0f0f, v38
	s_wait_loadcnt 0x0
	v_mul_u32_u24_e32 v37, 0x10001, v37
	v_lshlrev_b16 v43, 8, v38
	v_and_b32_e32 v44, 0xf00, v38
	v_lshrrev_b32_e32 v38, 16, v38
	s_delay_alu instid0(VALU_DEP_3) | instskip(NEXT) | instid1(VALU_DEP_1)
	v_add_nc_u16 v43, 0xf800, v43
	v_lshrrev_b16 v43, 8, v43
	s_delay_alu instid0(VALU_DEP_1) | instskip(NEXT) | instid1(VALU_DEP_4)
	v_or_b32_e32 v43, v44, v43
	v_lshlrev_b16 v44, 8, v38
	v_and_b32_e32 v38, 0xf00, v38
	s_delay_alu instid0(VALU_DEP_3) | instskip(NEXT) | instid1(VALU_DEP_3)
	v_add_nc_u16 v43, 0xf800, v43
	v_add_nc_u16 v44, 0xf800, v44
	s_delay_alu instid0(VALU_DEP_1) | instskip(NEXT) | instid1(VALU_DEP_1)
	v_lshrrev_b16 v44, 8, v44
	v_or_b32_e32 v38, v38, v44
	s_delay_alu instid0(VALU_DEP_4) | instskip(SKIP_1) | instid1(VALU_DEP_3)
	v_lshrrev_b32_e32 v44, 8, v43
	v_bfe_i32 v43, v43, 0, 8
	v_add_nc_u16 v38, 0xf800, v38
	s_delay_alu instid0(VALU_DEP_3) | instskip(NEXT) | instid1(VALU_DEP_3)
	v_bfe_i32 v44, v44, 0, 8
	v_cvt_f16_i16_e32 v43, v43
	s_delay_alu instid0(VALU_DEP_2) | instskip(NEXT) | instid1(VALU_DEP_1)
	v_cvt_f16_i16_e32 v44, v44
	v_pack_b32_f16 v43, v43, v44
	v_lshrrev_b32_e32 v44, 8, v38
	v_bfe_i32 v38, v38, 0, 8
	s_delay_alu instid0(VALU_DEP_3) | instskip(NEXT) | instid1(VALU_DEP_3)
	v_pk_mul_f16 v43, v43, v37
	v_bfe_i32 v44, v44, 0, 8
	s_delay_alu instid0(VALU_DEP_3) | instskip(NEXT) | instid1(VALU_DEP_2)
	v_cvt_f16_i16_e32 v38, v38
	v_cvt_f16_i16_e32 v44, v44
	s_delay_alu instid0(VALU_DEP_1) | instskip(SKIP_1) | instid1(VALU_DEP_2)
	v_pack_b32_f16 v38, v38, v44
	v_mul_u32_u24_e32 v44, 0x10001, v254
	v_pk_mul_f16 v37, v38, v37
	v_mul_u32_u24_e32 v38, 0x10001, v232
	s_delay_alu instid0(VALU_DEP_3) | instskip(NEXT) | instid1(VALU_DEP_3)
	v_pk_fma_f16 v39, v43, v44, v39
	v_pk_fma_f16 v40, v37, v44, v40
	s_delay_alu instid0(VALU_DEP_3)
	v_pk_fma_f16 v42, v37, v38, v42
	v_add_co_u32 v37, vcc_lo, v209, s20
	v_pk_fma_f16 v41, v43, v38, v41
	s_wait_alu 0xfffd
	v_add_co_ci_u32_e64 v38, null, 0, v210, vcc_lo
	global_load_b32 v43, v[37:38], off
	v_add_co_u32 v37, vcc_lo, v211, s20
	s_wait_alu 0xfffd
	v_add_co_ci_u32_e64 v38, null, 0, v212, vcc_lo
	global_load_u16 v37, v[37:38], off
	s_wait_loadcnt 0x1
	v_ashrrev_i32_e32 v38, v217, v43
	s_delay_alu instid0(VALU_DEP_1) | instskip(SKIP_2) | instid1(VALU_DEP_2)
	v_and_b32_e32 v38, 0xf0f0f0f, v38
	s_wait_loadcnt 0x0
	v_mul_u32_u24_e32 v37, 0x10001, v37
	v_lshlrev_b16 v43, 8, v38
	v_and_b32_e32 v44, 0xf00, v38
	v_lshrrev_b32_e32 v38, 16, v38
	s_delay_alu instid0(VALU_DEP_3) | instskip(NEXT) | instid1(VALU_DEP_1)
	v_add_nc_u16 v43, 0xf800, v43
	v_lshrrev_b16 v43, 8, v43
	s_delay_alu instid0(VALU_DEP_1) | instskip(NEXT) | instid1(VALU_DEP_4)
	v_or_b32_e32 v43, v44, v43
	v_lshlrev_b16 v44, 8, v38
	v_and_b32_e32 v38, 0xf00, v38
	s_delay_alu instid0(VALU_DEP_3) | instskip(NEXT) | instid1(VALU_DEP_3)
	v_add_nc_u16 v43, 0xf800, v43
	v_add_nc_u16 v44, 0xf800, v44
	s_delay_alu instid0(VALU_DEP_1) | instskip(NEXT) | instid1(VALU_DEP_1)
	v_lshrrev_b16 v44, 8, v44
	v_or_b32_e32 v38, v38, v44
	s_delay_alu instid0(VALU_DEP_4) | instskip(SKIP_1) | instid1(VALU_DEP_3)
	v_lshrrev_b32_e32 v44, 8, v43
	v_bfe_i32 v43, v43, 0, 8
	v_add_nc_u16 v38, 0xf800, v38
	s_delay_alu instid0(VALU_DEP_3) | instskip(NEXT) | instid1(VALU_DEP_3)
	v_bfe_i32 v44, v44, 0, 8
	v_cvt_f16_i16_e32 v43, v43
	s_delay_alu instid0(VALU_DEP_2) | instskip(NEXT) | instid1(VALU_DEP_1)
	v_cvt_f16_i16_e32 v44, v44
	v_pack_b32_f16 v43, v43, v44
	v_lshrrev_b32_e32 v44, 8, v38
	v_bfe_i32 v38, v38, 0, 8
	s_delay_alu instid0(VALU_DEP_3) | instskip(NEXT) | instid1(VALU_DEP_3)
	v_pk_mul_f16 v43, v43, v37
	v_bfe_i32 v44, v44, 0, 8
	s_delay_alu instid0(VALU_DEP_3) | instskip(NEXT) | instid1(VALU_DEP_2)
	v_cvt_f16_i16_e32 v38, v38
	v_cvt_f16_i16_e32 v44, v44
	s_delay_alu instid0(VALU_DEP_1) | instskip(SKIP_1) | instid1(VALU_DEP_2)
	v_pack_b32_f16 v38, v38, v44
	v_mul_u32_u24_e32 v44, 0x10001, v252
	v_pk_mul_f16 v37, v38, v37
	v_mul_u32_u24_e32 v38, 0x10001, v231
	s_delay_alu instid0(VALU_DEP_3) | instskip(NEXT) | instid1(VALU_DEP_3)
	v_pk_fma_f16 v39, v43, v44, v39
	v_pk_fma_f16 v40, v37, v44, v40
	s_delay_alu instid0(VALU_DEP_3)
	v_pk_fma_f16 v42, v37, v38, v42
	v_add_co_u32 v37, vcc_lo, v205, s20
	v_pk_fma_f16 v41, v43, v38, v41
	;; [unrolled: 59-line block ×13, first 2 shown]
	s_wait_alu 0xfffd
	v_add_co_ci_u32_e64 v38, null, 0, v162, vcc_lo
	global_load_b32 v43, v[37:38], off
	v_add_co_u32 v37, vcc_lo, v163, s20
	s_wait_alu 0xfffd
	v_add_co_ci_u32_e64 v38, null, 0, v164, vcc_lo
	global_load_u16 v37, v[37:38], off
	s_wait_loadcnt 0x1
	v_ashrrev_i32_e32 v38, v217, v43
	s_delay_alu instid0(VALU_DEP_1) | instskip(SKIP_2) | instid1(VALU_DEP_2)
	v_and_b32_e32 v38, 0xf0f0f0f, v38
	s_wait_loadcnt 0x0
	v_mul_u32_u24_e32 v37, 0x10001, v37
	v_lshlrev_b16 v43, 8, v38
	v_and_b32_e32 v44, 0xf00, v38
	v_lshrrev_b32_e32 v38, 16, v38
	s_delay_alu instid0(VALU_DEP_3) | instskip(NEXT) | instid1(VALU_DEP_1)
	v_add_nc_u16 v43, 0xf800, v43
	v_lshrrev_b16 v43, 8, v43
	s_delay_alu instid0(VALU_DEP_1) | instskip(NEXT) | instid1(VALU_DEP_4)
	v_or_b32_e32 v43, v44, v43
	v_lshlrev_b16 v44, 8, v38
	v_and_b32_e32 v38, 0xf00, v38
	s_delay_alu instid0(VALU_DEP_3) | instskip(NEXT) | instid1(VALU_DEP_3)
	v_add_nc_u16 v43, 0xf800, v43
	v_add_nc_u16 v44, 0xf800, v44
	s_delay_alu instid0(VALU_DEP_1) | instskip(NEXT) | instid1(VALU_DEP_1)
	v_lshrrev_b16 v44, 8, v44
	v_or_b32_e32 v38, v38, v44
	s_delay_alu instid0(VALU_DEP_4) | instskip(SKIP_1) | instid1(VALU_DEP_3)
	v_lshrrev_b32_e32 v44, 8, v43
	v_bfe_i32 v43, v43, 0, 8
	v_add_nc_u16 v38, 0xf800, v38
	s_delay_alu instid0(VALU_DEP_3) | instskip(NEXT) | instid1(VALU_DEP_3)
	v_bfe_i32 v44, v44, 0, 8
	v_cvt_f16_i16_e32 v43, v43
	s_delay_alu instid0(VALU_DEP_2) | instskip(NEXT) | instid1(VALU_DEP_1)
	v_cvt_f16_i16_e32 v44, v44
	v_pack_b32_f16 v43, v43, v44
	v_lshrrev_b32_e32 v44, 8, v38
	v_bfe_i32 v38, v38, 0, 8
	s_delay_alu instid0(VALU_DEP_3) | instskip(NEXT) | instid1(VALU_DEP_3)
	v_pk_mul_f16 v43, v43, v37
	v_bfe_i32 v44, v44, 0, 8
	s_delay_alu instid0(VALU_DEP_3) | instskip(NEXT) | instid1(VALU_DEP_3)
	v_cvt_f16_i16_e32 v38, v38
	v_pk_fma_f16 v39, v43, v23, v39
	s_delay_alu instid0(VALU_DEP_3) | instskip(NEXT) | instid1(VALU_DEP_1)
	v_cvt_f16_i16_e32 v44, v44
	v_pack_b32_f16 v38, v38, v44
	s_delay_alu instid0(VALU_DEP_1) | instskip(SKIP_1) | instid1(VALU_DEP_2)
	v_pk_mul_f16 v37, v38, v37
	v_pk_fma_f16 v38, v43, v22, v41
	v_pk_fma_f16 v41, v37, v22, v42
	v_add_co_u32 v22, vcc_lo, v157, s20
	v_pk_fma_f16 v37, v37, v23, v40
	s_wait_alu 0xfffd
	v_add_co_ci_u32_e64 v23, null, 0, v158, vcc_lo
	global_load_b32 v40, v[22:23], off
	v_add_co_u32 v22, vcc_lo, v159, s20
	s_wait_alu 0xfffd
	v_add_co_ci_u32_e64 v23, null, 0, v160, vcc_lo
	global_load_u16 v22, v[22:23], off
	s_wait_loadcnt 0x1
	v_ashrrev_i32_e32 v23, v217, v40
	s_delay_alu instid0(VALU_DEP_1) | instskip(SKIP_2) | instid1(VALU_DEP_2)
	v_and_b32_e32 v23, 0xf0f0f0f, v23
	s_wait_loadcnt 0x0
	v_mul_u32_u24_e32 v22, 0x10001, v22
	v_lshlrev_b16 v40, 8, v23
	v_and_b32_e32 v42, 0xf00, v23
	v_lshrrev_b32_e32 v23, 16, v23
	s_delay_alu instid0(VALU_DEP_3) | instskip(NEXT) | instid1(VALU_DEP_1)
	v_add_nc_u16 v40, 0xf800, v40
	v_lshrrev_b16 v40, 8, v40
	s_delay_alu instid0(VALU_DEP_1) | instskip(NEXT) | instid1(VALU_DEP_4)
	v_or_b32_e32 v40, v42, v40
	v_lshlrev_b16 v42, 8, v23
	v_and_b32_e32 v23, 0xf00, v23
	s_delay_alu instid0(VALU_DEP_3) | instskip(NEXT) | instid1(VALU_DEP_3)
	v_add_nc_u16 v40, 0xf800, v40
	v_add_nc_u16 v42, 0xf800, v42
	s_delay_alu instid0(VALU_DEP_1) | instskip(NEXT) | instid1(VALU_DEP_1)
	v_lshrrev_b16 v42, 8, v42
	v_or_b32_e32 v23, v23, v42
	s_delay_alu instid0(VALU_DEP_4) | instskip(SKIP_1) | instid1(VALU_DEP_3)
	v_lshrrev_b32_e32 v42, 8, v40
	v_bfe_i32 v40, v40, 0, 8
	v_add_nc_u16 v23, 0xf800, v23
	s_delay_alu instid0(VALU_DEP_3) | instskip(NEXT) | instid1(VALU_DEP_3)
	v_bfe_i32 v42, v42, 0, 8
	v_cvt_f16_i16_e32 v40, v40
	s_delay_alu instid0(VALU_DEP_2) | instskip(NEXT) | instid1(VALU_DEP_1)
	v_cvt_f16_i16_e32 v42, v42
	v_pack_b32_f16 v40, v40, v42
	v_lshrrev_b32_e32 v42, 8, v23
	v_bfe_i32 v23, v23, 0, 8
	s_delay_alu instid0(VALU_DEP_3) | instskip(NEXT) | instid1(VALU_DEP_3)
	v_pk_mul_f16 v40, v40, v22
	v_bfe_i32 v42, v42, 0, 8
	s_delay_alu instid0(VALU_DEP_3) | instskip(NEXT) | instid1(VALU_DEP_2)
	v_cvt_f16_i16_e32 v23, v23
	v_cvt_f16_i16_e32 v42, v42
	s_delay_alu instid0(VALU_DEP_1) | instskip(NEXT) | instid1(VALU_DEP_1)
	v_pack_b32_f16 v23, v23, v42
	v_pk_mul_f16 v22, v23, v22
	v_pk_fma_f16 v23, v40, v20, v38
	v_pk_fma_f16 v38, v40, v21, v39
	s_delay_alu instid0(VALU_DEP_3)
	v_pk_fma_f16 v39, v22, v20, v41
	v_add_co_u32 v20, vcc_lo, v153, s20
	v_pk_fma_f16 v22, v22, v21, v37
	s_wait_alu 0xfffd
	v_add_co_ci_u32_e64 v21, null, 0, v154, vcc_lo
	global_load_b32 v37, v[20:21], off
	v_add_co_u32 v20, vcc_lo, v155, s20
	s_wait_alu 0xfffd
	v_add_co_ci_u32_e64 v21, null, 0, v156, vcc_lo
	global_load_u16 v20, v[20:21], off
	s_wait_loadcnt 0x1
	v_ashrrev_i32_e32 v21, v217, v37
	s_delay_alu instid0(VALU_DEP_1) | instskip(SKIP_2) | instid1(VALU_DEP_2)
	v_and_b32_e32 v21, 0xf0f0f0f, v21
	s_wait_loadcnt 0x0
	v_mul_u32_u24_e32 v20, 0x10001, v20
	v_lshlrev_b16 v37, 8, v21
	v_and_b32_e32 v40, 0xf00, v21
	v_lshrrev_b32_e32 v21, 16, v21
	s_delay_alu instid0(VALU_DEP_3) | instskip(NEXT) | instid1(VALU_DEP_1)
	v_add_nc_u16 v37, 0xf800, v37
	v_lshrrev_b16 v37, 8, v37
	s_delay_alu instid0(VALU_DEP_1) | instskip(NEXT) | instid1(VALU_DEP_4)
	v_or_b32_e32 v37, v40, v37
	v_lshlrev_b16 v40, 8, v21
	v_and_b32_e32 v21, 0xf00, v21
	s_delay_alu instid0(VALU_DEP_3) | instskip(NEXT) | instid1(VALU_DEP_3)
	v_add_nc_u16 v37, 0xf800, v37
	v_add_nc_u16 v40, 0xf800, v40
	s_delay_alu instid0(VALU_DEP_1) | instskip(NEXT) | instid1(VALU_DEP_1)
	v_lshrrev_b16 v40, 8, v40
	v_or_b32_e32 v21, v21, v40
	s_delay_alu instid0(VALU_DEP_4) | instskip(SKIP_1) | instid1(VALU_DEP_3)
	v_lshrrev_b32_e32 v40, 8, v37
	v_bfe_i32 v37, v37, 0, 8
	v_add_nc_u16 v21, 0xf800, v21
	s_delay_alu instid0(VALU_DEP_3) | instskip(NEXT) | instid1(VALU_DEP_3)
	v_bfe_i32 v40, v40, 0, 8
	v_cvt_f16_i16_e32 v37, v37
	s_delay_alu instid0(VALU_DEP_2) | instskip(NEXT) | instid1(VALU_DEP_1)
	v_cvt_f16_i16_e32 v40, v40
	v_pack_b32_f16 v37, v37, v40
	v_lshrrev_b32_e32 v40, 8, v21
	v_bfe_i32 v21, v21, 0, 8
	s_delay_alu instid0(VALU_DEP_3) | instskip(NEXT) | instid1(VALU_DEP_3)
	v_pk_mul_f16 v37, v37, v20
	v_bfe_i32 v40, v40, 0, 8
	s_delay_alu instid0(VALU_DEP_3) | instskip(NEXT) | instid1(VALU_DEP_2)
	v_cvt_f16_i16_e32 v21, v21
	v_cvt_f16_i16_e32 v40, v40
	s_delay_alu instid0(VALU_DEP_1) | instskip(NEXT) | instid1(VALU_DEP_1)
	v_pack_b32_f16 v21, v21, v40
	v_pk_mul_f16 v20, v21, v20
	v_mul_u32_u24_e32 v21, 0x10001, v27
	v_mul_u32_u24_e32 v27, 0x10001, v36
	s_delay_alu instid0(VALU_DEP_2) | instskip(NEXT) | instid1(VALU_DEP_2)
	v_pk_fma_f16 v23, v37, v21, v23
	v_pk_fma_f16 v36, v37, v27, v38
	;; [unrolled: 1-line block ×4, first 2 shown]
	v_add_co_u32 v20, vcc_lo, v149, s20
	s_wait_alu 0xfffd
	v_add_co_ci_u32_e64 v21, null, 0, v150, vcc_lo
	global_load_b32 v27, v[20:21], off
	v_add_co_u32 v20, vcc_lo, v151, s20
	s_wait_alu 0xfffd
	v_add_co_ci_u32_e64 v21, null, 0, v152, vcc_lo
	global_load_u16 v20, v[20:21], off
	s_wait_loadcnt 0x1
	v_ashrrev_i32_e32 v21, v217, v27
	s_delay_alu instid0(VALU_DEP_1) | instskip(SKIP_2) | instid1(VALU_DEP_2)
	v_and_b32_e32 v21, 0xf0f0f0f, v21
	s_wait_loadcnt 0x0
	v_mul_u32_u24_e32 v20, 0x10001, v20
	v_lshlrev_b16 v27, 8, v21
	v_and_b32_e32 v38, 0xf00, v21
	v_lshrrev_b32_e32 v21, 16, v21
	s_delay_alu instid0(VALU_DEP_3) | instskip(NEXT) | instid1(VALU_DEP_1)
	v_add_nc_u16 v27, 0xf800, v27
	v_lshrrev_b16 v27, 8, v27
	s_delay_alu instid0(VALU_DEP_1) | instskip(NEXT) | instid1(VALU_DEP_4)
	v_or_b32_e32 v27, v38, v27
	v_lshlrev_b16 v38, 8, v21
	v_and_b32_e32 v21, 0xf00, v21
	s_delay_alu instid0(VALU_DEP_3) | instskip(NEXT) | instid1(VALU_DEP_3)
	v_add_nc_u16 v27, 0xf800, v27
	v_add_nc_u16 v38, 0xf800, v38
	s_delay_alu instid0(VALU_DEP_1) | instskip(NEXT) | instid1(VALU_DEP_1)
	v_lshrrev_b16 v38, 8, v38
	v_or_b32_e32 v21, v21, v38
	s_delay_alu instid0(VALU_DEP_4) | instskip(SKIP_1) | instid1(VALU_DEP_3)
	v_lshrrev_b32_e32 v38, 8, v27
	v_bfe_i32 v27, v27, 0, 8
	v_add_nc_u16 v21, 0xf800, v21
	s_delay_alu instid0(VALU_DEP_3) | instskip(NEXT) | instid1(VALU_DEP_3)
	v_bfe_i32 v38, v38, 0, 8
	v_cvt_f16_i16_e32 v27, v27
	s_delay_alu instid0(VALU_DEP_2) | instskip(NEXT) | instid1(VALU_DEP_1)
	v_cvt_f16_i16_e32 v38, v38
	v_pack_b32_f16 v27, v27, v38
	v_lshrrev_b32_e32 v38, 8, v21
	v_bfe_i32 v21, v21, 0, 8
	s_delay_alu instid0(VALU_DEP_3) | instskip(NEXT) | instid1(VALU_DEP_3)
	v_pk_mul_f16 v27, v27, v20
	v_bfe_i32 v38, v38, 0, 8
	s_delay_alu instid0(VALU_DEP_3) | instskip(NEXT) | instid1(VALU_DEP_2)
	v_cvt_f16_i16_e32 v21, v21
	v_cvt_f16_i16_e32 v38, v38
	s_delay_alu instid0(VALU_DEP_1) | instskip(NEXT) | instid1(VALU_DEP_1)
	v_pack_b32_f16 v21, v21, v38
	v_pk_mul_f16 v20, v21, v20
	v_mul_u32_u24_e32 v21, 0x10001, v24
	v_mul_u32_u24_e32 v24, 0x10001, v35
	s_delay_alu instid0(VALU_DEP_2) | instskip(NEXT) | instid1(VALU_DEP_2)
	v_pk_fma_f16 v35, v20, v21, v37
	v_pk_fma_f16 v22, v20, v24, v22
	v_add_co_u32 v20, vcc_lo, v145, s20
	v_pk_fma_f16 v23, v27, v21, v23
	s_wait_alu 0xfffd
	v_add_co_ci_u32_e64 v21, null, 0, v146, vcc_lo
	v_pk_fma_f16 v27, v27, v24, v36
	global_load_b32 v24, v[20:21], off
	v_add_co_u32 v20, vcc_lo, v147, s20
	s_wait_alu 0xfffd
	v_add_co_ci_u32_e64 v21, null, 0, v148, vcc_lo
	global_load_u16 v20, v[20:21], off
	s_wait_loadcnt 0x1
	v_ashrrev_i32_e32 v21, v217, v24
	s_delay_alu instid0(VALU_DEP_1) | instskip(SKIP_2) | instid1(VALU_DEP_2)
	v_and_b32_e32 v21, 0xf0f0f0f, v21
	s_wait_loadcnt 0x0
	v_mul_u32_u24_e32 v20, 0x10001, v20
	v_lshlrev_b16 v24, 8, v21
	v_and_b32_e32 v36, 0xf00, v21
	v_lshrrev_b32_e32 v21, 16, v21
	s_delay_alu instid0(VALU_DEP_3) | instskip(NEXT) | instid1(VALU_DEP_1)
	v_add_nc_u16 v24, 0xf800, v24
	v_lshrrev_b16 v24, 8, v24
	s_delay_alu instid0(VALU_DEP_1) | instskip(NEXT) | instid1(VALU_DEP_4)
	v_or_b32_e32 v24, v36, v24
	v_lshlrev_b16 v36, 8, v21
	v_and_b32_e32 v21, 0xf00, v21
	s_delay_alu instid0(VALU_DEP_3) | instskip(NEXT) | instid1(VALU_DEP_3)
	v_add_nc_u16 v24, 0xf800, v24
	v_add_nc_u16 v36, 0xf800, v36
	s_delay_alu instid0(VALU_DEP_1) | instskip(NEXT) | instid1(VALU_DEP_1)
	v_lshrrev_b16 v36, 8, v36
	v_or_b32_e32 v21, v21, v36
	s_delay_alu instid0(VALU_DEP_4) | instskip(SKIP_1) | instid1(VALU_DEP_3)
	v_lshrrev_b32_e32 v36, 8, v24
	v_bfe_i32 v24, v24, 0, 8
	v_add_nc_u16 v21, 0xf800, v21
	s_delay_alu instid0(VALU_DEP_3) | instskip(NEXT) | instid1(VALU_DEP_3)
	v_bfe_i32 v36, v36, 0, 8
	v_cvt_f16_i16_e32 v24, v24
	s_delay_alu instid0(VALU_DEP_2) | instskip(NEXT) | instid1(VALU_DEP_1)
	v_cvt_f16_i16_e32 v36, v36
	v_pack_b32_f16 v24, v24, v36
	v_lshrrev_b32_e32 v36, 8, v21
	v_bfe_i32 v21, v21, 0, 8
	s_delay_alu instid0(VALU_DEP_3) | instskip(NEXT) | instid1(VALU_DEP_3)
	v_pk_mul_f16 v24, v24, v20
	v_bfe_i32 v36, v36, 0, 8
	s_delay_alu instid0(VALU_DEP_3) | instskip(NEXT) | instid1(VALU_DEP_2)
	v_cvt_f16_i16_e32 v21, v21
	v_cvt_f16_i16_e32 v36, v36
	s_delay_alu instid0(VALU_DEP_1) | instskip(NEXT) | instid1(VALU_DEP_1)
	v_pack_b32_f16 v21, v21, v36
	v_pk_mul_f16 v20, v21, v20
	v_mul_u32_u24_e32 v21, 0x10001, v73
	s_delay_alu instid0(VALU_DEP_2) | instskip(NEXT) | instid1(VALU_DEP_2)
	v_pk_fma_f16 v22, v20, v34, v22
	v_pk_fma_f16 v23, v24, v21, v23
	v_pk_fma_f16 v24, v24, v34, v27
	v_pk_fma_f16 v27, v20, v21, v35
	v_add_co_u32 v20, vcc_lo, v141, s20
	s_wait_alu 0xfffd
	v_add_co_ci_u32_e64 v21, null, 0, v142, vcc_lo
	global_load_b32 v34, v[20:21], off
	v_add_co_u32 v20, vcc_lo, v143, s20
	s_wait_alu 0xfffd
	v_add_co_ci_u32_e64 v21, null, 0, v144, vcc_lo
	global_load_u16 v20, v[20:21], off
	s_wait_loadcnt 0x1
	v_ashrrev_i32_e32 v21, v217, v34
	s_delay_alu instid0(VALU_DEP_1) | instskip(SKIP_2) | instid1(VALU_DEP_2)
	v_and_b32_e32 v21, 0xf0f0f0f, v21
	s_wait_loadcnt 0x0
	v_mul_u32_u24_e32 v20, 0x10001, v20
	v_lshlrev_b16 v34, 8, v21
	v_and_b32_e32 v35, 0xf00, v21
	v_lshrrev_b32_e32 v21, 16, v21
	s_delay_alu instid0(VALU_DEP_3) | instskip(NEXT) | instid1(VALU_DEP_1)
	v_add_nc_u16 v34, 0xf800, v34
	v_lshrrev_b16 v34, 8, v34
	s_delay_alu instid0(VALU_DEP_1) | instskip(NEXT) | instid1(VALU_DEP_4)
	v_or_b32_e32 v34, v35, v34
	v_lshlrev_b16 v35, 8, v21
	v_and_b32_e32 v21, 0xf00, v21
	s_delay_alu instid0(VALU_DEP_3) | instskip(NEXT) | instid1(VALU_DEP_3)
	v_add_nc_u16 v34, 0xf800, v34
	v_add_nc_u16 v35, 0xf800, v35
	s_delay_alu instid0(VALU_DEP_1) | instskip(NEXT) | instid1(VALU_DEP_1)
	v_lshrrev_b16 v35, 8, v35
	v_or_b32_e32 v21, v21, v35
	s_delay_alu instid0(VALU_DEP_4) | instskip(SKIP_1) | instid1(VALU_DEP_3)
	v_lshrrev_b32_e32 v35, 8, v34
	v_bfe_i32 v34, v34, 0, 8
	v_add_nc_u16 v21, 0xf800, v21
	s_delay_alu instid0(VALU_DEP_3) | instskip(NEXT) | instid1(VALU_DEP_3)
	v_bfe_i32 v35, v35, 0, 8
	v_cvt_f16_i16_e32 v34, v34
	s_delay_alu instid0(VALU_DEP_2) | instskip(NEXT) | instid1(VALU_DEP_1)
	v_cvt_f16_i16_e32 v35, v35
	v_pack_b32_f16 v34, v34, v35
	v_lshrrev_b32_e32 v35, 8, v21
	v_bfe_i32 v21, v21, 0, 8
	s_delay_alu instid0(VALU_DEP_3) | instskip(NEXT) | instid1(VALU_DEP_3)
	v_pk_mul_f16 v34, v34, v20
	v_bfe_i32 v35, v35, 0, 8
	s_delay_alu instid0(VALU_DEP_3) | instskip(NEXT) | instid1(VALU_DEP_3)
	v_cvt_f16_i16_e32 v21, v21
	v_pk_fma_f16 v24, v34, v33, v24
	s_delay_alu instid0(VALU_DEP_3) | instskip(NEXT) | instid1(VALU_DEP_1)
	v_cvt_f16_i16_e32 v35, v35
	v_pack_b32_f16 v21, v21, v35
	s_delay_alu instid0(VALU_DEP_1) | instskip(SKIP_1) | instid1(VALU_DEP_2)
	v_pk_mul_f16 v20, v21, v20
	v_mul_u32_u24_e32 v21, 0x10001, v62
	v_pk_fma_f16 v22, v20, v33, v22
	s_delay_alu instid0(VALU_DEP_2)
	v_pk_fma_f16 v27, v20, v21, v27
	v_add_co_u32 v20, vcc_lo, v137, s20
	v_pk_fma_f16 v23, v34, v21, v23
	s_wait_alu 0xfffd
	v_add_co_ci_u32_e64 v21, null, 0, v138, vcc_lo
	global_load_b32 v33, v[20:21], off
	v_add_co_u32 v20, vcc_lo, v139, s20
	s_wait_alu 0xfffd
	v_add_co_ci_u32_e64 v21, null, 0, v140, vcc_lo
	global_load_u16 v20, v[20:21], off
	s_wait_loadcnt 0x1
	v_ashrrev_i32_e32 v21, v217, v33
	s_delay_alu instid0(VALU_DEP_1) | instskip(SKIP_2) | instid1(VALU_DEP_2)
	v_and_b32_e32 v21, 0xf0f0f0f, v21
	s_wait_loadcnt 0x0
	v_mul_u32_u24_e32 v20, 0x10001, v20
	v_lshlrev_b16 v33, 8, v21
	v_and_b32_e32 v34, 0xf00, v21
	v_lshrrev_b32_e32 v21, 16, v21
	s_delay_alu instid0(VALU_DEP_3) | instskip(NEXT) | instid1(VALU_DEP_1)
	v_add_nc_u16 v33, 0xf800, v33
	v_lshrrev_b16 v33, 8, v33
	s_delay_alu instid0(VALU_DEP_1) | instskip(NEXT) | instid1(VALU_DEP_4)
	v_or_b32_e32 v33, v34, v33
	v_lshlrev_b16 v34, 8, v21
	v_and_b32_e32 v21, 0xf00, v21
	s_delay_alu instid0(VALU_DEP_3) | instskip(NEXT) | instid1(VALU_DEP_3)
	v_add_nc_u16 v33, 0xf800, v33
	v_add_nc_u16 v34, 0xf800, v34
	s_delay_alu instid0(VALU_DEP_1) | instskip(NEXT) | instid1(VALU_DEP_1)
	v_lshrrev_b16 v34, 8, v34
	v_or_b32_e32 v21, v21, v34
	s_delay_alu instid0(VALU_DEP_4) | instskip(SKIP_1) | instid1(VALU_DEP_3)
	v_lshrrev_b32_e32 v34, 8, v33
	v_bfe_i32 v33, v33, 0, 8
	v_add_nc_u16 v21, 0xf800, v21
	s_delay_alu instid0(VALU_DEP_3) | instskip(NEXT) | instid1(VALU_DEP_3)
	v_bfe_i32 v34, v34, 0, 8
	v_cvt_f16_i16_e32 v33, v33
	s_delay_alu instid0(VALU_DEP_2) | instskip(NEXT) | instid1(VALU_DEP_1)
	v_cvt_f16_i16_e32 v34, v34
	v_pack_b32_f16 v33, v33, v34
	v_lshrrev_b32_e32 v34, 8, v21
	v_bfe_i32 v21, v21, 0, 8
	s_delay_alu instid0(VALU_DEP_3) | instskip(NEXT) | instid1(VALU_DEP_3)
	v_pk_mul_f16 v33, v33, v20
	v_bfe_i32 v34, v34, 0, 8
	s_delay_alu instid0(VALU_DEP_3) | instskip(NEXT) | instid1(VALU_DEP_3)
	v_cvt_f16_i16_e32 v21, v21
	v_pk_fma_f16 v24, v33, v32, v24
	s_delay_alu instid0(VALU_DEP_3) | instskip(NEXT) | instid1(VALU_DEP_1)
	v_cvt_f16_i16_e32 v34, v34
	v_pack_b32_f16 v21, v21, v34
	s_delay_alu instid0(VALU_DEP_1) | instskip(SKIP_1) | instid1(VALU_DEP_2)
	v_pk_mul_f16 v20, v21, v20
	v_mul_u32_u24_e32 v21, 0x10001, v66
	v_pk_fma_f16 v22, v20, v32, v22
	s_delay_alu instid0(VALU_DEP_2)
	v_pk_fma_f16 v27, v20, v21, v27
	v_add_co_u32 v20, vcc_lo, v133, s20
	v_pk_fma_f16 v23, v33, v21, v23
	;; [unrolled: 58-line block ×5, first 2 shown]
	s_wait_alu 0xfffd
	v_add_co_ci_u32_e64 v21, null, 0, v122, vcc_lo
	global_load_b32 v29, v[20:21], off
	v_add_co_u32 v20, vcc_lo, v123, s20
	s_wait_alu 0xfffd
	v_add_co_ci_u32_e64 v21, null, 0, v124, vcc_lo
	global_load_u16 v20, v[20:21], off
	s_wait_loadcnt 0x1
	v_ashrrev_i32_e32 v21, v217, v29
	s_delay_alu instid0(VALU_DEP_1) | instskip(SKIP_2) | instid1(VALU_DEP_2)
	v_and_b32_e32 v21, 0xf0f0f0f, v21
	s_wait_loadcnt 0x0
	v_mul_u32_u24_e32 v20, 0x10001, v20
	v_lshlrev_b16 v29, 8, v21
	v_and_b32_e32 v30, 0xf00, v21
	v_lshrrev_b32_e32 v21, 16, v21
	s_delay_alu instid0(VALU_DEP_3) | instskip(NEXT) | instid1(VALU_DEP_1)
	v_add_nc_u16 v29, 0xf800, v29
	v_lshrrev_b16 v29, 8, v29
	s_delay_alu instid0(VALU_DEP_1) | instskip(NEXT) | instid1(VALU_DEP_4)
	v_or_b32_e32 v29, v30, v29
	v_lshlrev_b16 v30, 8, v21
	v_and_b32_e32 v21, 0xf00, v21
	s_delay_alu instid0(VALU_DEP_3) | instskip(NEXT) | instid1(VALU_DEP_3)
	v_add_nc_u16 v29, 0xf800, v29
	v_add_nc_u16 v30, 0xf800, v30
	s_delay_alu instid0(VALU_DEP_1) | instskip(NEXT) | instid1(VALU_DEP_1)
	v_lshrrev_b16 v30, 8, v30
	v_or_b32_e32 v21, v21, v30
	s_delay_alu instid0(VALU_DEP_4) | instskip(SKIP_1) | instid1(VALU_DEP_3)
	v_lshrrev_b32_e32 v30, 8, v29
	v_bfe_i32 v29, v29, 0, 8
	v_add_nc_u16 v21, 0xf800, v21
	s_delay_alu instid0(VALU_DEP_3) | instskip(NEXT) | instid1(VALU_DEP_3)
	v_bfe_i32 v30, v30, 0, 8
	v_cvt_f16_i16_e32 v29, v29
	s_delay_alu instid0(VALU_DEP_2) | instskip(NEXT) | instid1(VALU_DEP_1)
	v_cvt_f16_i16_e32 v30, v30
	v_pack_b32_f16 v29, v29, v30
	v_lshrrev_b32_e32 v30, 8, v21
	v_bfe_i32 v21, v21, 0, 8
	s_delay_alu instid0(VALU_DEP_3) | instskip(NEXT) | instid1(VALU_DEP_3)
	v_pk_mul_f16 v29, v29, v20
	v_bfe_i32 v30, v30, 0, 8
	s_delay_alu instid0(VALU_DEP_3) | instskip(NEXT) | instid1(VALU_DEP_2)
	v_cvt_f16_i16_e32 v21, v21
	v_cvt_f16_i16_e32 v30, v30
	s_delay_alu instid0(VALU_DEP_1) | instskip(NEXT) | instid1(VALU_DEP_1)
	v_pack_b32_f16 v21, v21, v30
	v_pk_mul_f16 v20, v21, v20
	v_mul_u32_u24_e32 v21, 0x10001, v26
	v_mul_u32_u24_e32 v26, 0x10001, v28
	s_delay_alu instid0(VALU_DEP_2) | instskip(NEXT) | instid1(VALU_DEP_2)
	v_pk_fma_f16 v27, v20, v21, v27
	v_pk_fma_f16 v22, v20, v26, v22
	v_add_co_u32 v20, vcc_lo, v117, s20
	v_pk_fma_f16 v23, v29, v21, v23
	s_wait_alu 0xfffd
	v_add_co_ci_u32_e64 v21, null, 0, v118, vcc_lo
	v_pk_fma_f16 v24, v29, v26, v24
	global_load_b32 v26, v[20:21], off
	v_add_co_u32 v20, vcc_lo, v119, s20
	s_wait_alu 0xfffd
	v_add_co_ci_u32_e64 v21, null, 0, v120, vcc_lo
	global_load_u16 v20, v[20:21], off
	s_wait_loadcnt 0x1
	v_ashrrev_i32_e32 v21, v217, v26
	s_delay_alu instid0(VALU_DEP_1) | instskip(SKIP_2) | instid1(VALU_DEP_2)
	v_and_b32_e32 v21, 0xf0f0f0f, v21
	s_wait_loadcnt 0x0
	v_mul_u32_u24_e32 v20, 0x10001, v20
	v_lshlrev_b16 v26, 8, v21
	v_and_b32_e32 v28, 0xf00, v21
	v_lshrrev_b32_e32 v21, 16, v21
	s_delay_alu instid0(VALU_DEP_3) | instskip(NEXT) | instid1(VALU_DEP_1)
	v_add_nc_u16 v26, 0xf800, v26
	v_lshrrev_b16 v26, 8, v26
	s_delay_alu instid0(VALU_DEP_1) | instskip(NEXT) | instid1(VALU_DEP_4)
	v_or_b32_e32 v26, v28, v26
	v_lshlrev_b16 v28, 8, v21
	v_and_b32_e32 v21, 0xf00, v21
	s_delay_alu instid0(VALU_DEP_3) | instskip(NEXT) | instid1(VALU_DEP_3)
	v_add_nc_u16 v26, 0xf800, v26
	v_add_nc_u16 v28, 0xf800, v28
	s_delay_alu instid0(VALU_DEP_1) | instskip(NEXT) | instid1(VALU_DEP_1)
	v_lshrrev_b16 v28, 8, v28
	v_or_b32_e32 v21, v21, v28
	s_delay_alu instid0(VALU_DEP_4) | instskip(SKIP_1) | instid1(VALU_DEP_3)
	v_lshrrev_b32_e32 v28, 8, v26
	v_bfe_i32 v26, v26, 0, 8
	v_add_nc_u16 v21, 0xf800, v21
	s_delay_alu instid0(VALU_DEP_3) | instskip(NEXT) | instid1(VALU_DEP_3)
	v_bfe_i32 v28, v28, 0, 8
	v_cvt_f16_i16_e32 v26, v26
	s_delay_alu instid0(VALU_DEP_2) | instskip(NEXT) | instid1(VALU_DEP_1)
	v_cvt_f16_i16_e32 v28, v28
	v_pack_b32_f16 v26, v26, v28
	v_lshrrev_b32_e32 v28, 8, v21
	v_bfe_i32 v21, v21, 0, 8
	s_delay_alu instid0(VALU_DEP_3) | instskip(NEXT) | instid1(VALU_DEP_3)
	v_pk_mul_f16 v26, v26, v20
	v_bfe_i32 v28, v28, 0, 8
	s_delay_alu instid0(VALU_DEP_3) | instskip(NEXT) | instid1(VALU_DEP_3)
	v_cvt_f16_i16_e32 v21, v21
	v_pk_fma_f16 v24, v26, v25, v24
	s_delay_alu instid0(VALU_DEP_3) | instskip(NEXT) | instid1(VALU_DEP_1)
	v_cvt_f16_i16_e32 v28, v28
	v_pack_b32_f16 v21, v21, v28
	s_delay_alu instid0(VALU_DEP_1) | instskip(SKIP_1) | instid1(VALU_DEP_2)
	v_pk_mul_f16 v20, v21, v20
	v_mul_u32_u24_e32 v21, 0x10001, v75
	v_pk_fma_f16 v22, v20, v25, v22
	s_delay_alu instid0(VALU_DEP_2)
	v_pk_fma_f16 v23, v26, v21, v23
	v_pk_fma_f16 v26, v20, v21, v27
	v_add_co_u32 v20, vcc_lo, v113, s20
	s_wait_alu 0xfffd
	v_add_co_ci_u32_e64 v21, null, 0, v114, vcc_lo
	global_load_b32 v25, v[20:21], off
	v_add_co_u32 v20, vcc_lo, v115, s20
	s_wait_alu 0xfffd
	v_add_co_ci_u32_e64 v21, null, 0, v116, vcc_lo
	global_load_u16 v20, v[20:21], off
	s_wait_loadcnt 0x1
	v_ashrrev_i32_e32 v21, v217, v25
	s_delay_alu instid0(VALU_DEP_1) | instskip(SKIP_2) | instid1(VALU_DEP_2)
	v_and_b32_e32 v21, 0xf0f0f0f, v21
	s_wait_loadcnt 0x0
	v_mul_u32_u24_e32 v20, 0x10001, v20
	v_lshlrev_b16 v25, 8, v21
	v_and_b32_e32 v27, 0xf00, v21
	v_lshrrev_b32_e32 v21, 16, v21
	s_delay_alu instid0(VALU_DEP_3) | instskip(NEXT) | instid1(VALU_DEP_1)
	v_add_nc_u16 v25, 0xf800, v25
	v_lshrrev_b16 v25, 8, v25
	s_delay_alu instid0(VALU_DEP_1) | instskip(NEXT) | instid1(VALU_DEP_4)
	v_or_b32_e32 v25, v27, v25
	v_lshlrev_b16 v27, 8, v21
	v_and_b32_e32 v21, 0xf00, v21
	s_delay_alu instid0(VALU_DEP_3) | instskip(NEXT) | instid1(VALU_DEP_3)
	v_add_nc_u16 v25, 0xf800, v25
	v_add_nc_u16 v27, 0xf800, v27
	s_delay_alu instid0(VALU_DEP_1) | instskip(NEXT) | instid1(VALU_DEP_1)
	v_lshrrev_b16 v27, 8, v27
	v_or_b32_e32 v21, v21, v27
	s_delay_alu instid0(VALU_DEP_4) | instskip(SKIP_1) | instid1(VALU_DEP_3)
	v_lshrrev_b32_e32 v27, 8, v25
	v_bfe_i32 v25, v25, 0, 8
	v_add_nc_u16 v21, 0xf800, v21
	s_delay_alu instid0(VALU_DEP_3) | instskip(NEXT) | instid1(VALU_DEP_3)
	v_bfe_i32 v27, v27, 0, 8
	v_cvt_f16_i16_e32 v25, v25
	s_delay_alu instid0(VALU_DEP_2) | instskip(NEXT) | instid1(VALU_DEP_1)
	v_cvt_f16_i16_e32 v27, v27
	v_pack_b32_f16 v25, v25, v27
	v_lshrrev_b32_e32 v27, 8, v21
	v_bfe_i32 v21, v21, 0, 8
	s_delay_alu instid0(VALU_DEP_3) | instskip(NEXT) | instid1(VALU_DEP_3)
	v_pk_mul_f16 v25, v25, v20
	v_bfe_i32 v27, v27, 0, 8
	s_delay_alu instid0(VALU_DEP_3) | instskip(NEXT) | instid1(VALU_DEP_2)
	v_cvt_f16_i16_e32 v21, v21
	v_cvt_f16_i16_e32 v27, v27
	s_delay_alu instid0(VALU_DEP_1) | instskip(SKIP_1) | instid1(VALU_DEP_2)
	v_pack_b32_f16 v21, v21, v27
	v_mul_u32_u24_e32 v27, 0x10001, v74
	v_pk_mul_f16 v20, v21, v20
	v_mul_u32_u24_e32 v21, 0x10001, v72
	s_delay_alu instid0(VALU_DEP_3) | instskip(NEXT) | instid1(VALU_DEP_3)
	v_pk_fma_f16 v24, v25, v27, v24
	v_pk_fma_f16 v22, v20, v27, v22
	s_delay_alu instid0(VALU_DEP_3)
	v_pk_fma_f16 v23, v25, v21, v23
	v_pk_fma_f16 v25, v20, v21, v26
	v_add_co_u32 v20, vcc_lo, v109, s20
	s_wait_alu 0xfffd
	v_add_co_ci_u32_e64 v21, null, 0, v110, vcc_lo
	global_load_b32 v26, v[20:21], off
	v_add_co_u32 v20, vcc_lo, v111, s20
	s_wait_alu 0xfffd
	v_add_co_ci_u32_e64 v21, null, 0, v112, vcc_lo
	global_load_u16 v20, v[20:21], off
	s_wait_loadcnt 0x1
	v_ashrrev_i32_e32 v21, v217, v26
	s_delay_alu instid0(VALU_DEP_1) | instskip(SKIP_2) | instid1(VALU_DEP_2)
	v_and_b32_e32 v21, 0xf0f0f0f, v21
	s_wait_loadcnt 0x0
	v_mul_u32_u24_e32 v20, 0x10001, v20
	v_lshlrev_b16 v26, 8, v21
	v_and_b32_e32 v27, 0xf00, v21
	v_lshrrev_b32_e32 v21, 16, v21
	s_delay_alu instid0(VALU_DEP_3) | instskip(NEXT) | instid1(VALU_DEP_1)
	v_add_nc_u16 v26, 0xf800, v26
	v_lshrrev_b16 v26, 8, v26
	s_delay_alu instid0(VALU_DEP_1) | instskip(NEXT) | instid1(VALU_DEP_4)
	v_or_b32_e32 v26, v27, v26
	v_lshlrev_b16 v27, 8, v21
	v_and_b32_e32 v21, 0xf00, v21
	s_delay_alu instid0(VALU_DEP_3) | instskip(NEXT) | instid1(VALU_DEP_3)
	v_add_nc_u16 v26, 0xf800, v26
	v_add_nc_u16 v27, 0xf800, v27
	s_delay_alu instid0(VALU_DEP_1) | instskip(NEXT) | instid1(VALU_DEP_1)
	v_lshrrev_b16 v27, 8, v27
	v_or_b32_e32 v21, v21, v27
	s_delay_alu instid0(VALU_DEP_4) | instskip(SKIP_1) | instid1(VALU_DEP_3)
	v_lshrrev_b32_e32 v27, 8, v26
	v_bfe_i32 v26, v26, 0, 8
	v_add_nc_u16 v21, 0xf800, v21
	s_delay_alu instid0(VALU_DEP_3) | instskip(NEXT) | instid1(VALU_DEP_3)
	v_bfe_i32 v27, v27, 0, 8
	v_cvt_f16_i16_e32 v26, v26
	s_delay_alu instid0(VALU_DEP_2) | instskip(NEXT) | instid1(VALU_DEP_1)
	v_cvt_f16_i16_e32 v27, v27
	v_pack_b32_f16 v26, v26, v27
	v_lshrrev_b32_e32 v27, 8, v21
	v_bfe_i32 v21, v21, 0, 8
	s_delay_alu instid0(VALU_DEP_3) | instskip(NEXT) | instid1(VALU_DEP_3)
	v_pk_mul_f16 v26, v26, v20
	v_bfe_i32 v27, v27, 0, 8
	s_delay_alu instid0(VALU_DEP_3) | instskip(NEXT) | instid1(VALU_DEP_2)
	v_cvt_f16_i16_e32 v21, v21
	v_cvt_f16_i16_e32 v27, v27
	s_delay_alu instid0(VALU_DEP_1) | instskip(SKIP_1) | instid1(VALU_DEP_2)
	v_pack_b32_f16 v21, v21, v27
	v_mul_u32_u24_e32 v27, 0x10001, v65
	v_pk_mul_f16 v20, v21, v20
	v_mul_u32_u24_e32 v21, 0x10001, v59
	s_delay_alu instid0(VALU_DEP_3) | instskip(NEXT) | instid1(VALU_DEP_3)
	v_pk_fma_f16 v24, v26, v27, v24
	v_pk_fma_f16 v22, v20, v27, v22
	s_delay_alu instid0(VALU_DEP_3)
	v_pk_fma_f16 v25, v20, v21, v25
	v_add_co_u32 v20, vcc_lo, v105, s20
	v_pk_fma_f16 v23, v26, v21, v23
	s_wait_alu 0xfffd
	v_add_co_ci_u32_e64 v21, null, 0, v106, vcc_lo
	global_load_b32 v26, v[20:21], off
	v_add_co_u32 v20, vcc_lo, v107, s20
	s_wait_alu 0xfffd
	v_add_co_ci_u32_e64 v21, null, 0, v108, vcc_lo
	global_load_u16 v20, v[20:21], off
	s_wait_loadcnt 0x1
	v_ashrrev_i32_e32 v21, v217, v26
	s_delay_alu instid0(VALU_DEP_1) | instskip(SKIP_2) | instid1(VALU_DEP_2)
	v_and_b32_e32 v21, 0xf0f0f0f, v21
	s_wait_loadcnt 0x0
	v_mul_u32_u24_e32 v20, 0x10001, v20
	v_lshlrev_b16 v26, 8, v21
	v_and_b32_e32 v27, 0xf00, v21
	v_lshrrev_b32_e32 v21, 16, v21
	s_delay_alu instid0(VALU_DEP_3) | instskip(NEXT) | instid1(VALU_DEP_1)
	v_add_nc_u16 v26, 0xf800, v26
	v_lshrrev_b16 v26, 8, v26
	s_delay_alu instid0(VALU_DEP_1) | instskip(NEXT) | instid1(VALU_DEP_4)
	v_or_b32_e32 v26, v27, v26
	v_lshlrev_b16 v27, 8, v21
	v_and_b32_e32 v21, 0xf00, v21
	s_delay_alu instid0(VALU_DEP_3) | instskip(NEXT) | instid1(VALU_DEP_3)
	v_add_nc_u16 v26, 0xf800, v26
	v_add_nc_u16 v27, 0xf800, v27
	s_delay_alu instid0(VALU_DEP_1) | instskip(NEXT) | instid1(VALU_DEP_1)
	v_lshrrev_b16 v27, 8, v27
	v_or_b32_e32 v21, v21, v27
	s_delay_alu instid0(VALU_DEP_4) | instskip(SKIP_1) | instid1(VALU_DEP_3)
	v_lshrrev_b32_e32 v27, 8, v26
	v_bfe_i32 v26, v26, 0, 8
	v_add_nc_u16 v21, 0xf800, v21
	s_delay_alu instid0(VALU_DEP_3) | instskip(NEXT) | instid1(VALU_DEP_3)
	v_bfe_i32 v27, v27, 0, 8
	v_cvt_f16_i16_e32 v26, v26
	s_delay_alu instid0(VALU_DEP_2) | instskip(NEXT) | instid1(VALU_DEP_1)
	v_cvt_f16_i16_e32 v27, v27
	v_pack_b32_f16 v26, v26, v27
	v_lshrrev_b32_e32 v27, 8, v21
	v_bfe_i32 v21, v21, 0, 8
	s_delay_alu instid0(VALU_DEP_3) | instskip(NEXT) | instid1(VALU_DEP_3)
	v_pk_mul_f16 v26, v26, v20
	v_bfe_i32 v27, v27, 0, 8
	s_delay_alu instid0(VALU_DEP_3) | instskip(NEXT) | instid1(VALU_DEP_2)
	v_cvt_f16_i16_e32 v21, v21
	v_cvt_f16_i16_e32 v27, v27
	s_delay_alu instid0(VALU_DEP_1) | instskip(SKIP_1) | instid1(VALU_DEP_2)
	v_pack_b32_f16 v21, v21, v27
	v_mul_u32_u24_e32 v27, 0x10001, v58
	v_pk_mul_f16 v20, v21, v20
	v_mul_u32_u24_e32 v21, 0x10001, v61
	s_delay_alu instid0(VALU_DEP_3) | instskip(NEXT) | instid1(VALU_DEP_3)
	v_pk_fma_f16 v24, v26, v27, v24
	v_pk_fma_f16 v22, v20, v27, v22
	s_delay_alu instid0(VALU_DEP_3)
	v_pk_fma_f16 v25, v20, v21, v25
	v_add_co_u32 v20, vcc_lo, v101, s20
	v_pk_fma_f16 v23, v26, v21, v23
	;; [unrolled: 59-line block ×3, first 2 shown]
	s_wait_alu 0xfffd
	v_add_co_ci_u32_e64 v21, null, 0, v98, vcc_lo
	global_load_b32 v26, v[20:21], off
	v_add_co_u32 v20, vcc_lo, v99, s20
	s_wait_alu 0xfffd
	v_add_co_ci_u32_e64 v21, null, 0, v100, vcc_lo
	global_load_u16 v20, v[20:21], off
	s_wait_loadcnt 0x1
	v_ashrrev_i32_e32 v21, v217, v26
	s_delay_alu instid0(VALU_DEP_1) | instskip(SKIP_2) | instid1(VALU_DEP_2)
	v_and_b32_e32 v21, 0xf0f0f0f, v21
	s_wait_loadcnt 0x0
	v_mul_u32_u24_e32 v20, 0x10001, v20
	v_lshlrev_b16 v26, 8, v21
	v_and_b32_e32 v27, 0xf00, v21
	v_lshrrev_b32_e32 v21, 16, v21
	s_delay_alu instid0(VALU_DEP_3) | instskip(NEXT) | instid1(VALU_DEP_1)
	v_add_nc_u16 v26, 0xf800, v26
	v_lshrrev_b16 v26, 8, v26
	s_delay_alu instid0(VALU_DEP_1) | instskip(NEXT) | instid1(VALU_DEP_4)
	v_or_b32_e32 v26, v27, v26
	v_lshlrev_b16 v27, 8, v21
	v_and_b32_e32 v21, 0xf00, v21
	s_delay_alu instid0(VALU_DEP_3) | instskip(NEXT) | instid1(VALU_DEP_3)
	v_add_nc_u16 v26, 0xf800, v26
	v_add_nc_u16 v27, 0xf800, v27
	s_delay_alu instid0(VALU_DEP_1) | instskip(NEXT) | instid1(VALU_DEP_1)
	v_lshrrev_b16 v27, 8, v27
	v_or_b32_e32 v21, v21, v27
	s_delay_alu instid0(VALU_DEP_4) | instskip(SKIP_1) | instid1(VALU_DEP_3)
	v_lshrrev_b32_e32 v27, 8, v26
	v_bfe_i32 v26, v26, 0, 8
	v_add_nc_u16 v21, 0xf800, v21
	s_delay_alu instid0(VALU_DEP_3) | instskip(NEXT) | instid1(VALU_DEP_3)
	v_bfe_i32 v27, v27, 0, 8
	v_cvt_f16_i16_e32 v26, v26
	s_delay_alu instid0(VALU_DEP_2) | instskip(NEXT) | instid1(VALU_DEP_1)
	v_cvt_f16_i16_e32 v27, v27
	v_pack_b32_f16 v26, v26, v27
	v_lshrrev_b32_e32 v27, 8, v21
	v_bfe_i32 v21, v21, 0, 8
	s_delay_alu instid0(VALU_DEP_3) | instskip(NEXT) | instid1(VALU_DEP_3)
	v_pk_mul_f16 v26, v26, v20
	v_bfe_i32 v27, v27, 0, 8
	s_delay_alu instid0(VALU_DEP_3) | instskip(NEXT) | instid1(VALU_DEP_2)
	v_cvt_f16_i16_e32 v21, v21
	v_cvt_f16_i16_e32 v27, v27
	s_delay_alu instid0(VALU_DEP_1) | instskip(NEXT) | instid1(VALU_DEP_1)
	v_pack_b32_f16 v21, v21, v27
	v_pk_mul_f16 v20, v21, v20
	v_pk_fma_f16 v21, v26, v18, v23
	v_pk_fma_f16 v23, v26, v19, v24
	v_mul_u32_u24_e32 v26, 0x10001, v16
	s_delay_alu instid0(VALU_DEP_4)
	v_pk_fma_f16 v24, v20, v18, v25
	v_add_co_u32 v18, vcc_lo, v93, s20
	v_pk_fma_f16 v20, v20, v19, v22
	s_wait_alu 0xfffd
	v_add_co_ci_u32_e64 v19, null, 0, v94, vcc_lo
	global_load_b32 v22, v[18:19], off
	v_add_co_u32 v18, vcc_lo, v95, s20
	s_wait_alu 0xfffd
	v_add_co_ci_u32_e64 v19, null, 0, v96, vcc_lo
	v_add_co_u32 v77, vcc_lo, v77, s27
	s_wait_alu 0xfffd
	v_add_co_ci_u32_e64 v78, null, 0, v78, vcc_lo
	global_load_u16 v18, v[18:19], off
	v_add_co_u32 v67, vcc_lo, v67, s6
	s_wait_alu 0xfffd
	v_add_co_ci_u32_e64 v68, null, s7, v68, vcc_lo
	v_add_co_u32 v79, vcc_lo, v79, s6
	s_wait_alu 0xfffd
	v_add_co_ci_u32_e64 v80, null, s7, v80, vcc_lo
	;; [unrolled: 3-line block ×70, first 2 shown]
	s_wait_loadcnt 0x1
	v_ashrrev_i32_e32 v19, v217, v22
	s_delay_alu instid0(VALU_DEP_1) | instskip(NEXT) | instid1(VALU_DEP_1)
	v_and_b32_e32 v19, 0xf0f0f0f, v19
	v_lshlrev_b16 v22, 8, v19
	v_and_b32_e32 v25, 0xf00, v19
	s_delay_alu instid0(VALU_DEP_2) | instskip(NEXT) | instid1(VALU_DEP_1)
	v_add_nc_u16 v22, 0xf800, v22
	v_lshrrev_b16 v22, 8, v22
	s_delay_alu instid0(VALU_DEP_1) | instskip(NEXT) | instid1(VALU_DEP_1)
	v_or_b32_e32 v22, v25, v22
	v_add_nc_u16 v22, 0xf800, v22
	s_delay_alu instid0(VALU_DEP_1) | instskip(SKIP_1) | instid1(VALU_DEP_2)
	v_lshrrev_b32_e32 v25, 8, v22
	v_bfe_i32 v22, v22, 0, 8
	v_bfe_i32 v25, v25, 0, 8
	s_delay_alu instid0(VALU_DEP_2) | instskip(NEXT) | instid1(VALU_DEP_2)
	v_cvt_f16_i16_e32 v22, v22
	v_cvt_f16_i16_e32 v25, v25
	s_delay_alu instid0(VALU_DEP_1) | instskip(SKIP_2) | instid1(VALU_DEP_1)
	v_pack_b32_f16 v22, v22, v25
	s_wait_loadcnt 0x0
	v_mul_u32_u24_e32 v25, 0x10001, v18
	v_pk_mul_f16 v18, v22, v25
	v_mul_u32_u24_e32 v22, 0x10001, v17
	v_lshrrev_b32_e32 v17, 16, v19
	s_delay_alu instid0(VALU_DEP_3) | instskip(NEXT) | instid1(VALU_DEP_3)
	v_pk_fma_f16 v16, v18, v26, v21
	v_pk_fma_f16 v18, v18, v22, v23
	s_delay_alu instid0(VALU_DEP_3) | instskip(SKIP_1) | instid1(VALU_DEP_2)
	v_lshlrev_b16 v19, 8, v17
	v_and_b32_e32 v17, 0xf00, v17
	v_add_nc_u16 v19, 0xf800, v19
	s_delay_alu instid0(VALU_DEP_1) | instskip(NEXT) | instid1(VALU_DEP_1)
	v_lshrrev_b16 v19, 8, v19
	v_or_b32_e32 v17, v17, v19
	s_delay_alu instid0(VALU_DEP_1) | instskip(NEXT) | instid1(VALU_DEP_1)
	v_add_nc_u16 v17, 0xf800, v17
	v_lshrrev_b32_e32 v19, 8, v17
	v_bfe_i32 v17, v17, 0, 8
	s_delay_alu instid0(VALU_DEP_2) | instskip(NEXT) | instid1(VALU_DEP_2)
	v_bfe_i32 v19, v19, 0, 8
	v_cvt_f16_i16_e32 v17, v17
	s_delay_alu instid0(VALU_DEP_2) | instskip(NEXT) | instid1(VALU_DEP_1)
	v_cvt_f16_i16_e32 v19, v19
	v_pack_b32_f16 v17, v17, v19
	s_delay_alu instid0(VALU_DEP_1) | instskip(NEXT) | instid1(VALU_DEP_1)
	v_pk_mul_f16 v19, v17, v25
	v_pk_fma_f16 v17, v19, v26, v24
	v_pk_fma_f16 v19, v19, v22, v20
	s_cbranch_scc1 .LBB19_28
; %bb.26:                               ;   in Loop: Header=BB19_17 Depth=1
	s_clause 0xb
	scratch_load_b32 v219, off, off offset:20
	scratch_load_b64 v[220:221], off, off offset:24
	scratch_load_b64 v[222:223], off, off offset:32
	;; [unrolled: 1-line block ×11, first 2 shown]
	v_dual_mov_b32 v20, v56 :: v_dual_mov_b32 v21, v57
	s_branch .LBB19_17
.LBB19_27:
	v_mov_b32_e32 v70, 0
	s_delay_alu instid0(VALU_DEP_1) | instskip(NEXT) | instid1(VALU_DEP_1)
	v_dual_mov_b32 v56, 0xfeffffff :: v_dual_mov_b32 v69, v70
	v_mov_b32_e32 v57, v56
	s_branch .LBB19_29
.LBB19_28:
	scratch_load_b32 v213, off, off offset:132 ; 4-byte Folded Reload
	v_mbcnt_lo_u32_b32 v122, -1, 0
	s_wait_loadcnt 0x0
	ds_store_b128 v213, v[16:19]
	s_clause 0x4
	scratch_load_b32 v217, off, off offset:112
	scratch_load_b32 v30, off, off offset:116
	scratch_load_b32 v31, off, off offset:120
	scratch_load_b32 v20, off, off offset:124
	scratch_load_b32 v32, off, off offset:128
.LBB19_29:
	s_cmp_eq_u64 s[12:13], 0
	s_cselect_b32 s1, -1, 0
	s_cmp_lg_u32 s14, 0
	s_cselect_b32 s4, -1, 0
	s_wait_alu 0xfffe
	s_or_b32 s1, s4, s1
	s_wait_alu 0xfffe
	s_nor_b32 s0, s1, s0
	s_wait_alu 0xfffe
	s_and_saveexec_b32 s1, s0
	s_cbranch_execz .LBB19_31
; %bb.30:
	s_ashr_i32 s29, s28, 31
	s_wait_loadcnt 0x3
	v_cmp_eq_u32_e32 vcc_lo, 1, v30
	s_wait_alu 0xfffe
	s_lshl_b64 s[4:5], s[28:29], 2
	s_wait_alu 0xfffe
	s_add_nc_u64 s[4:5], s[12:13], s[4:5]
	s_wait_alu 0xfffd
	v_cndmask_b32_e32 v0, v56, v57, vcc_lo
	s_load_b32 s0, s[4:5], 0x0
	s_delay_alu instid0(VALU_DEP_1) | instskip(SKIP_2) | instid1(VALU_DEP_1)
	v_max_num_f32_e32 v1, v0, v0
	s_wait_kmcnt 0x0
	v_max_num_f32_e64 v2, s0, s0
	v_max_num_f32_e32 v2, v2, v1
	s_delay_alu instid0(VALU_DEP_1) | instskip(NEXT) | instid1(VALU_DEP_1)
	v_sub_f32_e32 v4, s0, v2
	v_mul_f32_e32 v1, 0x3fb8aa3b, v4
	v_sub_f32_e32 v3, v0, v2
	s_delay_alu instid0(VALU_DEP_2) | instskip(NEXT) | instid1(VALU_DEP_2)
	v_rndne_f32_e32 v8, v1
	v_mul_f32_e32 v0, 0x3fb8aa3b, v3
	v_fma_f32 v7, 0x3fb8aa3b, v4, -v1
	v_cmp_ngt_f32_e64 s0, 0xc2ce8ed0, v3
	s_delay_alu instid0(VALU_DEP_4) | instskip(NEXT) | instid1(VALU_DEP_4)
	v_sub_f32_e32 v1, v1, v8
	v_fma_f32 v5, 0x3fb8aa3b, v3, -v0
	v_rndne_f32_e32 v6, v0
	v_fmac_f32_e32 v7, 0x32a5705f, v4
	s_delay_alu instid0(VALU_DEP_2) | instskip(NEXT) | instid1(VALU_DEP_2)
	v_dual_fmac_f32 v5, 0x32a5705f, v3 :: v_dual_sub_f32 v0, v0, v6
	v_add_f32_e32 v1, v1, v7
	s_delay_alu instid0(VALU_DEP_2) | instskip(NEXT) | instid1(VALU_DEP_2)
	v_dual_cndmask_b32 v57, v57, v2 :: v_dual_add_f32 v0, v0, v5
	v_exp_f32_e32 v1, v1
	v_cvt_i32_f32_e32 v5, v6
	v_cvt_i32_f32_e32 v6, v8
	s_delay_alu instid0(VALU_DEP_3)
	v_exp_f32_e32 v0, v0
	s_delay_alu instid0(TRANS32_DEP_2) | instid1(VALU_DEP_1)
	v_ldexp_f32 v6, v1, v6
	s_delay_alu instid0(TRANS32_DEP_1) | instskip(SKIP_2) | instid1(VALU_DEP_2)
	v_ldexp_f32 v0, v0, v5
	v_lshl_add_u32 v5, v30, 3, v213
	s_wait_alu 0xf1ff
	v_cndmask_b32_e64 v7, 0, v0, s0
	v_cmp_ngt_f32_e64 s0, 0xc2ce8ed0, v4
	ds_load_b64 v[0:1], v5
	s_wait_alu 0xf1ff
	v_cndmask_b32_e64 v6, 0, v6, s0
	v_cmp_nlt_f32_e64 s0, 0x42b17218, v3
	s_wait_alu 0xf1ff
	s_delay_alu instid0(VALU_DEP_1) | instskip(SKIP_2) | instid1(VALU_DEP_1)
	v_cndmask_b32_e64 v3, 0x7f800000, v7, s0
	v_cmp_nlt_f32_e64 s0, 0x42b17218, v4
	s_wait_alu 0xf1ff
	v_cndmask_b32_e64 v4, 0x7f800000, v6, s0
	s_delay_alu instid0(VALU_DEP_3) | instskip(SKIP_1) | instid1(VALU_DEP_2)
	v_cvt_f16_f32_e32 v6, v3
	v_cmp_eq_u32_e64 s0, 0, v217
	v_dual_cndmask_b32 v7, v70, v69 :: v_dual_and_b32 v6, 0xffff, v6
	s_wait_alu 0xf1ff
	s_delay_alu instid0(VALU_DEP_2) | instskip(SKIP_1) | instid1(VALU_DEP_2)
	v_cndmask_b32_e64 v4, 0, v4, s0
	v_cmp_eq_u32_e64 s0, 0, v30
	v_fmac_f32_e32 v4, v7, v3
	v_mul_u32_u24_e32 v3, 0x10001, v6
	s_wait_alu 0xf1ff
	s_delay_alu instid0(VALU_DEP_3) | instskip(NEXT) | instid1(VALU_DEP_3)
	v_cndmask_b32_e64 v56, v56, v2, s0
	v_cndmask_b32_e32 v69, v69, v4, vcc_lo
	s_wait_dscnt 0x0
	v_pk_mul_f16 v0, v0, v3
	v_pk_mul_f16 v1, v1, v3
	v_cndmask_b32_e64 v70, v70, v4, s0
	ds_store_b64 v5, v[0:1]
.LBB19_31:
	s_wait_alu 0xfffe
	s_or_b32 exec_lo, exec_lo, s1
	s_wait_loadcnt 0x0
	v_add_nc_u32_e32 v2, 0x500, v32
	v_add_nc_u32_e32 v7, 0x400, v32
	s_mov_b32 s0, exec_lo
	v_cmpx_eq_u32_e32 0, v30
	s_cbranch_execz .LBB19_33
; %bb.32:
	v_dual_mov_b32 v0, 0xfeffffff :: v_dual_mov_b32 v1, 0
	ds_store_2addr_b32 v7, v0, v0 offset1:32
	ds_store_2addr_b32 v2, v1, v1 offset1:32
.LBB19_33:
	s_wait_alu 0xfffe
	s_or_b32 exec_lo, exec_lo, s0
	v_cmp_eq_u32_e64 s0, 0, v217
	s_wait_storecnt_dscnt 0x0
	s_barrier_signal -1
	s_barrier_wait -1
	global_inv scope:SCOPE_SE
	s_and_saveexec_b32 s1, s0
; %bb.34:
	v_lshlrev_b32_e32 v0, 2, v30
	s_delay_alu instid0(VALU_DEP_1)
	v_add_nc_u32_e32 v0, 0x400, v0
	ds_store_2addr_b32 v0, v56, v57 offset1:32
; %bb.35:
	s_wait_alu 0xfffe
	s_or_b32 exec_lo, exec_lo, s1
	s_cmp_lt_i32 s33, s24
	s_wait_loadcnt_dscnt 0x0
	s_barrier_signal -1
	s_barrier_wait -1
	global_inv scope:SCOPE_SE
	s_cbranch_scc1 .LBB19_37
; %bb.36:
	s_load_b32 s4, s[2:3], 0xd4
	s_cbranch_execz .LBB19_38
	s_branch .LBB19_45
.LBB19_37:
                                        ; implicit-def: $sgpr4
.LBB19_38:
	ds_load_b32 v0, v7
	v_xor_b32_e32 v1, 16, v122
	v_xor_b32_e32 v4, 8, v122
	;; [unrolled: 1-line block ×5, first 2 shown]
	v_cmp_gt_i32_e32 vcc_lo, 32, v1
	v_lshlrev_b32_e32 v14, 3, v217
	s_wait_kmcnt 0x0
	s_load_b32 s4, s[2:3], 0xd4
	v_cndmask_b32_e32 v1, v122, v1, vcc_lo
	v_cmp_gt_i32_e32 vcc_lo, 32, v4
	s_wait_alu 0xfffd
	s_delay_alu instid0(VALU_DEP_2)
	v_dual_cndmask_b32 v4, v122, v4 :: v_dual_lshlrev_b32 v3, 2, v1
	v_cmp_gt_i32_e32 vcc_lo, 32, v5
	s_wait_dscnt 0x0
	ds_bpermute_b32 v1, v3, v0
	s_wait_alu 0xfffd
	v_dual_max_num_f32 v0, v0, v0 :: v_dual_cndmask_b32 v5, v122, v5
	v_cmp_gt_i32_e32 vcc_lo, 32, v6
	v_lshlrev_b32_e32 v4, 2, v4
	s_wait_alu 0xfffd
	v_cndmask_b32_e32 v6, v122, v6, vcc_lo
	v_cmp_gt_i32_e32 vcc_lo, 32, v8
	s_delay_alu instid0(VALU_DEP_2) | instskip(SKIP_3) | instid1(VALU_DEP_1)
	v_lshlrev_b32_e32 v6, 2, v6
	s_wait_alu 0xfffd
	v_dual_cndmask_b32 v8, v122, v8 :: v_dual_lshlrev_b32 v5, 2, v5
	s_wait_dscnt 0x0
	v_dual_max_num_f32 v1, v1, v1 :: v_dual_lshlrev_b32 v8, 2, v8
	s_delay_alu instid0(VALU_DEP_1) | instskip(SKIP_3) | instid1(VALU_DEP_1)
	v_max_num_f32_e32 v0, v0, v1
	ds_bpermute_b32 v1, v4, v0
	s_wait_dscnt 0x0
	v_max_num_f32_e32 v1, v1, v1
	v_max_num_f32_e32 v0, v0, v1
	ds_bpermute_b32 v1, v5, v0
	s_wait_dscnt 0x0
	v_max_num_f32_e32 v1, v1, v1
	s_delay_alu instid0(VALU_DEP_1) | instskip(SKIP_3) | instid1(VALU_DEP_1)
	v_max_num_f32_e32 v0, v0, v1
	ds_bpermute_b32 v1, v6, v0
	s_wait_dscnt 0x0
	v_max_num_f32_e32 v1, v1, v1
	v_max_num_f32_e32 v0, v0, v1
	ds_bpermute_b32 v1, v8, v0
	s_wait_dscnt 0x0
	v_max_num_f32_e32 v1, v1, v1
	s_delay_alu instid0(VALU_DEP_1) | instskip(NEXT) | instid1(VALU_DEP_1)
	v_max_num_f32_e32 v0, v0, v1
	v_sub_f32_e32 v1, v56, v0
	s_delay_alu instid0(VALU_DEP_1) | instskip(SKIP_1) | instid1(VALU_DEP_2)
	v_mul_f32_e32 v9, 0x3fb8aa3b, v1
	v_cmp_ngt_f32_e32 vcc_lo, 0xc2ce8ed0, v1
	v_fma_f32 v10, 0x3fb8aa3b, v1, -v9
	v_rndne_f32_e32 v11, v9
	s_delay_alu instid0(VALU_DEP_2) | instskip(NEXT) | instid1(VALU_DEP_2)
	v_fmamk_f32 v10, v1, 0x32a5705f, v10
	v_sub_f32_e32 v9, v9, v11
	s_delay_alu instid0(VALU_DEP_1) | instskip(SKIP_1) | instid1(VALU_DEP_2)
	v_add_f32_e32 v9, v9, v10
	v_cvt_i32_f32_e32 v10, v11
	v_exp_f32_e32 v9, v9
	s_delay_alu instid0(TRANS32_DEP_1) | instskip(SKIP_1) | instid1(VALU_DEP_1)
	v_ldexp_f32 v9, v9, v10
	s_wait_alu 0xfffd
	v_cndmask_b32_e32 v9, 0, v9, vcc_lo
	v_cmp_nlt_f32_e32 vcc_lo, 0x42b17218, v1
	s_wait_alu 0xfffd
	s_delay_alu instid0(VALU_DEP_2) | instskip(NEXT) | instid1(VALU_DEP_1)
	v_cndmask_b32_e32 v11, 0x7f800000, v9, vcc_lo
	v_mul_f32_e32 v1, v70, v11
	ds_bpermute_b32 v1, v3, v1
	s_wait_dscnt 0x0
	v_fmac_f32_e32 v1, v70, v11
	ds_bpermute_b32 v9, v4, v1
	s_wait_dscnt 0x0
	v_add_f32_e32 v1, v1, v9
	ds_bpermute_b32 v9, v5, v1
	s_wait_dscnt 0x0
	v_add_f32_e32 v1, v1, v9
	ds_load_b64 v[9:10], v213
	ds_bpermute_b32 v12, v6, v1
	s_wait_dscnt 0x0
	v_add_f32_e32 v1, v1, v12
	v_cvt_f16_f32_e32 v12, v11
	ds_bpermute_b32 v11, v8, v1
	v_and_b32_e32 v12, 0xffff, v12
	s_delay_alu instid0(VALU_DEP_1) | instskip(NEXT) | instid1(VALU_DEP_1)
	v_mul_u32_u24_e32 v13, 0x10001, v12
	v_pk_mul_f16 v12, v9, v13
	v_pk_mul_f16 v13, v10, v13
	v_add_nc_u32_e32 v10, v31, v14
	v_lshl_add_u32 v9, v30, 2, 0x500
	ds_store_b64 v213, v[12:13]
	ds_store_b64 v10, v[12:13]
	s_and_saveexec_b32 s1, s0
	s_cbranch_execz .LBB19_40
; %bb.39:
	s_wait_dscnt 0x2
	v_add_f32_e32 v1, v1, v11
	ds_store_b32 v9, v1
.LBB19_40:
	s_wait_alu 0xfffe
	s_or_b32 exec_lo, exec_lo, s1
	s_wait_loadcnt_dscnt 0x0
	s_barrier_signal -1
	s_barrier_wait -1
	global_inv scope:SCOPE_SE
	scratch_load_b32 v14, off, off          ; 4-byte Folded Reload
	ds_load_b32 v1, v2
	s_wait_kmcnt 0x0
	s_cmp_eq_u32 s4, 1
	s_mul_i32 s2, s26, s24
	s_cselect_b32 s1, -1, 0
	s_add_co_i32 s2, s33, s2
	s_wait_loadcnt 0x0
	ds_load_u16 v11, v14
	ds_load_u16 v12, v14 offset:256
	ds_load_u16 v13, v14 offset:512
	;; [unrolled: 1-line block ×3, first 2 shown]
	s_wait_dscnt 0x4
	ds_bpermute_b32 v15, v3, v1
	s_mul_i32 s2, s2, s25
	s_delay_alu instid0(SALU_CYCLE_1) | instskip(NEXT) | instid1(SALU_CYCLE_1)
	s_add_co_i32 s2, s2, s28
	s_mul_i32 s3, s4, s2
	s_delay_alu instid0(SALU_CYCLE_1)
	s_add_co_i32 s3, s3, s14
	s_wait_dscnt 0x4
	v_cvt_f32_f16_e32 v11, v11
	s_wait_dscnt 0x3
	v_cvt_f32_f16_e32 v12, v12
	;; [unrolled: 2-line block ×3, first 2 shown]
	s_wait_dscnt 0x0
	v_add_f32_e32 v1, v1, v15
	v_add_f32_e32 v11, 0, v11
	ds_bpermute_b32 v15, v4, v1
	s_wait_dscnt 0x0
	v_add_f32_e32 v1, v1, v15
	ds_bpermute_b32 v15, v5, v1
	s_wait_dscnt 0x0
	;; [unrolled: 3-line block ×3, first 2 shown]
	v_add_f32_e32 v1, v1, v15
	ds_bpermute_b32 v15, v8, v1
	v_add_f32_e32 v11, v11, v12
	v_cvt_f32_f16_e32 v12, v14
	s_wait_dscnt 0x0
	s_delay_alu instid0(VALU_DEP_2) | instskip(NEXT) | instid1(VALU_DEP_1)
	v_dual_add_f32 v70, v1, v15 :: v_dual_add_f32 v11, v11, v13
	v_add_f32_e32 v13, v11, v12
	s_delay_alu instid0(VALU_DEP_1) | instskip(SKIP_1) | instid1(VALU_DEP_2)
	v_div_scale_f32 v1, null, v70, v70, v13
	v_div_scale_f32 v14, vcc_lo, v13, v70, v13
	v_rcp_f32_e32 v11, v1
	s_delay_alu instid0(TRANS32_DEP_1) | instskip(NEXT) | instid1(VALU_DEP_1)
	v_fma_f32 v12, -v1, v11, 1.0
	v_fmac_f32_e32 v11, v12, v11
	s_delay_alu instid0(VALU_DEP_1) | instskip(NEXT) | instid1(VALU_DEP_1)
	v_mul_f32_e32 v12, v14, v11
	v_fma_f32 v15, -v1, v12, v14
	s_delay_alu instid0(VALU_DEP_1) | instskip(NEXT) | instid1(VALU_DEP_1)
	v_fmac_f32_e32 v12, v15, v11
	v_fma_f32 v1, -v1, v12, v14
	s_wait_alu 0xfffd
	s_delay_alu instid0(VALU_DEP_1) | instskip(SKIP_3) | instid1(VALU_DEP_3)
	v_div_fmas_f32 v1, v1, v11, v12
	v_mov_b32_e32 v12, 0
	v_lshl_or_b32 v11, s3, 7, v20
	s_or_b32 s3, s33, 1
	v_div_fixup_f32 v1, v1, v70, v13
	s_wait_alu 0xfffe
	s_cmp_ge_i32 s3, s24
	v_lshlrev_b64_e32 v[11:12], 2, v[11:12]
	s_delay_alu instid0(VALU_DEP_2) | instskip(SKIP_1) | instid1(VALU_DEP_3)
	v_cndmask_b32_e64 v13, v13, v1, s1
	v_mov_b32_e32 v1, v57
	v_add_co_u32 v11, vcc_lo, s16, v11
	s_wait_alu 0xfffd
	s_delay_alu instid0(VALU_DEP_4)
	v_add_co_ci_u32_e64 v12, null, s17, v12, vcc_lo
	global_store_b32 v[11:12], v13, off
	s_wait_storecnt 0x0
	s_barrier_signal -1
	s_barrier_wait -1
	global_inv scope:SCOPE_SE
	s_cbranch_scc1 .LBB19_44
; %bb.41:
	ds_load_b32 v1, v7 offset:128
	s_wait_dscnt 0x0
	ds_bpermute_b32 v7, v3, v1
	v_max_num_f32_e32 v1, v1, v1
	s_wait_dscnt 0x0
	v_max_num_f32_e32 v7, v7, v7
	s_delay_alu instid0(VALU_DEP_1) | instskip(SKIP_3) | instid1(VALU_DEP_1)
	v_max_num_f32_e32 v1, v1, v7
	ds_bpermute_b32 v7, v4, v1
	s_wait_dscnt 0x0
	v_max_num_f32_e32 v7, v7, v7
	v_max_num_f32_e32 v1, v1, v7
	ds_bpermute_b32 v7, v5, v1
	s_wait_dscnt 0x0
	v_max_num_f32_e32 v7, v7, v7
	s_delay_alu instid0(VALU_DEP_1) | instskip(SKIP_3) | instid1(VALU_DEP_1)
	v_max_num_f32_e32 v1, v1, v7
	ds_bpermute_b32 v7, v6, v1
	s_wait_dscnt 0x0
	v_max_num_f32_e32 v7, v7, v7
	v_max_num_f32_e32 v1, v1, v7
	ds_bpermute_b32 v7, v8, v1
	s_wait_dscnt 0x0
	v_max_num_f32_e32 v7, v7, v7
	s_delay_alu instid0(VALU_DEP_1) | instskip(NEXT) | instid1(VALU_DEP_1)
	v_max_num_f32_e32 v1, v1, v7
	v_sub_f32_e32 v7, v57, v1
	s_delay_alu instid0(VALU_DEP_1) | instskip(SKIP_1) | instid1(VALU_DEP_2)
	v_mul_f32_e32 v11, 0x3fb8aa3b, v7
	v_cmp_ngt_f32_e32 vcc_lo, 0xc2ce8ed0, v7
	v_fma_f32 v12, 0x3fb8aa3b, v7, -v11
	v_rndne_f32_e32 v13, v11
	s_delay_alu instid0(VALU_DEP_2) | instskip(NEXT) | instid1(VALU_DEP_2)
	v_fmamk_f32 v12, v7, 0x32a5705f, v12
	v_sub_f32_e32 v11, v11, v13
	s_delay_alu instid0(VALU_DEP_1) | instskip(SKIP_1) | instid1(VALU_DEP_2)
	v_add_f32_e32 v11, v11, v12
	v_cvt_i32_f32_e32 v12, v13
	v_exp_f32_e32 v11, v11
	s_delay_alu instid0(TRANS32_DEP_1) | instskip(SKIP_1) | instid1(VALU_DEP_1)
	v_ldexp_f32 v11, v11, v12
	s_wait_alu 0xfffd
	v_cndmask_b32_e32 v11, 0, v11, vcc_lo
	v_cmp_nlt_f32_e32 vcc_lo, 0x42b17218, v7
	s_wait_alu 0xfffd
	s_delay_alu instid0(VALU_DEP_2) | instskip(NEXT) | instid1(VALU_DEP_1)
	v_cndmask_b32_e32 v11, 0x7f800000, v11, vcc_lo
	v_mul_f32_e32 v7, v69, v11
	ds_bpermute_b32 v7, v3, v7
	s_wait_dscnt 0x0
	v_fmac_f32_e32 v7, v69, v11
	ds_bpermute_b32 v12, v4, v7
	s_wait_dscnt 0x0
	v_add_f32_e32 v7, v7, v12
	ds_bpermute_b32 v12, v5, v7
	s_wait_dscnt 0x0
	v_add_f32_e32 v7, v7, v12
	ds_load_b64 v[12:13], v213 offset:8
	ds_bpermute_b32 v14, v6, v7
	s_wait_dscnt 0x0
	v_add_f32_e32 v7, v7, v14
	v_cvt_f16_f32_e32 v14, v11
	ds_bpermute_b32 v11, v8, v7
	v_and_b32_e32 v14, 0xffff, v14
	s_delay_alu instid0(VALU_DEP_1) | instskip(NEXT) | instid1(VALU_DEP_1)
	v_mul_u32_u24_e32 v14, 0x10001, v14
	v_pk_mul_f16 v12, v12, v14
	v_pk_mul_f16 v13, v13, v14
	ds_store_b64 v213, v[12:13] offset:8
	ds_store_b64 v10, v[12:13]
	s_and_saveexec_b32 s3, s0
	s_cbranch_execz .LBB19_43
; %bb.42:
	s_wait_dscnt 0x2
	v_add_f32_e32 v7, v7, v11
	ds_store_b32 v9, v7 offset:128
.LBB19_43:
	s_wait_alu 0xfffe
	s_or_b32 exec_lo, exec_lo, s3
	s_wait_loadcnt_dscnt 0x0
	s_barrier_signal -1
	s_barrier_wait -1
	global_inv scope:SCOPE_SE
	scratch_load_b32 v11, off, off th:TH_LOAD_LU ; 4-byte Folded Reload
	ds_load_b32 v2, v2 offset:128
	s_add_co_i32 s2, s2, s25
	s_wait_loadcnt 0x0
	ds_load_u16 v7, v11
	ds_load_u16 v9, v11 offset:256
	ds_load_u16 v10, v11 offset:512
	;; [unrolled: 1-line block ×3, first 2 shown]
	s_wait_dscnt 0x4
	ds_bpermute_b32 v3, v3, v2
	s_wait_alu 0xfffe
	s_mul_i32 s0, s4, s2
	s_wait_alu 0xfffe
	s_add_co_i32 s0, s0, s14
	s_wait_dscnt 0x0
	v_add_f32_e32 v2, v2, v3
	ds_bpermute_b32 v3, v4, v2
	s_wait_dscnt 0x0
	v_add_f32_e32 v2, v2, v3
	ds_bpermute_b32 v3, v5, v2
	v_cvt_f32_f16_e32 v5, v9
	s_wait_dscnt 0x0
	v_add_f32_e32 v2, v2, v3
	ds_bpermute_b32 v3, v6, v2
	v_cvt_f32_f16_e32 v6, v10
	s_wait_dscnt 0x0
	v_add_f32_e32 v2, v2, v3
	v_cvt_f32_f16_e32 v3, v7
	ds_bpermute_b32 v4, v8, v2
	v_add_f32_e32 v3, 0, v3
	s_delay_alu instid0(VALU_DEP_1) | instskip(SKIP_1) | instid1(VALU_DEP_2)
	v_add_f32_e32 v3, v3, v5
	v_cvt_f32_f16_e32 v5, v11
	v_add_f32_e32 v3, v3, v6
	s_delay_alu instid0(VALU_DEP_1) | instskip(SKIP_2) | instid1(VALU_DEP_1)
	v_add_f32_e32 v5, v3, v5
	s_wait_dscnt 0x0
	v_add_f32_e32 v69, v2, v4
	v_div_scale_f32 v3, null, v69, v69, v5
	v_div_scale_f32 v6, vcc_lo, v5, v69, v5
	s_delay_alu instid0(VALU_DEP_2) | instskip(NEXT) | instid1(TRANS32_DEP_1)
	v_rcp_f32_e32 v4, v3
	v_fma_f32 v2, -v3, v4, 1.0
	s_delay_alu instid0(VALU_DEP_1) | instskip(NEXT) | instid1(VALU_DEP_1)
	v_fmac_f32_e32 v4, v2, v4
	v_mul_f32_e32 v7, v6, v4
	s_delay_alu instid0(VALU_DEP_1) | instskip(NEXT) | instid1(VALU_DEP_1)
	v_fma_f32 v2, -v3, v7, v6
	v_fmac_f32_e32 v7, v2, v4
	s_wait_alu 0xfffe
	v_lshl_or_b32 v2, s0, 7, v20
	s_delay_alu instid0(VALU_DEP_2) | instskip(SKIP_2) | instid1(VALU_DEP_2)
	v_fma_f32 v6, -v3, v7, v6
	v_mov_b32_e32 v3, 0
	s_wait_alu 0xfffd
	v_div_fmas_f32 v4, v6, v4, v7
	s_delay_alu instid0(VALU_DEP_2) | instskip(NEXT) | instid1(VALU_DEP_2)
	v_lshlrev_b64_e32 v[2:3], 2, v[2:3]
	v_div_fixup_f32 v4, v4, v69, v5
	s_delay_alu instid0(VALU_DEP_2) | instskip(SKIP_1) | instid1(VALU_DEP_3)
	v_add_co_u32 v2, vcc_lo, s16, v2
	s_wait_alu 0xfffd
	v_add_co_ci_u32_e64 v3, null, s17, v3, vcc_lo
	s_delay_alu instid0(VALU_DEP_3)
	v_cndmask_b32_e64 v4, v5, v4, s1
	global_store_b32 v[2:3], v4, off
.LBB19_44:
	v_dual_mov_b32 v57, v1 :: v_dual_mov_b32 v56, v0
.LBB19_45:
	v_or_b32_e32 v0, s33, v217
	v_cmp_gt_u32_e32 vcc_lo, 2, v20
	s_wait_kmcnt 0x0
	s_cmp_lg_u32 s4, 1
	s_cselect_b32 s1, -1, 0
	v_cmp_gt_i32_e64 s0, s24, v0
	s_wait_alu 0xfffe
	s_and_b32 s1, s1, vcc_lo
	s_wait_alu 0xfffe
	s_and_b32 s0, s1, s0
	s_wait_alu 0xfffe
	s_and_saveexec_b32 s1, s0
	s_cbranch_execz .LBB19_47
; %bb.46:
	v_mad_co_u64_u32 v[0:1], null, s26, s24, v[0:1]
	v_cmp_eq_u32_e32 vcc_lo, 1, v20
	s_wait_alu 0xfffd
	v_cndmask_b32_e32 v3, v70, v69, vcc_lo
	s_delay_alu instid0(VALU_DEP_3) | instskip(SKIP_1) | instid1(VALU_DEP_2)
	v_mad_co_u64_u32 v[0:1], null, v0, s25, s[28:29]
	v_cndmask_b32_e32 v2, v56, v57, vcc_lo
	v_mad_co_u64_u32 v[0:1], null, s4, v0, s[14:15]
	v_mov_b32_e32 v1, 0
	s_delay_alu instid0(VALU_DEP_1) | instskip(NEXT) | instid1(VALU_DEP_1)
	v_lshlrev_b64_e32 v[0:1], 3, v[0:1]
	v_add_co_u32 v0, vcc_lo, s18, v0
	s_wait_alu 0xfffd
	s_delay_alu instid0(VALU_DEP_2)
	v_add_co_ci_u32_e64 v1, null, s19, v1, vcc_lo
	global_store_b64 v[0:1], v[2:3], off
.LBB19_47:
	s_nop 0
	s_sendmsg sendmsg(MSG_DEALLOC_VGPRS)
	s_endpgm
	.section	.rodata,"a",@progbits
	.p2align	6, 0x0
	.amdhsa_kernel _ZL18flash_attn_ext_vecILi128ELi2EL9ggml_type3ELS0_2ELb0EEvPKcS2_S2_S2_S2_PKiPfP15HIP_vector_typeIfLj2EEffffjfiS6_IjLj3EEiiiiiiiiiiiliiliiiiil
		.amdhsa_group_segment_fixed_size 3584
		.amdhsa_private_segment_fixed_size 140
		.amdhsa_kernarg_size 464
		.amdhsa_user_sgpr_count 4
		.amdhsa_user_sgpr_dispatch_ptr 1
		.amdhsa_user_sgpr_queue_ptr 0
		.amdhsa_user_sgpr_kernarg_segment_ptr 1
		.amdhsa_user_sgpr_dispatch_id 0
		.amdhsa_user_sgpr_private_segment_size 0
		.amdhsa_wavefront_size32 1
		.amdhsa_uses_dynamic_stack 0
		.amdhsa_enable_private_segment 1
		.amdhsa_system_sgpr_workgroup_id_x 1
		.amdhsa_system_sgpr_workgroup_id_y 1
		.amdhsa_system_sgpr_workgroup_id_z 1
		.amdhsa_system_sgpr_workgroup_info 0
		.amdhsa_system_vgpr_workitem_id 2
		.amdhsa_next_free_vgpr 256
		.amdhsa_next_free_sgpr 55
		.amdhsa_reserve_vcc 1
		.amdhsa_float_round_mode_32 0
		.amdhsa_float_round_mode_16_64 0
		.amdhsa_float_denorm_mode_32 3
		.amdhsa_float_denorm_mode_16_64 3
		.amdhsa_fp16_overflow 0
		.amdhsa_workgroup_processor_mode 1
		.amdhsa_memory_ordered 1
		.amdhsa_forward_progress 1
		.amdhsa_inst_pref_size 234
		.amdhsa_round_robin_scheduling 0
		.amdhsa_exception_fp_ieee_invalid_op 0
		.amdhsa_exception_fp_denorm_src 0
		.amdhsa_exception_fp_ieee_div_zero 0
		.amdhsa_exception_fp_ieee_overflow 0
		.amdhsa_exception_fp_ieee_underflow 0
		.amdhsa_exception_fp_ieee_inexact 0
		.amdhsa_exception_int_div_zero 0
	.end_amdhsa_kernel
	.section	.text._ZL18flash_attn_ext_vecILi128ELi2EL9ggml_type3ELS0_2ELb0EEvPKcS2_S2_S2_S2_PKiPfP15HIP_vector_typeIfLj2EEffffjfiS6_IjLj3EEiiiiiiiiiiiliiliiiiil,"axG",@progbits,_ZL18flash_attn_ext_vecILi128ELi2EL9ggml_type3ELS0_2ELb0EEvPKcS2_S2_S2_S2_PKiPfP15HIP_vector_typeIfLj2EEffffjfiS6_IjLj3EEiiiiiiiiiiiliiliiiiil,comdat
.Lfunc_end19:
	.size	_ZL18flash_attn_ext_vecILi128ELi2EL9ggml_type3ELS0_2ELb0EEvPKcS2_S2_S2_S2_PKiPfP15HIP_vector_typeIfLj2EEffffjfiS6_IjLj3EEiiiiiiiiiiiliiliiiiil, .Lfunc_end19-_ZL18flash_attn_ext_vecILi128ELi2EL9ggml_type3ELS0_2ELb0EEvPKcS2_S2_S2_S2_PKiPfP15HIP_vector_typeIfLj2EEffffjfiS6_IjLj3EEiiiiiiiiiiiliiliiiiil
                                        ; -- End function
	.set _ZL18flash_attn_ext_vecILi128ELi2EL9ggml_type3ELS0_2ELb0EEvPKcS2_S2_S2_S2_PKiPfP15HIP_vector_typeIfLj2EEffffjfiS6_IjLj3EEiiiiiiiiiiiliiliiiiil.num_vgpr, 256
	.set _ZL18flash_attn_ext_vecILi128ELi2EL9ggml_type3ELS0_2ELb0EEvPKcS2_S2_S2_S2_PKiPfP15HIP_vector_typeIfLj2EEffffjfiS6_IjLj3EEiiiiiiiiiiiliiliiiiil.num_agpr, 0
	.set _ZL18flash_attn_ext_vecILi128ELi2EL9ggml_type3ELS0_2ELb0EEvPKcS2_S2_S2_S2_PKiPfP15HIP_vector_typeIfLj2EEffffjfiS6_IjLj3EEiiiiiiiiiiiliiliiiiil.numbered_sgpr, 55
	.set _ZL18flash_attn_ext_vecILi128ELi2EL9ggml_type3ELS0_2ELb0EEvPKcS2_S2_S2_S2_PKiPfP15HIP_vector_typeIfLj2EEffffjfiS6_IjLj3EEiiiiiiiiiiiliiliiiiil.num_named_barrier, 0
	.set _ZL18flash_attn_ext_vecILi128ELi2EL9ggml_type3ELS0_2ELb0EEvPKcS2_S2_S2_S2_PKiPfP15HIP_vector_typeIfLj2EEffffjfiS6_IjLj3EEiiiiiiiiiiiliiliiiiil.private_seg_size, 140
	.set _ZL18flash_attn_ext_vecILi128ELi2EL9ggml_type3ELS0_2ELb0EEvPKcS2_S2_S2_S2_PKiPfP15HIP_vector_typeIfLj2EEffffjfiS6_IjLj3EEiiiiiiiiiiiliiliiiiil.uses_vcc, 1
	.set _ZL18flash_attn_ext_vecILi128ELi2EL9ggml_type3ELS0_2ELb0EEvPKcS2_S2_S2_S2_PKiPfP15HIP_vector_typeIfLj2EEffffjfiS6_IjLj3EEiiiiiiiiiiiliiliiiiil.uses_flat_scratch, 1
	.set _ZL18flash_attn_ext_vecILi128ELi2EL9ggml_type3ELS0_2ELb0EEvPKcS2_S2_S2_S2_PKiPfP15HIP_vector_typeIfLj2EEffffjfiS6_IjLj3EEiiiiiiiiiiiliiliiiiil.has_dyn_sized_stack, 0
	.set _ZL18flash_attn_ext_vecILi128ELi2EL9ggml_type3ELS0_2ELb0EEvPKcS2_S2_S2_S2_PKiPfP15HIP_vector_typeIfLj2EEffffjfiS6_IjLj3EEiiiiiiiiiiiliiliiiiil.has_recursion, 0
	.set _ZL18flash_attn_ext_vecILi128ELi2EL9ggml_type3ELS0_2ELb0EEvPKcS2_S2_S2_S2_PKiPfP15HIP_vector_typeIfLj2EEffffjfiS6_IjLj3EEiiiiiiiiiiiliiliiiiil.has_indirect_call, 0
	.section	.AMDGPU.csdata,"",@progbits
; Kernel info:
; codeLenInByte = 29872
; TotalNumSgprs: 57
; NumVgprs: 256
; ScratchSize: 140
; MemoryBound: 0
; FloatMode: 240
; IeeeMode: 1
; LDSByteSize: 3584 bytes/workgroup (compile time only)
; SGPRBlocks: 0
; VGPRBlocks: 31
; NumSGPRsForWavesPerEU: 57
; NumVGPRsForWavesPerEU: 256
; Occupancy: 5
; WaveLimiterHint : 0
; COMPUTE_PGM_RSRC2:SCRATCH_EN: 1
; COMPUTE_PGM_RSRC2:USER_SGPR: 4
; COMPUTE_PGM_RSRC2:TRAP_HANDLER: 0
; COMPUTE_PGM_RSRC2:TGID_X_EN: 1
; COMPUTE_PGM_RSRC2:TGID_Y_EN: 1
; COMPUTE_PGM_RSRC2:TGID_Z_EN: 1
; COMPUTE_PGM_RSRC2:TIDIG_COMP_CNT: 2
	.section	.text._ZL33flash_attn_stream_k_fixup_uniformILi128ELi2ELi1EEvPfPK15HIP_vector_typeIfLj2EEiiiiiiS1_IjLj3EES5_S5_,"axG",@progbits,_ZL33flash_attn_stream_k_fixup_uniformILi128ELi2ELi1EEvPfPK15HIP_vector_typeIfLj2EEiiiiiiS1_IjLj3EES5_S5_,comdat
	.globl	_ZL33flash_attn_stream_k_fixup_uniformILi128ELi2ELi1EEvPfPK15HIP_vector_typeIfLj2EEiiiiiiS1_IjLj3EES5_S5_ ; -- Begin function _ZL33flash_attn_stream_k_fixup_uniformILi128ELi2ELi1EEvPfPK15HIP_vector_typeIfLj2EEiiiiiiS1_IjLj3EES5_S5_
	.p2align	8
	.type	_ZL33flash_attn_stream_k_fixup_uniformILi128ELi2ELi1EEvPfPK15HIP_vector_typeIfLj2EEiiiiiiS1_IjLj3EES5_S5_,@function
_ZL33flash_attn_stream_k_fixup_uniformILi128ELi2ELi1EEvPfPK15HIP_vector_typeIfLj2EEiiiiiiS1_IjLj3EES5_S5_: ; @_ZL33flash_attn_stream_k_fixup_uniformILi128ELi2ELi1EEvPfPK15HIP_vector_typeIfLj2EEiiiiiiS1_IjLj3EES5_S5_
; %bb.0:
	s_clause 0x1
	s_load_b256 s[4:11], s[0:1], 0x1c
	s_load_b128 s[12:15], s[0:1], 0x3c
	s_wait_kmcnt 0x0
	s_mul_hi_u32 s2, s7, ttmp9
	s_delay_alu instid0(SALU_CYCLE_1) | instskip(NEXT) | instid1(SALU_CYCLE_1)
	s_add_co_i32 s2, ttmp9, s2
	s_lshr_b32 s2, s2, s8
	s_delay_alu instid0(SALU_CYCLE_1) | instskip(SKIP_2) | instid1(SALU_CYCLE_1)
	s_mul_i32 s3, s2, s9
	s_load_b64 s[8:9], s[0:1], 0x10
	s_sub_co_i32 s7, ttmp9, s3
	s_mul_hi_u32 s3, s7, s10
	s_delay_alu instid0(SALU_CYCLE_1) | instskip(NEXT) | instid1(SALU_CYCLE_1)
	s_add_co_i32 s3, s7, s3
	s_lshr_b32 s3, s3, s11
	s_delay_alu instid0(SALU_CYCLE_1) | instskip(NEXT) | instid1(SALU_CYCLE_1)
	s_mul_i32 s10, s3, s12
	s_sub_co_i32 s7, s7, s10
	s_delay_alu instid0(SALU_CYCLE_1) | instskip(NEXT) | instid1(SALU_CYCLE_1)
	s_mul_hi_u32 s10, s7, s13
	s_add_co_i32 s10, s7, s10
	s_delay_alu instid0(SALU_CYCLE_1) | instskip(NEXT) | instid1(SALU_CYCLE_1)
	s_lshr_b32 s11, s10, s14
	s_mul_i32 s10, s11, s15
	s_delay_alu instid0(SALU_CYCLE_1) | instskip(SKIP_2) | instid1(SALU_CYCLE_1)
	s_sub_co_i32 s12, s7, s10
	s_and_b32 s7, ttmp7, 0xffff
	s_lshl_b32 s10, s12, 1
	s_add_co_i32 s13, s10, s7
	s_lshr_b32 s10, ttmp7, 16
	s_wait_kmcnt 0x0
	s_cmp_lt_i32 s13, s8
	s_cselect_b32 s13, -1, 0
	s_add_co_i32 s14, s11, s10
	s_delay_alu instid0(SALU_CYCLE_1) | instskip(SKIP_1) | instid1(SALU_CYCLE_1)
	s_cmp_lt_i32 s14, s5
	s_cselect_b32 s14, -1, 0
	s_and_b32 s13, s13, s14
	s_delay_alu instid0(SALU_CYCLE_1)
	s_and_not1_b32 vcc_lo, exec_lo, s13
	s_cbranch_vccnz .LBB20_6
; %bb.1:
	s_mul_i32 s2, s2, s8
	s_mul_i32 s5, s3, s5
	s_add_co_i32 s2, s2, s7
	s_delay_alu instid0(SALU_CYCLE_1) | instskip(NEXT) | instid1(SALU_CYCLE_1)
	s_mul_i32 s2, s2, s9
	s_add_co_i32 s8, s2, s10
	s_load_b128 s[0:3], s[0:1], 0x0
	s_add_co_i32 s5, s8, s5
	s_mul_i32 s8, s9, s12
	s_add_co_i32 s5, s5, s11
	s_lshl_b32 s8, s8, 8
	s_lshl_b32 s5, s5, 7
	s_add_co_i32 s9, s7, s10
	s_add_co_i32 s8, s8, s5
	s_delay_alu instid0(SALU_CYCLE_1) | instskip(SKIP_3) | instid1(SALU_CYCLE_1)
	v_or_b32_e32 v1, s8, v0
	s_mul_i32 s8, s6, ttmp9
	s_wait_alu 0xfffe
	s_add_co_i32 s5, s8, s6
	s_add_co_i32 s7, s5, -2
	v_ashrrev_i32_e32 v2, 31, v1
	s_delay_alu instid0(VALU_DEP_1) | instskip(SKIP_1) | instid1(VALU_DEP_1)
	v_lshlrev_b64_e32 v[1:2], 2, v[1:2]
	s_wait_kmcnt 0x0
	v_add_co_u32 v1, vcc_lo, s0, v1
	s_delay_alu instid0(VALU_DEP_1)
	v_add_co_ci_u32_e64 v2, null, s1, v2, vcc_lo
	s_lshl_b32 s0, s5, 1
	s_wait_alu 0xfffe
	s_add_co_i32 s0, s9, s0
	global_load_b32 v5, v[1:2], off
	s_wait_alu 0xfffe
	s_add_co_i32 s0, s0, -2
	s_wait_alu 0xfffe
	s_ashr_i32 s1, s0, 31
	s_wait_alu 0xfffe
	s_lshl_b64 s[0:1], s[0:1], 3
	s_cmp_lt_i32 s7, s8
	s_wait_alu 0xfffe
	s_add_nc_u64 s[0:1], s[2:3], s[0:1]
	s_load_b32 s10, s[0:1], 0x4
	s_cbranch_scc1 .LBB20_4
; %bb.2:
	s_load_b32 s0, s[0:1], 0x0
	s_add_co_i32 s7, ttmp9, 1
	s_wait_kmcnt 0x0
	v_mov_b32_e32 v6, s10
	s_mul_i32 s1, s6, s7
	s_lshl_b32 s7, s9, 7
	s_wait_alu 0xfffe
	s_lshl_b32 s11, s1, 8
	s_lshl_b32 s6, s4, 3
	s_wait_alu 0xfffe
	s_add_co_i32 s11, s7, s11
	s_lshl_b32 s1, s1, 1
	s_wait_alu 0xfffe
	v_or_b32_e32 v0, s11, v0
	s_ashr_i32 s7, s6, 31
	s_add_co_i32 s1, s9, s1
	s_lshl_b32 s4, s4, 1
	s_lshl_b64 s[6:7], s[6:7], 2
	v_add_nc_u32_e32 v3, 0xfffffe00, v0
	s_wait_alu 0xfffe
	s_add_co_i32 s4, s1, s4
	s_add_nc_u64 s[6:7], s[2:3], s[6:7]
	s_add_co_i32 s1, s5, -1
	s_add_co_i32 s4, s4, -4
.LBB20_3:                               ; =>This Inner Loop Header: Depth=1
	v_ashrrev_i32_e32 v4, 31, v3
	s_ashr_i32 s5, s4, 31
	v_mov_b32_e32 v10, v6
	s_lshl_b64 s[10:11], s[4:5], 3
	s_wait_loadcnt 0x0
	v_mov_b32_e32 v9, v5
	v_lshlrev_b64_e32 v[7:8], 2, v[3:4]
	s_wait_alu 0xfffe
	s_add_nc_u64 s[10:11], s[2:3], s[10:11]
	v_max_num_f32_e64 v4, s0, s0
	s_load_b64 s[10:11], s[10:11], 0x0
	v_add_nc_u32_e32 v3, 0xffffff00, v3
	v_add_co_u32 v7, vcc_lo, s6, v7
	s_wait_alu 0xfffd
	v_add_co_ci_u32_e64 v8, null, s7, v8, vcc_lo
	v_readfirstlane_b32 s5, v4
	global_load_b32 v0, v[7:8], off
	s_wait_kmcnt 0x0
	v_max_num_f32_e64 v4, s10, s10
	s_delay_alu instid0(VALU_DEP_1) | instskip(SKIP_1) | instid1(SALU_CYCLE_3)
	v_readfirstlane_b32 s9, v4
	s_max_num_f32 s5, s5, s9
	s_sub_f32 s0, s0, s5
	s_sub_f32 s9, s10, s5
	s_wait_alu 0xfffe
	s_delay_alu instid0(SALU_CYCLE_1) | instskip(NEXT) | instid1(SALU_CYCLE_1)
	s_mul_f32 s10, s0, 0x3fb8aa3b
	s_mul_f32 s12, s9, 0x3fb8aa3b
	s_wait_alu 0xfffe
	s_delay_alu instid0(SALU_CYCLE_1)
	s_xor_b32 s13, s10, 0x80000000
	s_rndne_f32 s14, s10
	s_fmamk_f32 s13, s0, 0x3fb8aa3b, s13
	s_cmp_nlt_f32 s0, 0xc2ce8ed0
	s_rndne_f32 s15, s12
	s_wait_alu 0xfffe
	s_sub_f32 s10, s10, s14
	s_fmamk_f32 s13, s0, 0x32a5705f, s13
	s_cvt_i32_f32 s14, s14
	s_cselect_b32 vcc_lo, -1, 0
	s_cmp_ngt_f32 s0, 0x42b17218
	s_wait_alu 0xfffe
	s_add_f32 s10, s10, s13
	s_sub_f32 s13, s12, s15
	s_wait_alu 0xfffe
	s_delay_alu instid0(SALU_CYCLE_1) | instskip(SKIP_1) | instid1(TRANS32_DEP_1)
	v_s_exp_f32 s10, s10
	s_wait_alu 0xf1ff
	v_ldexp_f32 v4, s10, s14
	s_cvt_i32_f32 s10, s15
	s_delay_alu instid0(VALU_DEP_1) | instskip(SKIP_3) | instid1(VALU_DEP_1)
	v_cndmask_b32_e32 v4, 0, v4, vcc_lo
	s_cselect_b32 vcc_lo, -1, 0
	s_cmp_ge_f32 s0, 0xc1a00000
	s_wait_alu 0xfffe
	v_cndmask_b32_e32 v4, 0x7f800000, v4, vcc_lo
	s_cselect_b32 vcc_lo, -1, 0
	s_xor_b32 s0, s12, 0x80000000
	s_cmp_nlt_f32 s9, 0xc2ce8ed0
	s_wait_alu 0xfffe
	s_fmamk_f32 s0, s9, 0x3fb8aa3b, s0
	s_wait_alu 0xfffe
	s_delay_alu instid0(SALU_CYCLE_2) | instskip(SKIP_1) | instid1(SALU_CYCLE_2)
	s_fmamk_f32 s0, s9, 0x32a5705f, s0
	s_wait_alu 0xfffe
	s_add_f32 s0, s13, s0
	s_wait_alu 0xfffe
	s_delay_alu instid0(SALU_CYCLE_2) | instskip(SKIP_1) | instid1(TRANS32_DEP_1)
	v_s_exp_f32 s0, s0
	s_wait_alu 0xf1ff
	v_ldexp_f32 v7, s0, s10
	s_cselect_b32 s0, -1, 0
	s_cmp_ngt_f32 s9, 0x42b17218
	s_wait_alu 0xfffe
	s_delay_alu instid0(VALU_DEP_1) | instskip(SKIP_3) | instid1(VALU_DEP_1)
	v_cndmask_b32_e64 v7, 0, v7, s0
	s_cselect_b32 s0, -1, 0
	s_cmp_ge_f32 s9, 0xc1a00000
	s_wait_alu 0xfffe
	v_cndmask_b32_e64 v7, 0x7f800000, v7, s0
	s_cselect_b32 s0, -1, 0
	s_add_co_i32 s1, s1, -1
	s_add_co_i32 s4, s4, -2
	s_wait_alu 0xfffe
	s_cmp_le_i32 s1, s8
	v_cndmask_b32_e64 v7, 0, v7, s0
	s_mov_b32 s0, s5
	s_wait_loadcnt 0x0
	s_delay_alu instid0(VALU_DEP_1) | instskip(NEXT) | instid1(VALU_DEP_1)
	v_dual_mul_f32 v5, v0, v7 :: v_dual_cndmask_b32 v4, 0, v4
	v_dual_mul_f32 v8, s11, v7 :: v_dual_fmac_f32 v5, v9, v4
	s_delay_alu instid0(VALU_DEP_1) | instskip(NEXT) | instid1(VALU_DEP_1)
	v_mov_b32_e32 v6, v8
	v_fmac_f32_e32 v6, v10, v4
	s_cbranch_scc0 .LBB20_3
	s_branch .LBB20_5
.LBB20_4:
	s_wait_kmcnt 0x0
	v_mov_b32_e32 v6, s10
.LBB20_5:
	s_wait_loadcnt 0x0
	s_delay_alu instid0(VALU_DEP_1) | instskip(NEXT) | instid1(VALU_DEP_1)
	v_div_scale_f32 v0, null, v6, v6, v5
	v_rcp_f32_e32 v3, v0
	s_delay_alu instid0(TRANS32_DEP_1) | instskip(NEXT) | instid1(VALU_DEP_1)
	v_fma_f32 v4, -v0, v3, 1.0
	v_fmac_f32_e32 v3, v4, v3
	v_div_scale_f32 v4, vcc_lo, v5, v6, v5
	s_delay_alu instid0(VALU_DEP_1) | instskip(NEXT) | instid1(VALU_DEP_1)
	v_mul_f32_e32 v7, v4, v3
	v_fma_f32 v8, -v0, v7, v4
	s_delay_alu instid0(VALU_DEP_1) | instskip(NEXT) | instid1(VALU_DEP_1)
	v_fmac_f32_e32 v7, v8, v3
	v_fma_f32 v0, -v0, v7, v4
	s_wait_alu 0xfffd
	s_delay_alu instid0(VALU_DEP_1) | instskip(NEXT) | instid1(VALU_DEP_1)
	v_div_fmas_f32 v0, v0, v3, v7
	v_div_fixup_f32 v0, v0, v6, v5
	global_store_b32 v[1:2], v0, off
.LBB20_6:
	s_endpgm
	.section	.rodata,"a",@progbits
	.p2align	6, 0x0
	.amdhsa_kernel _ZL33flash_attn_stream_k_fixup_uniformILi128ELi2ELi1EEvPfPK15HIP_vector_typeIfLj2EEiiiiiiS1_IjLj3EES5_S5_
		.amdhsa_group_segment_fixed_size 0
		.amdhsa_private_segment_fixed_size 0
		.amdhsa_kernarg_size 76
		.amdhsa_user_sgpr_count 2
		.amdhsa_user_sgpr_dispatch_ptr 0
		.amdhsa_user_sgpr_queue_ptr 0
		.amdhsa_user_sgpr_kernarg_segment_ptr 1
		.amdhsa_user_sgpr_dispatch_id 0
		.amdhsa_user_sgpr_private_segment_size 0
		.amdhsa_wavefront_size32 1
		.amdhsa_uses_dynamic_stack 0
		.amdhsa_enable_private_segment 0
		.amdhsa_system_sgpr_workgroup_id_x 1
		.amdhsa_system_sgpr_workgroup_id_y 1
		.amdhsa_system_sgpr_workgroup_id_z 1
		.amdhsa_system_sgpr_workgroup_info 0
		.amdhsa_system_vgpr_workitem_id 0
		.amdhsa_next_free_vgpr 11
		.amdhsa_next_free_sgpr 16
		.amdhsa_reserve_vcc 1
		.amdhsa_float_round_mode_32 0
		.amdhsa_float_round_mode_16_64 0
		.amdhsa_float_denorm_mode_32 3
		.amdhsa_float_denorm_mode_16_64 3
		.amdhsa_fp16_overflow 0
		.amdhsa_workgroup_processor_mode 1
		.amdhsa_memory_ordered 1
		.amdhsa_forward_progress 1
		.amdhsa_inst_pref_size 9
		.amdhsa_round_robin_scheduling 0
		.amdhsa_exception_fp_ieee_invalid_op 0
		.amdhsa_exception_fp_denorm_src 0
		.amdhsa_exception_fp_ieee_div_zero 0
		.amdhsa_exception_fp_ieee_overflow 0
		.amdhsa_exception_fp_ieee_underflow 0
		.amdhsa_exception_fp_ieee_inexact 0
		.amdhsa_exception_int_div_zero 0
	.end_amdhsa_kernel
	.section	.text._ZL33flash_attn_stream_k_fixup_uniformILi128ELi2ELi1EEvPfPK15HIP_vector_typeIfLj2EEiiiiiiS1_IjLj3EES5_S5_,"axG",@progbits,_ZL33flash_attn_stream_k_fixup_uniformILi128ELi2ELi1EEvPfPK15HIP_vector_typeIfLj2EEiiiiiiS1_IjLj3EES5_S5_,comdat
.Lfunc_end20:
	.size	_ZL33flash_attn_stream_k_fixup_uniformILi128ELi2ELi1EEvPfPK15HIP_vector_typeIfLj2EEiiiiiiS1_IjLj3EES5_S5_, .Lfunc_end20-_ZL33flash_attn_stream_k_fixup_uniformILi128ELi2ELi1EEvPfPK15HIP_vector_typeIfLj2EEiiiiiiS1_IjLj3EES5_S5_
                                        ; -- End function
	.set _ZL33flash_attn_stream_k_fixup_uniformILi128ELi2ELi1EEvPfPK15HIP_vector_typeIfLj2EEiiiiiiS1_IjLj3EES5_S5_.num_vgpr, 11
	.set _ZL33flash_attn_stream_k_fixup_uniformILi128ELi2ELi1EEvPfPK15HIP_vector_typeIfLj2EEiiiiiiS1_IjLj3EES5_S5_.num_agpr, 0
	.set _ZL33flash_attn_stream_k_fixup_uniformILi128ELi2ELi1EEvPfPK15HIP_vector_typeIfLj2EEiiiiiiS1_IjLj3EES5_S5_.numbered_sgpr, 16
	.set _ZL33flash_attn_stream_k_fixup_uniformILi128ELi2ELi1EEvPfPK15HIP_vector_typeIfLj2EEiiiiiiS1_IjLj3EES5_S5_.num_named_barrier, 0
	.set _ZL33flash_attn_stream_k_fixup_uniformILi128ELi2ELi1EEvPfPK15HIP_vector_typeIfLj2EEiiiiiiS1_IjLj3EES5_S5_.private_seg_size, 0
	.set _ZL33flash_attn_stream_k_fixup_uniformILi128ELi2ELi1EEvPfPK15HIP_vector_typeIfLj2EEiiiiiiS1_IjLj3EES5_S5_.uses_vcc, 1
	.set _ZL33flash_attn_stream_k_fixup_uniformILi128ELi2ELi1EEvPfPK15HIP_vector_typeIfLj2EEiiiiiiS1_IjLj3EES5_S5_.uses_flat_scratch, 0
	.set _ZL33flash_attn_stream_k_fixup_uniformILi128ELi2ELi1EEvPfPK15HIP_vector_typeIfLj2EEiiiiiiS1_IjLj3EES5_S5_.has_dyn_sized_stack, 0
	.set _ZL33flash_attn_stream_k_fixup_uniformILi128ELi2ELi1EEvPfPK15HIP_vector_typeIfLj2EEiiiiiiS1_IjLj3EES5_S5_.has_recursion, 0
	.set _ZL33flash_attn_stream_k_fixup_uniformILi128ELi2ELi1EEvPfPK15HIP_vector_typeIfLj2EEiiiiiiS1_IjLj3EES5_S5_.has_indirect_call, 0
	.section	.AMDGPU.csdata,"",@progbits
; Kernel info:
; codeLenInByte = 1120
; TotalNumSgprs: 18
; NumVgprs: 11
; ScratchSize: 0
; MemoryBound: 0
; FloatMode: 240
; IeeeMode: 1
; LDSByteSize: 0 bytes/workgroup (compile time only)
; SGPRBlocks: 0
; VGPRBlocks: 1
; NumSGPRsForWavesPerEU: 18
; NumVGPRsForWavesPerEU: 11
; Occupancy: 16
; WaveLimiterHint : 0
; COMPUTE_PGM_RSRC2:SCRATCH_EN: 0
; COMPUTE_PGM_RSRC2:USER_SGPR: 2
; COMPUTE_PGM_RSRC2:TRAP_HANDLER: 0
; COMPUTE_PGM_RSRC2:TGID_X_EN: 1
; COMPUTE_PGM_RSRC2:TGID_Y_EN: 1
; COMPUTE_PGM_RSRC2:TGID_Z_EN: 1
; COMPUTE_PGM_RSRC2:TIDIG_COMP_CNT: 0
	.section	.text._ZL33flash_attn_stream_k_fixup_generalILi128ELi2ELi1EEvPfPK15HIP_vector_typeIfLj2EEiiiiS1_IjLj3EES5_S5_S5_,"axG",@progbits,_ZL33flash_attn_stream_k_fixup_generalILi128ELi2ELi1EEvPfPK15HIP_vector_typeIfLj2EEiiiiS1_IjLj3EES5_S5_S5_,comdat
	.globl	_ZL33flash_attn_stream_k_fixup_generalILi128ELi2ELi1EEvPfPK15HIP_vector_typeIfLj2EEiiiiS1_IjLj3EES5_S5_S5_ ; -- Begin function _ZL33flash_attn_stream_k_fixup_generalILi128ELi2ELi1EEvPfPK15HIP_vector_typeIfLj2EEiiiiS1_IjLj3EES5_S5_S5_
	.p2align	8
	.type	_ZL33flash_attn_stream_k_fixup_generalILi128ELi2ELi1EEvPfPK15HIP_vector_typeIfLj2EEiiiiS1_IjLj3EES5_S5_S5_,@function
_ZL33flash_attn_stream_k_fixup_generalILi128ELi2ELi1EEvPfPK15HIP_vector_typeIfLj2EEiiiiS1_IjLj3EES5_S5_S5_: ; @_ZL33flash_attn_stream_k_fixup_generalILi128ELi2ELi1EEvPfPK15HIP_vector_typeIfLj2EEiiiiS1_IjLj3EES5_S5_S5_
; %bb.0:
	s_clause 0x1
	s_load_b128 s[4:7], s[0:1], 0x10
	s_load_b32 s16, s[0:1], 0x50
	s_mov_b32 s2, ttmp9
	s_ashr_i32 s3, ttmp9, 31
	s_mov_b32 s17, 0
	s_delay_alu instid0(SALU_CYCLE_1) | instskip(SKIP_3) | instid1(SALU_CYCLE_1)
	s_mov_b32 s8, s17
	s_wait_kmcnt 0x0
	s_ashr_i32 s19, s7, 31
	s_mov_b32 s18, s7
	s_mul_u64 s[2:3], s[18:19], s[2:3]
	s_delay_alu instid0(SALU_CYCLE_1) | instskip(NEXT) | instid1(SALU_CYCLE_1)
	s_mov_b32 s9, s3
	s_cmp_lg_u64 s[8:9], 0
	s_cbranch_scc0 .LBB21_21
; %bb.1:
	s_add_nc_u64 s[8:9], s[16:17], 0
	s_mov_b32 s15, s17
	s_xor_b64 s[8:9], s[8:9], 0
	s_mov_b32 s23, s17
	s_cvt_f32_u32 s7, s8
	s_cvt_f32_u32 s10, s9
	s_sub_nc_u64 s[12:13], 0, s[8:9]
	s_delay_alu instid0(SALU_CYCLE_2) | instskip(NEXT) | instid1(SALU_CYCLE_3)
	s_fmamk_f32 s7, s10, 0x4f800000, s7
	v_s_rcp_f32 s7, s7
	s_delay_alu instid0(TRANS32_DEP_1) | instskip(SKIP_1) | instid1(SALU_CYCLE_2)
	s_mul_f32 s7, s7, 0x5f7ffffc
	s_wait_alu 0xfffe
	s_mul_f32 s10, s7, 0x2f800000
	s_delay_alu instid0(SALU_CYCLE_3) | instskip(NEXT) | instid1(SALU_CYCLE_3)
	s_trunc_f32 s10, s10
	s_fmamk_f32 s7, s10, 0xcf800000, s7
	s_cvt_u32_f32 s11, s10
	s_wait_alu 0xfffe
	s_delay_alu instid0(SALU_CYCLE_1) | instskip(NEXT) | instid1(SALU_CYCLE_3)
	s_cvt_u32_f32 s10, s7
	s_mul_u64 s[20:21], s[12:13], s[10:11]
	s_delay_alu instid0(SALU_CYCLE_1)
	s_mul_hi_u32 s25, s10, s21
	s_mul_i32 s24, s10, s21
	s_mul_hi_u32 s14, s10, s20
	s_mul_i32 s22, s11, s20
	s_add_nc_u64 s[14:15], s[14:15], s[24:25]
	s_mul_hi_u32 s7, s11, s20
	s_mul_hi_u32 s26, s11, s21
	s_add_co_u32 s14, s14, s22
	s_wait_alu 0xfffe
	s_add_co_ci_u32 s22, s15, s7
	s_mul_i32 s20, s11, s21
	s_add_co_ci_u32 s21, s26, 0
	s_delay_alu instid0(SALU_CYCLE_1)
	s_add_nc_u64 s[14:15], s[22:23], s[20:21]
	s_mov_b32 s21, s17
	s_add_co_u32 s10, s10, s14
	s_cselect_b32 s7, -1, 0
	s_wait_alu 0xfffe
	s_cmp_lg_u32 s7, 0
	s_add_co_ci_u32 s11, s11, s15
	s_mov_b32 s15, s17
	s_mul_u64 s[12:13], s[12:13], s[10:11]
	s_delay_alu instid0(SALU_CYCLE_1)
	s_mul_hi_u32 s23, s10, s13
	s_mul_i32 s22, s10, s13
	s_mul_hi_u32 s14, s10, s12
	s_mul_i32 s20, s11, s12
	s_add_nc_u64 s[14:15], s[14:15], s[22:23]
	s_mul_hi_u32 s7, s11, s12
	s_mul_hi_u32 s24, s11, s13
	s_mul_i32 s12, s11, s13
	s_add_co_u32 s13, s14, s20
	s_wait_alu 0xfffe
	s_add_co_ci_u32 s20, s15, s7
	s_add_co_ci_u32 s13, s24, 0
	s_mov_b32 s15, s17
	s_add_nc_u64 s[12:13], s[20:21], s[12:13]
	s_delay_alu instid0(SALU_CYCLE_1) | instskip(SKIP_1) | instid1(SALU_CYCLE_1)
	s_add_co_u32 s7, s10, s12
	s_cselect_b32 s10, -1, 0
	s_cmp_lg_u32 s10, 0
	s_add_co_ci_u32 s20, s11, s13
	s_ashr_i32 s10, s3, 31
	s_delay_alu instid0(SALU_CYCLE_1) | instskip(NEXT) | instid1(SALU_CYCLE_1)
	s_mov_b32 s11, s10
	s_add_nc_u64 s[12:13], s[2:3], s[10:11]
	s_delay_alu instid0(SALU_CYCLE_1) | instskip(NEXT) | instid1(SALU_CYCLE_1)
	s_xor_b64 s[12:13], s[12:13], s[10:11]
	s_mul_hi_u32 s23, s12, s20
	s_mul_i32 s22, s12, s20
	s_wait_alu 0xfffe
	s_mul_hi_u32 s14, s12, s7
	s_mul_hi_u32 s24, s13, s7
	s_mul_i32 s7, s13, s7
	s_add_nc_u64 s[14:15], s[14:15], s[22:23]
	s_mul_hi_u32 s3, s13, s20
	s_wait_alu 0xfffe
	s_add_co_u32 s7, s14, s7
	s_mul_i32 s22, s13, s20
	s_add_co_ci_u32 s20, s15, s24
	s_add_co_ci_u32 s23, s3, 0
	s_delay_alu instid0(SALU_CYCLE_1) | instskip(NEXT) | instid1(SALU_CYCLE_1)
	s_add_nc_u64 s[14:15], s[20:21], s[22:23]
	s_mul_u64 s[20:21], s[8:9], s[14:15]
	s_delay_alu instid0(SALU_CYCLE_1)
	s_sub_co_u32 s3, s12, s20
	s_cselect_b32 s7, -1, 0
	s_sub_co_i32 s12, s13, s21
	s_wait_alu 0xfffe
	s_cmp_lg_u32 s7, 0
	s_sub_co_ci_u32 s12, s12, s9
	s_sub_co_u32 s20, s3, s8
	s_cselect_b32 s22, -1, 0
	s_delay_alu instid0(SALU_CYCLE_1) | instskip(SKIP_2) | instid1(SALU_CYCLE_1)
	s_cmp_lg_u32 s22, 0
	s_add_nc_u64 s[22:23], s[14:15], 1
	s_sub_co_ci_u32 s12, s12, 0
	s_cmp_ge_u32 s12, s9
	s_cselect_b32 s24, -1, 0
	s_cmp_ge_u32 s20, s8
	s_cselect_b32 s20, -1, 0
	s_cmp_eq_u32 s12, s9
	s_cselect_b32 s12, s20, s24
	s_add_nc_u64 s[24:25], s[14:15], 2
	s_cmp_lg_u32 s12, 0
	s_cselect_b32 s12, s24, s22
	s_cselect_b32 s20, s25, s23
	s_cmp_lg_u32 s7, 0
	s_sub_co_ci_u32 s7, s13, s21
	s_wait_alu 0xfffe
	s_cmp_ge_u32 s7, s9
	s_cselect_b32 s13, -1, 0
	s_cmp_ge_u32 s3, s8
	s_cselect_b32 s3, -1, 0
	s_cmp_eq_u32 s7, s9
	s_cselect_b32 s3, s3, s13
	s_delay_alu instid0(SALU_CYCLE_1) | instskip(SKIP_4) | instid1(SALU_CYCLE_1)
	s_cmp_lg_u32 s3, 0
	s_mov_b32 s3, s17
	s_cselect_b32 s9, s20, s15
	s_cselect_b32 s8, s12, s14
	s_xor_b64 s[10:11], s[10:11], 0
	s_xor_b64 s[8:9], s[8:9], s[10:11]
	s_delay_alu instid0(SALU_CYCLE_1)
	s_sub_nc_u64 s[20:21], s[8:9], s[10:11]
	s_and_not1_b32 vcc_lo, exec_lo, s3
	s_cbranch_vccnz .LBB21_3
.LBB21_2:
	v_cvt_f32_u32_e32 v1, s16
	s_sub_co_i32 s7, 0, s16
	s_delay_alu instid0(VALU_DEP_1) | instskip(NEXT) | instid1(TRANS32_DEP_1)
	v_rcp_iflag_f32_e32 v1, v1
	v_mul_f32_e32 v1, 0x4f7ffffe, v1
	s_delay_alu instid0(VALU_DEP_1) | instskip(NEXT) | instid1(VALU_DEP_1)
	v_cvt_u32_f32_e32 v1, v1
	v_readfirstlane_b32 s3, v1
	s_wait_alu 0xfffe
	s_mul_i32 s7, s7, s3
	s_wait_alu 0xfffe
	s_mul_hi_u32 s7, s3, s7
	s_wait_alu 0xfffe
	s_add_co_i32 s3, s3, s7
	s_delay_alu instid0(SALU_CYCLE_1) | instskip(NEXT) | instid1(SALU_CYCLE_1)
	s_mul_hi_u32 s3, s2, s3
	s_mul_i32 s7, s3, s16
	s_wait_alu 0xfffe
	s_sub_co_i32 s2, s2, s7
	s_add_co_i32 s7, s3, 1
	s_sub_co_i32 s8, s2, s16
	s_cmp_ge_u32 s2, s16
	s_wait_alu 0xfffe
	s_cselect_b32 s3, s7, s3
	s_cselect_b32 s2, s8, s2
	s_add_co_i32 s7, s3, 1
	s_cmp_ge_u32 s2, s16
	s_wait_alu 0xfffe
	s_cselect_b32 s20, s7, s3
.LBB21_3:
	s_add_co_i32 s2, ttmp9, 1
	s_mov_b32 s8, 0
	s_ashr_i32 s3, s2, 31
	s_delay_alu instid0(SALU_CYCLE_1) | instskip(NEXT) | instid1(SALU_CYCLE_1)
	s_mul_u64 s[2:3], s[18:19], s[2:3]
	s_mov_b32 s9, s3
	s_delay_alu instid0(SALU_CYCLE_1)
	s_cmp_lg_u64 s[8:9], 0
	s_cbranch_scc0 .LBB21_22
; %bb.4:
	s_add_nc_u64 s[10:11], s[16:17], 0
	s_mov_b32 s23, s8
	s_xor_b64 s[10:11], s[10:11], 0
	s_mov_b32 s27, s8
	s_cvt_f32_u32 s7, s10
	s_cvt_f32_u32 s9, s11
	s_sub_nc_u64 s[14:15], 0, s[10:11]
	s_wait_alu 0xfffe
	s_delay_alu instid0(SALU_CYCLE_1) | instskip(SKIP_1) | instid1(SALU_CYCLE_2)
	s_fmamk_f32 s7, s9, 0x4f800000, s7
	s_wait_alu 0xfffe
	v_s_rcp_f32 s7, s7
	s_delay_alu instid0(TRANS32_DEP_1) | instskip(SKIP_1) | instid1(SALU_CYCLE_2)
	s_mul_f32 s7, s7, 0x5f7ffffc
	s_wait_alu 0xfffe
	s_mul_f32 s9, s7, 0x2f800000
	s_delay_alu instid0(SALU_CYCLE_3) | instskip(NEXT) | instid1(SALU_CYCLE_3)
	s_trunc_f32 s9, s9
	s_fmamk_f32 s7, s9, 0xcf800000, s7
	s_cvt_u32_f32 s13, s9
	s_wait_alu 0xfffe
	s_delay_alu instid0(SALU_CYCLE_1) | instskip(NEXT) | instid1(SALU_CYCLE_3)
	s_cvt_u32_f32 s12, s7
	s_mul_u64 s[24:25], s[14:15], s[12:13]
	s_delay_alu instid0(SALU_CYCLE_1)
	s_mul_hi_u32 s29, s12, s25
	s_mul_i32 s28, s12, s25
	s_mul_hi_u32 s22, s12, s24
	s_mul_i32 s9, s13, s24
	s_add_nc_u64 s[22:23], s[22:23], s[28:29]
	s_mul_hi_u32 s7, s13, s24
	s_mul_hi_u32 s21, s13, s25
	s_add_co_u32 s9, s22, s9
	s_wait_alu 0xfffe
	s_add_co_ci_u32 s26, s23, s7
	s_mul_i32 s24, s13, s25
	s_add_co_ci_u32 s25, s21, 0
	s_delay_alu instid0(SALU_CYCLE_1)
	s_add_nc_u64 s[22:23], s[26:27], s[24:25]
	s_mov_b32 s25, s8
	s_add_co_u32 s12, s12, s22
	s_cselect_b32 s7, -1, 0
	s_wait_alu 0xfffe
	s_cmp_lg_u32 s7, 0
	s_add_co_ci_u32 s13, s13, s23
	s_mov_b32 s23, s8
	s_mul_u64 s[14:15], s[14:15], s[12:13]
	s_delay_alu instid0(SALU_CYCLE_1)
	s_mul_hi_u32 s27, s12, s15
	s_mul_i32 s26, s12, s15
	s_mul_hi_u32 s22, s12, s14
	s_mul_i32 s9, s13, s14
	s_add_nc_u64 s[22:23], s[22:23], s[26:27]
	s_mul_hi_u32 s7, s13, s14
	s_mul_hi_u32 s21, s13, s15
	s_add_co_u32 s9, s22, s9
	s_wait_alu 0xfffe
	s_add_co_ci_u32 s24, s23, s7
	s_mul_i32 s14, s13, s15
	s_add_co_ci_u32 s15, s21, 0
	s_mov_b32 s23, s8
	s_add_nc_u64 s[14:15], s[24:25], s[14:15]
	s_delay_alu instid0(SALU_CYCLE_1) | instskip(SKIP_1) | instid1(SALU_CYCLE_1)
	s_add_co_u32 s7, s12, s14
	s_cselect_b32 s9, -1, 0
	s_cmp_lg_u32 s9, 0
	s_add_co_ci_u32 s9, s13, s15
	s_ashr_i32 s12, s3, 31
	s_delay_alu instid0(SALU_CYCLE_1) | instskip(NEXT) | instid1(SALU_CYCLE_1)
	s_mov_b32 s13, s12
	s_add_nc_u64 s[14:15], s[2:3], s[12:13]
	s_delay_alu instid0(SALU_CYCLE_1) | instskip(NEXT) | instid1(SALU_CYCLE_1)
	s_xor_b64 s[14:15], s[14:15], s[12:13]
	s_mul_hi_u32 s27, s14, s9
	s_mul_i32 s26, s14, s9
	s_wait_alu 0xfffe
	s_mul_hi_u32 s22, s14, s7
	s_mul_hi_u32 s21, s15, s7
	s_mul_i32 s7, s15, s7
	s_add_nc_u64 s[22:23], s[22:23], s[26:27]
	s_mul_hi_u32 s3, s15, s9
	s_wait_alu 0xfffe
	s_add_co_u32 s7, s22, s7
	s_add_co_ci_u32 s24, s23, s21
	s_mul_i32 s26, s15, s9
	s_add_co_ci_u32 s27, s3, 0
	s_delay_alu instid0(SALU_CYCLE_1) | instskip(NEXT) | instid1(SALU_CYCLE_1)
	s_add_nc_u64 s[22:23], s[24:25], s[26:27]
	s_mul_u64 s[24:25], s[10:11], s[22:23]
	s_add_nc_u64 s[26:27], s[22:23], 1
	s_sub_co_u32 s3, s14, s24
	s_cselect_b32 s7, -1, 0
	s_sub_co_i32 s9, s15, s25
	s_wait_alu 0xfffe
	s_cmp_lg_u32 s7, 0
	s_add_nc_u64 s[28:29], s[22:23], 2
	s_sub_co_ci_u32 s9, s9, s11
	s_sub_co_u32 s14, s3, s10
	s_cselect_b32 s21, -1, 0
	s_delay_alu instid0(SALU_CYCLE_1) | instskip(SKIP_1) | instid1(SALU_CYCLE_1)
	s_cmp_lg_u32 s21, 0
	s_sub_co_ci_u32 s9, s9, 0
	s_cmp_ge_u32 s9, s11
	s_cselect_b32 s21, -1, 0
	s_cmp_ge_u32 s14, s10
	s_cselect_b32 s14, -1, 0
	s_cmp_eq_u32 s9, s11
	s_cselect_b32 s9, s14, s21
	s_delay_alu instid0(SALU_CYCLE_1)
	s_cmp_lg_u32 s9, 0
	s_cselect_b32 s9, s28, s26
	s_cselect_b32 s14, s29, s27
	s_cmp_lg_u32 s7, 0
	s_sub_co_ci_u32 s7, s15, s25
	s_wait_alu 0xfffe
	s_cmp_ge_u32 s7, s11
	s_cselect_b32 s15, -1, 0
	s_cmp_ge_u32 s3, s10
	s_cselect_b32 s3, -1, 0
	s_cmp_eq_u32 s7, s11
	s_cselect_b32 s3, s3, s15
	s_delay_alu instid0(SALU_CYCLE_1) | instskip(SKIP_3) | instid1(SALU_CYCLE_1)
	s_cmp_lg_u32 s3, 0
	s_cselect_b32 s11, s14, s23
	s_cselect_b32 s10, s9, s22
	s_xor_b64 s[12:13], s[12:13], 0
	s_xor_b64 s[10:11], s[10:11], s[12:13]
	s_delay_alu instid0(SALU_CYCLE_1)
	s_sub_nc_u64 s[10:11], s[10:11], s[12:13]
	s_load_b96 s[12:14], s[0:1], 0x44
	s_and_not1_b32 vcc_lo, exec_lo, s8
	s_cbranch_vccnz .LBB21_6
.LBB21_5:
	v_cvt_f32_u32_e32 v1, s16
	s_sub_co_i32 s7, 0, s16
	s_delay_alu instid0(VALU_DEP_1) | instskip(NEXT) | instid1(TRANS32_DEP_1)
	v_rcp_iflag_f32_e32 v1, v1
	v_mul_f32_e32 v1, 0x4f7ffffe, v1
	s_delay_alu instid0(VALU_DEP_1) | instskip(NEXT) | instid1(VALU_DEP_1)
	v_cvt_u32_f32_e32 v1, v1
	v_readfirstlane_b32 s3, v1
	s_wait_alu 0xfffe
	s_mul_i32 s7, s7, s3
	s_wait_alu 0xfffe
	s_mul_hi_u32 s7, s3, s7
	s_wait_alu 0xfffe
	s_add_co_i32 s3, s3, s7
	s_delay_alu instid0(SALU_CYCLE_1) | instskip(NEXT) | instid1(SALU_CYCLE_1)
	s_mul_hi_u32 s3, s2, s3
	s_mul_i32 s7, s3, s16
	s_wait_alu 0xfffe
	s_sub_co_i32 s2, s2, s7
	s_add_co_i32 s7, s3, 1
	s_sub_co_i32 s8, s2, s16
	s_cmp_ge_u32 s2, s16
	s_wait_alu 0xfffe
	s_cselect_b32 s3, s7, s3
	s_cselect_b32 s2, s8, s2
	s_add_co_i32 s7, s3, 1
	s_cmp_ge_u32 s2, s16
	s_wait_alu 0xfffe
	s_cselect_b32 s10, s7, s3
.LBB21_6:
	s_mov_b32 s21, 0
	s_wait_kmcnt 0x0
	s_mov_b32 s22, s12
	s_mov_b32 s23, s21
	s_cmp_eq_u32 s20, s10
	s_mul_u64 s[2:3], s[20:21], s[22:23]
	s_cselect_b32 s7, -1, 0
	s_add_co_i32 s2, s3, s20
	s_mov_b32 s11, s21
	s_lshr_b32 s12, s2, s13
	s_mul_u64 s[2:3], s[10:11], s[22:23]
	s_mul_i32 s2, s12, s14
	s_delay_alu instid0(SALU_CYCLE_1) | instskip(SKIP_2) | instid1(SALU_CYCLE_1)
	s_cmp_eq_u32 s2, s20
	s_cselect_b32 s2, -1, 0
	s_add_co_i32 s3, s3, s10
	s_lshr_b32 s3, s3, s13
	s_delay_alu instid0(SALU_CYCLE_1)
	s_cmp_eq_u32 s12, s3
	s_mul_i32 s3, s3, s14
	s_cselect_b32 s8, -1, 0
	s_cmp_lg_u32 s3, s10
	s_cselect_b32 s3, -1, 0
	s_wait_alu 0xfffe
	s_or_b32 s2, s7, s2
	s_and_b32 s3, s8, s3
	s_delay_alu instid0(SALU_CYCLE_1) | instskip(NEXT) | instid1(SALU_CYCLE_1)
	s_or_b32 s2, s2, s3
	s_and_b32 vcc_lo, exec_lo, s2
	s_cbranch_vccnz .LBB21_24
; %bb.7:
	s_load_b256 s[24:31], s[0:1], 0x20
	s_mov_b32 s3, s21
	s_and_b32 s15, ttmp7, 0xffff
	s_wait_kmcnt 0x0
	s_mov_b32 s2, s24
	s_delay_alu instid0(SALU_CYCLE_1) | instskip(NEXT) | instid1(SALU_CYCLE_1)
	s_mul_u64 s[2:3], s[20:21], s[2:3]
	s_add_co_i32 s2, s3, s20
	s_delay_alu instid0(SALU_CYCLE_1) | instskip(SKIP_4) | instid1(SALU_CYCLE_1)
	s_lshr_b32 s3, s2, s25
	s_load_b32 s2, s[0:1], 0x40
	s_mul_i32 s7, s3, s26
	s_wait_alu 0xfffe
	s_sub_co_i32 s8, s20, s7
	s_mul_hi_u32 s7, s8, s27
	s_wait_alu 0xfffe
	s_add_co_i32 s7, s8, s7
	s_wait_alu 0xfffe
	s_lshr_b32 s7, s7, s28
	s_wait_alu 0xfffe
	s_mul_i32 s9, s7, s29
	s_delay_alu instid0(SALU_CYCLE_1) | instskip(NEXT) | instid1(SALU_CYCLE_1)
	s_sub_co_i32 s8, s8, s9
	s_mul_hi_u32 s9, s8, s30
	s_delay_alu instid0(SALU_CYCLE_1) | instskip(NEXT) | instid1(SALU_CYCLE_1)
	s_add_co_i32 s9, s8, s9
	s_lshr_b32 s24, s9, s31
	s_mov_b32 s9, s21
	s_wait_kmcnt 0x0
	s_mul_i32 s2, s24, s2
	s_delay_alu instid0(SALU_CYCLE_1) | instskip(NEXT) | instid1(SALU_CYCLE_1)
	s_sub_co_i32 s8, s8, s2
	s_mul_u64 s[10:11], s[8:9], s[22:23]
	s_delay_alu instid0(SALU_CYCLE_1) | instskip(NEXT) | instid1(SALU_CYCLE_1)
	s_add_co_i32 s2, s8, s11
	s_lshr_b32 s21, s2, s13
	s_delay_alu instid0(SALU_CYCLE_1) | instskip(NEXT) | instid1(SALU_CYCLE_1)
	s_lshl_b32 s2, s21, 1
	s_add_co_i32 s8, s2, s15
	s_lshr_b32 s2, ttmp7, 16
	s_cmp_lt_i32 s8, s4
	s_cselect_b32 s8, -1, 0
	s_add_co_i32 s9, s24, s2
	s_delay_alu instid0(SALU_CYCLE_1) | instskip(SKIP_1) | instid1(SALU_CYCLE_1)
	s_cmp_lt_i32 s9, s6
	s_cselect_b32 s9, -1, 0
	s_and_b32 s8, s8, s9
	s_delay_alu instid0(SALU_CYCLE_1)
	s_and_not1_b32 vcc_lo, exec_lo, s8
	s_cbranch_vccnz .LBB21_24
; %bb.8:
	s_mul_i32 s3, s3, s4
	s_mul_i32 s7, s7, s6
	s_add_co_i32 s3, s3, s15
	s_load_b128 s[8:11], s[0:1], 0x0
	s_mul_i32 s3, s3, s5
	s_mul_i32 s1, s5, s21
	s_add_co_i32 s3, s3, s2
	s_lshl_b32 s1, s1, 8
	s_add_co_i32 s0, s3, s7
	s_add_co_i32 s15, s15, s2
	;; [unrolled: 1-line block ×3, first 2 shown]
	v_cvt_f32_u32_e32 v4, s16
	s_lshl_b32 s0, s0, 7
	s_add_co_i32 s34, ttmp9, -1
	s_add_co_i32 s1, s1, s0
	s_delay_alu instid0(VALU_DEP_1)
	v_rcp_iflag_f32_e32 v4, v4
	v_or_b32_e32 v1, s1, v0
	s_add_nc_u64 s[0:1], s[16:17], 0
	v_lshl_or_b32 v0, s15, 7, v0
	s_wait_alu 0xfffe
	s_xor_b64 s[6:7], s[0:1], 0
	s_lshl_b32 s0, ttmp9, 1
	v_ashrrev_i32_e32 v2, 31, v1
	s_wait_alu 0xfffe
	s_cvt_f32_u32 s1, s6
	s_cvt_f32_u32 s2, s7
	s_add_co_i32 s0, s0, s15
	s_sub_nc_u64 s[30:31], 0, s[6:7]
	v_lshlrev_b64_e32 v[1:2], 2, v[1:2]
	s_wait_alu 0xfffe
	s_fmamk_f32 s2, s2, 0x4f800000, s1
	s_ashr_i32 s1, s0, 31
	s_wait_alu 0xfffe
	s_lshl_b64 s[0:1], s[0:1], 3
	v_s_rcp_f32 s2, s2
	s_wait_kmcnt 0x0
	v_add_co_u32 v1, vcc_lo, s8, v1
	s_delay_alu instid0(VALU_DEP_1)
	v_add_co_ci_u32_e64 v2, null, s9, v2, vcc_lo
	s_wait_alu 0xfffe
	s_add_nc_u64 s[0:1], s[10:11], s[0:1]
	s_mov_b32 s8, 0
	s_load_b64 s[26:27], s[0:1], 0x0
	global_load_b32 v3, v[1:2], off
	s_mul_f32 s2, s2, 0x5f7ffffc
	v_mul_f32_e32 v4, 0x4f7ffffe, v4
	s_lshl_b32 s0, s16, 3
	s_wait_alu 0xfffe
	s_mul_f32 s1, s2, 0x2f800000
	s_wait_alu 0xfffe
	s_delay_alu instid0(SALU_CYCLE_2)
	s_trunc_f32 s3, s1
	s_mov_b32 s1, s8
	s_wait_alu 0xfffe
	s_lshl_b64 s[0:1], s[0:1], 2
	s_fmamk_f32 s2, s3, 0xcf800000, s2
	s_cvt_u32_f32 s29, s3
	s_wait_alu 0xfffe
	s_add_nc_u64 s[24:25], s[10:11], s[0:1]
	s_cvt_u32_f32 s28, s2
	s_wait_kmcnt 0x0
	v_mov_b32_e32 v5, s27
	v_cvt_u32_f32_e32 v4, v4
.LBB21_9:                               ; =>This Inner Loop Header: Depth=1
	s_wait_alu 0xfffe
	s_ashr_i32 s35, s34, 31
	s_mov_b32 s2, -1
	s_wait_alu 0xfffe
	s_mul_u64 s[0:1], s[34:35], s[18:19]
                                        ; implicit-def: $sgpr38_sgpr39
	s_wait_alu 0xfffe
	s_mov_b32 s9, s1
	s_wait_alu 0xfffe
	s_cmp_lg_u64 s[8:9], 0
	s_cbranch_scc0 .LBB21_11
; %bb.10:                               ;   in Loop: Header=BB21_9 Depth=1
	s_mul_u64 s[2:3], s[30:31], s[28:29]
	s_mov_b32 s37, s8
	s_wait_alu 0xfffe
	s_mul_hi_u32 s5, s28, s3
	s_mul_i32 s4, s28, s3
	s_mul_hi_u32 s36, s28, s2
	s_mul_hi_u32 s9, s29, s2
	s_wait_alu 0xfffe
	s_add_nc_u64 s[4:5], s[36:37], s[4:5]
	s_mul_i32 s2, s29, s2
	s_mul_hi_u32 s17, s29, s3
	s_wait_alu 0xfffe
	s_add_co_u32 s2, s4, s2
	s_add_co_ci_u32 s2, s5, s9
	s_add_co_ci_u32 s5, s17, 0
	s_mul_i32 s4, s29, s3
	s_mov_b32 s3, s8
	s_mov_b32 s39, s8
	s_wait_alu 0xfffe
	s_add_nc_u64 s[2:3], s[2:3], s[4:5]
	s_wait_alu 0xfffe
	s_add_co_u32 s2, s28, s2
	s_cselect_b32 s4, -1, 0
	s_wait_alu 0xfffe
	s_cmp_lg_u32 s4, 0
	s_add_co_ci_u32 s3, s29, s3
	s_wait_alu 0xfffe
	s_mul_u64 s[4:5], s[30:31], s[2:3]
	s_wait_alu 0xfffe
	s_mul_hi_u32 s37, s2, s5
	s_mul_i32 s36, s2, s5
	s_mul_hi_u32 s38, s2, s4
	s_mul_hi_u32 s9, s3, s4
	s_mul_i32 s4, s3, s4
	s_wait_alu 0xfffe
	s_add_nc_u64 s[36:37], s[38:39], s[36:37]
	s_mul_hi_u32 s17, s3, s5
	s_wait_alu 0xfffe
	s_add_co_u32 s4, s36, s4
	s_add_co_ci_u32 s4, s37, s9
	s_add_co_ci_u32 s37, s17, 0
	s_mul_i32 s36, s3, s5
	s_mov_b32 s5, s8
	s_wait_alu 0xfffe
	s_add_nc_u64 s[4:5], s[4:5], s[36:37]
	s_mov_b32 s37, s8
	s_wait_alu 0xfffe
	s_add_co_u32 s9, s2, s4
	s_cselect_b32 s2, -1, 0
	s_wait_alu 0xfffe
	s_cmp_lg_u32 s2, 0
	s_add_co_ci_u32 s17, s3, s5
	s_ashr_i32 s2, s1, 31
	s_wait_alu 0xfffe
	s_mov_b32 s3, s2
	s_wait_alu 0xfffe
	s_add_nc_u64 s[4:5], s[0:1], s[2:3]
	s_wait_alu 0xfffe
	s_xor_b64 s[4:5], s[4:5], s[2:3]
	s_wait_alu 0xfffe
	s_mul_hi_u32 s39, s4, s17
	s_mul_i32 s38, s4, s17
	s_mul_hi_u32 s36, s4, s9
	s_mul_i32 s21, s5, s9
	s_wait_alu 0xfffe
	s_add_nc_u64 s[36:37], s[36:37], s[38:39]
	s_mul_hi_u32 s9, s5, s9
	s_mul_hi_u32 s1, s5, s17
	s_wait_alu 0xfffe
	s_add_co_u32 s21, s36, s21
	s_add_co_ci_u32 s36, s37, s9
	s_add_co_ci_u32 s39, s1, 0
	s_mul_i32 s38, s5, s17
	s_mov_b32 s37, s8
	s_wait_alu 0xfffe
	s_add_nc_u64 s[36:37], s[36:37], s[38:39]
	s_wait_alu 0xfffe
	s_mul_u64 s[38:39], s[6:7], s[36:37]
	s_add_nc_u64 s[40:41], s[36:37], 1
	s_sub_co_u32 s1, s4, s38
	s_cselect_b32 s4, -1, 0
	s_sub_co_i32 s9, s5, s39
	s_wait_alu 0xfffe
	s_cmp_lg_u32 s4, 0
	s_add_nc_u64 s[42:43], s[36:37], 2
	s_sub_co_ci_u32 s9, s9, s7
	s_sub_co_u32 s17, s1, s6
	s_cselect_b32 s21, -1, 0
	s_delay_alu instid0(SALU_CYCLE_1)
	s_cmp_lg_u32 s21, 0
	s_wait_alu 0xfffe
	s_sub_co_ci_u32 s9, s9, 0
	s_wait_alu 0xfffe
	s_cmp_ge_u32 s9, s7
	s_cselect_b32 s21, -1, 0
	s_cmp_ge_u32 s17, s6
	s_cselect_b32 s17, -1, 0
	s_cmp_eq_u32 s9, s7
	s_wait_alu 0xfffe
	s_cselect_b32 s9, s17, s21
	s_wait_alu 0xfffe
	s_cmp_lg_u32 s9, 0
	s_cselect_b32 s9, s42, s40
	s_cselect_b32 s17, s43, s41
	s_cmp_lg_u32 s4, 0
	s_sub_co_ci_u32 s4, s5, s39
	s_wait_alu 0xfffe
	s_cmp_ge_u32 s4, s7
	s_cselect_b32 s5, -1, 0
	s_cmp_ge_u32 s1, s6
	s_cselect_b32 s1, -1, 0
	s_cmp_eq_u32 s4, s7
	s_wait_alu 0xfffe
	s_cselect_b32 s1, s1, s5
	s_wait_alu 0xfffe
	s_cmp_lg_u32 s1, 0
	s_cselect_b32 s5, s17, s37
	s_cselect_b32 s4, s9, s36
	s_xor_b64 s[2:3], s[2:3], 0
	s_wait_alu 0xfffe
	s_xor_b64 s[4:5], s[4:5], s[2:3]
	s_wait_alu 0xfffe
	s_sub_nc_u64 s[38:39], s[4:5], s[2:3]
	s_mov_b32 s2, 0
.LBB21_11:                              ;   in Loop: Header=BB21_9 Depth=1
	s_wait_alu 0xfffe
	s_and_not1_b32 vcc_lo, exec_lo, s2
	s_wait_alu 0xfffe
	s_cbranch_vccnz .LBB21_13
; %bb.12:                               ;   in Loop: Header=BB21_9 Depth=1
	v_readfirstlane_b32 s1, v4
	s_sub_co_i32 s2, 0, s16
	s_wait_alu 0xfffe
	s_mul_i32 s2, s2, s1
	s_wait_alu 0xfffe
	s_mul_hi_u32 s2, s1, s2
	s_wait_alu 0xfffe
	s_add_co_i32 s1, s1, s2
	s_wait_alu 0xfffe
	s_mul_hi_u32 s1, s0, s1
	s_wait_alu 0xfffe
	s_mul_i32 s2, s1, s16
	s_wait_alu 0xfffe
	s_sub_co_i32 s0, s0, s2
	s_add_co_i32 s2, s1, 1
	s_wait_alu 0xfffe
	s_sub_co_i32 s3, s0, s16
	s_cmp_ge_u32 s0, s16
	s_cselect_b32 s1, s2, s1
	s_wait_alu 0xfffe
	s_cselect_b32 s0, s3, s0
	s_add_co_i32 s2, s1, 1
	s_wait_alu 0xfffe
	s_cmp_ge_u32 s0, s16
	s_cselect_b32 s38, s2, s1
.LBB21_13:                              ;   in Loop: Header=BB21_9 Depth=1
	v_readfirstlane_b32 s9, v0
	s_cmp_lg_u32 s20, s38
	s_mov_b32 s0, -1
                                        ; implicit-def: $sgpr21
                                        ; implicit-def: $vgpr6
                                        ; implicit-def: $vgpr7
                                        ; implicit-def: $sgpr17
                                        ; implicit-def: $sgpr27
	s_cbranch_scc1 .LBB21_16
; %bb.14:                               ;   in Loop: Header=BB21_9 Depth=1
	s_wait_alu 0xfffe
	s_and_not1_b32 vcc_lo, exec_lo, s0
	s_wait_alu 0xfffe
	s_cbranch_vccz .LBB21_19
.LBB21_15:                              ;   in Loop: Header=BB21_9 Depth=1
	s_and_not1_b32 vcc_lo, exec_lo, s21
	s_wait_alu 0xfffe
	s_cbranch_vccnz .LBB21_20
	s_branch .LBB21_23
.LBB21_16:                              ;   in Loop: Header=BB21_9 Depth=1
	s_add_co_i32 s0, s34, s16
	s_mov_b32 s1, s8
	s_wait_alu 0xfffe
	s_lshl_b32 s0, s0, 1
	v_max_num_f32_e64 v6, s26, s26
	s_wait_alu 0xfffe
	s_add_co_i32 s0, s0, s15
	s_mov_b32 s39, s8
	s_wait_alu 0xfffe
	s_lshl_b64 s[0:1], s[0:1], 3
	s_mul_u64 s[40:41], s[38:39], s[22:23]
	s_wait_alu 0xfffe
	s_add_nc_u64 s[0:1], s[10:11], s[0:1]
	s_mov_b32 s27, s20
	s_load_b64 s[36:37], s[0:1], 0x0
	v_readfirstlane_b32 s0, v6
	s_wait_kmcnt 0x0
	v_max_num_f32_e64 v7, s36, s36
	s_delay_alu instid0(VALU_DEP_1) | instskip(SKIP_2) | instid1(SALU_CYCLE_2)
	v_readfirstlane_b32 s1, v7
	s_max_num_f32 s9, s0, s1
	s_wait_alu 0xfffe
	s_sub_f32 s33, s26, s9
	s_sub_f32 s35, s36, s9
	s_wait_alu 0xfffe
	s_delay_alu instid0(SALU_CYCLE_1)
	s_cmp_nlt_f32 s33, 0xc2ce8ed0
	s_cselect_b32 s0, -1, 0
	s_cmp_ngt_f32 s33, 0x42b17218
	s_cselect_b32 s1, -1, 0
	s_cmp_ge_f32 s33, 0xc1a00000
	s_cselect_b32 s2, -1, 0
	s_cmp_nlt_f32 s35, 0xc2ce8ed0
	s_cselect_b32 s3, -1, 0
	s_cmp_ngt_f32 s35, 0x42b17218
	s_cselect_b32 s4, -1, 0
	s_cmp_ge_f32 s35, 0xc1a00000
	s_cselect_b32 s5, -1, 0
	s_add_co_i32 s17, s41, s38
	s_wait_alu 0xfffe
	s_lshr_b32 s17, s17, s13
	s_wait_alu 0xfffe
	s_mul_i32 s21, s17, s14
	s_delay_alu instid0(SALU_CYCLE_1)
	s_cmp_eq_u32 s21, s38
	s_cselect_b32 s21, -1, 0
	s_cmp_lt_u32 s17, s12
	s_cselect_b32 s17, -1, 0
	s_wait_alu 0xfffe
	s_or_b32 s17, s17, s21
	s_mov_b32 s21, -1
	s_wait_alu 0xfffe
	s_and_b32 vcc_lo, exec_lo, s17
	s_mov_b32 s17, s34
	s_wait_alu 0xfffe
	s_cbranch_vccnz .LBB21_18
; %bb.17:                               ;   in Loop: Header=BB21_9 Depth=1
	s_add_co_i32 s17, s34, -1
	s_mov_b32 s21, 0
	s_mov_b32 s27, s38
.LBB21_18:                              ;   in Loop: Header=BB21_9 Depth=1
	v_lshl_add_u32 v6, s34, 8, v0
	s_mul_f32 s36, s35, 0x3fb8aa3b
	s_mul_f32 s38, s33, 0x3fb8aa3b
	s_wait_alu 0xfffe
	s_delay_alu instid0(SALU_CYCLE_1)
	s_xor_b32 s39, s36, 0x80000000
	v_ashrrev_i32_e32 v7, 31, v6
	s_rndne_f32 s40, s36
	s_fmamk_f32 s39, s35, 0x3fb8aa3b, s39
	s_xor_b32 s41, s38, 0x80000000
	s_rndne_f32 s42, s38
	v_lshlrev_b64_e32 v[6:7], 2, v[6:7]
	s_sub_f32 s36, s36, s40
	s_fmamk_f32 s35, s35, 0x32a5705f, s39
	s_fmamk_f32 s39, s33, 0x3fb8aa3b, s41
	s_sub_f32 s38, s38, s42
	s_delay_alu instid0(VALU_DEP_1)
	v_add_co_u32 v6, vcc_lo, s24, v6
	s_wait_alu 0xfffd
	v_add_co_ci_u32_e64 v7, null, s25, v7, vcc_lo
	s_wait_alu 0xfffe
	s_add_f32 s35, s36, s35
	s_fmamk_f32 s33, s33, 0x32a5705f, s39
	s_cvt_i32_f32 s36, s40
	global_load_b32 v6, v[6:7], off
	s_wait_alu 0xfffe
	v_s_exp_f32 s35, s35
	s_add_f32 s33, s38, s33
	s_wait_alu 0xfffe
	s_delay_alu instid0(SALU_CYCLE_2) | instskip(NEXT) | instid1(TRANS32_DEP_2)
	v_s_exp_f32 s33, s33
	v_ldexp_f32 v7, s35, s36
	s_cvt_i32_f32 s35, s42
	s_wait_alu 0xf1fe
	s_delay_alu instid0(TRANS32_DEP_1) | instid1(SALU_CYCLE_2)
	v_ldexp_f32 v8, s33, s35
	s_delay_alu instid0(VALU_DEP_2) | instskip(NEXT) | instid1(VALU_DEP_2)
	v_cndmask_b32_e64 v7, 0, v7, s3
	v_cndmask_b32_e64 v8, 0, v8, s0
	s_delay_alu instid0(VALU_DEP_2) | instskip(NEXT) | instid1(VALU_DEP_2)
	v_cndmask_b32_e64 v7, 0x7f800000, v7, s4
	v_cndmask_b32_e64 v8, 0x7f800000, v8, s1
	;; [unrolled: 3-line block ×3, first 2 shown]
	s_wait_loadcnt 0x0
	s_delay_alu instid0(VALU_DEP_2) | instskip(SKIP_1) | instid1(VALU_DEP_1)
	v_mul_f32_e32 v6, v6, v7
	v_mul_f32_e32 v7, s37, v7
	v_fmac_f32_e32 v7, v5, v8
	s_delay_alu instid0(VALU_DEP_3)
	v_fmac_f32_e32 v6, v3, v8
	s_cbranch_execnz .LBB21_15
.LBB21_19:                              ;   in Loop: Header=BB21_9 Depth=1
	s_wait_loadcnt 0x0
	v_dual_mov_b32 v7, v5 :: v_dual_mov_b32 v6, v3
	s_add_co_i32 s17, s34, -1
	s_mov_b32 s27, s20
	s_mov_b32 s9, s26
	s_cbranch_execz .LBB21_23
.LBB21_20:                              ;   in Loop: Header=BB21_9 Depth=1
	v_mov_b32_e32 v5, v7
	s_wait_loadcnt 0x0
	v_mov_b32_e32 v3, v6
	s_wait_alu 0xfffe
	s_mov_b32 s20, s27
	s_mov_b32 s34, s17
	;; [unrolled: 1-line block ×3, first 2 shown]
	s_branch .LBB21_9
.LBB21_21:
                                        ; implicit-def: $sgpr20_sgpr21
	s_branch .LBB21_2
.LBB21_22:
                                        ; implicit-def: $sgpr10_sgpr11
	s_load_b96 s[12:14], s[0:1], 0x44
	s_branch .LBB21_5
.LBB21_23:
	v_div_scale_f32 v0, null, v7, v7, v6
	s_wait_loadcnt 0x0
	s_delay_alu instid0(VALU_DEP_1) | instskip(NEXT) | instid1(TRANS32_DEP_1)
	v_rcp_f32_e32 v3, v0
	v_fma_f32 v4, -v0, v3, 1.0
	s_delay_alu instid0(VALU_DEP_1) | instskip(SKIP_1) | instid1(VALU_DEP_1)
	v_fmac_f32_e32 v3, v4, v3
	v_div_scale_f32 v4, vcc_lo, v6, v7, v6
	v_mul_f32_e32 v5, v4, v3
	s_delay_alu instid0(VALU_DEP_1) | instskip(NEXT) | instid1(VALU_DEP_1)
	v_fma_f32 v8, -v0, v5, v4
	v_fmac_f32_e32 v5, v8, v3
	s_delay_alu instid0(VALU_DEP_1) | instskip(SKIP_1) | instid1(VALU_DEP_1)
	v_fma_f32 v0, -v0, v5, v4
	s_wait_alu 0xfffd
	v_div_fmas_f32 v0, v0, v3, v5
	s_delay_alu instid0(VALU_DEP_1)
	v_div_fixup_f32 v0, v0, v7, v6
	global_store_b32 v[1:2], v0, off
.LBB21_24:
	s_endpgm
	.section	.rodata,"a",@progbits
	.p2align	6, 0x0
	.amdhsa_kernel _ZL33flash_attn_stream_k_fixup_generalILi128ELi2ELi1EEvPfPK15HIP_vector_typeIfLj2EEiiiiS1_IjLj3EES5_S5_S5_
		.amdhsa_group_segment_fixed_size 0
		.amdhsa_private_segment_fixed_size 0
		.amdhsa_kernarg_size 336
		.amdhsa_user_sgpr_count 2
		.amdhsa_user_sgpr_dispatch_ptr 0
		.amdhsa_user_sgpr_queue_ptr 0
		.amdhsa_user_sgpr_kernarg_segment_ptr 1
		.amdhsa_user_sgpr_dispatch_id 0
		.amdhsa_user_sgpr_private_segment_size 0
		.amdhsa_wavefront_size32 1
		.amdhsa_uses_dynamic_stack 0
		.amdhsa_enable_private_segment 0
		.amdhsa_system_sgpr_workgroup_id_x 1
		.amdhsa_system_sgpr_workgroup_id_y 1
		.amdhsa_system_sgpr_workgroup_id_z 1
		.amdhsa_system_sgpr_workgroup_info 0
		.amdhsa_system_vgpr_workitem_id 0
		.amdhsa_next_free_vgpr 9
		.amdhsa_next_free_sgpr 44
		.amdhsa_reserve_vcc 1
		.amdhsa_float_round_mode_32 0
		.amdhsa_float_round_mode_16_64 0
		.amdhsa_float_denorm_mode_32 3
		.amdhsa_float_denorm_mode_16_64 3
		.amdhsa_fp16_overflow 0
		.amdhsa_workgroup_processor_mode 1
		.amdhsa_memory_ordered 1
		.amdhsa_forward_progress 1
		.amdhsa_inst_pref_size 28
		.amdhsa_round_robin_scheduling 0
		.amdhsa_exception_fp_ieee_invalid_op 0
		.amdhsa_exception_fp_denorm_src 0
		.amdhsa_exception_fp_ieee_div_zero 0
		.amdhsa_exception_fp_ieee_overflow 0
		.amdhsa_exception_fp_ieee_underflow 0
		.amdhsa_exception_fp_ieee_inexact 0
		.amdhsa_exception_int_div_zero 0
	.end_amdhsa_kernel
	.section	.text._ZL33flash_attn_stream_k_fixup_generalILi128ELi2ELi1EEvPfPK15HIP_vector_typeIfLj2EEiiiiS1_IjLj3EES5_S5_S5_,"axG",@progbits,_ZL33flash_attn_stream_k_fixup_generalILi128ELi2ELi1EEvPfPK15HIP_vector_typeIfLj2EEiiiiS1_IjLj3EES5_S5_S5_,comdat
.Lfunc_end21:
	.size	_ZL33flash_attn_stream_k_fixup_generalILi128ELi2ELi1EEvPfPK15HIP_vector_typeIfLj2EEiiiiS1_IjLj3EES5_S5_S5_, .Lfunc_end21-_ZL33flash_attn_stream_k_fixup_generalILi128ELi2ELi1EEvPfPK15HIP_vector_typeIfLj2EEiiiiS1_IjLj3EES5_S5_S5_
                                        ; -- End function
	.set _ZL33flash_attn_stream_k_fixup_generalILi128ELi2ELi1EEvPfPK15HIP_vector_typeIfLj2EEiiiiS1_IjLj3EES5_S5_S5_.num_vgpr, 9
	.set _ZL33flash_attn_stream_k_fixup_generalILi128ELi2ELi1EEvPfPK15HIP_vector_typeIfLj2EEiiiiS1_IjLj3EES5_S5_S5_.num_agpr, 0
	.set _ZL33flash_attn_stream_k_fixup_generalILi128ELi2ELi1EEvPfPK15HIP_vector_typeIfLj2EEiiiiS1_IjLj3EES5_S5_S5_.numbered_sgpr, 44
	.set _ZL33flash_attn_stream_k_fixup_generalILi128ELi2ELi1EEvPfPK15HIP_vector_typeIfLj2EEiiiiS1_IjLj3EES5_S5_S5_.num_named_barrier, 0
	.set _ZL33flash_attn_stream_k_fixup_generalILi128ELi2ELi1EEvPfPK15HIP_vector_typeIfLj2EEiiiiS1_IjLj3EES5_S5_S5_.private_seg_size, 0
	.set _ZL33flash_attn_stream_k_fixup_generalILi128ELi2ELi1EEvPfPK15HIP_vector_typeIfLj2EEiiiiS1_IjLj3EES5_S5_S5_.uses_vcc, 1
	.set _ZL33flash_attn_stream_k_fixup_generalILi128ELi2ELi1EEvPfPK15HIP_vector_typeIfLj2EEiiiiS1_IjLj3EES5_S5_S5_.uses_flat_scratch, 0
	.set _ZL33flash_attn_stream_k_fixup_generalILi128ELi2ELi1EEvPfPK15HIP_vector_typeIfLj2EEiiiiS1_IjLj3EES5_S5_S5_.has_dyn_sized_stack, 0
	.set _ZL33flash_attn_stream_k_fixup_generalILi128ELi2ELi1EEvPfPK15HIP_vector_typeIfLj2EEiiiiS1_IjLj3EES5_S5_S5_.has_recursion, 0
	.set _ZL33flash_attn_stream_k_fixup_generalILi128ELi2ELi1EEvPfPK15HIP_vector_typeIfLj2EEiiiiS1_IjLj3EES5_S5_S5_.has_indirect_call, 0
	.section	.AMDGPU.csdata,"",@progbits
; Kernel info:
; codeLenInByte = 3556
; TotalNumSgprs: 46
; NumVgprs: 9
; ScratchSize: 0
; MemoryBound: 0
; FloatMode: 240
; IeeeMode: 1
; LDSByteSize: 0 bytes/workgroup (compile time only)
; SGPRBlocks: 0
; VGPRBlocks: 1
; NumSGPRsForWavesPerEU: 46
; NumVGPRsForWavesPerEU: 9
; Occupancy: 16
; WaveLimiterHint : 0
; COMPUTE_PGM_RSRC2:SCRATCH_EN: 0
; COMPUTE_PGM_RSRC2:USER_SGPR: 2
; COMPUTE_PGM_RSRC2:TRAP_HANDLER: 0
; COMPUTE_PGM_RSRC2:TGID_X_EN: 1
; COMPUTE_PGM_RSRC2:TGID_Y_EN: 1
; COMPUTE_PGM_RSRC2:TGID_Z_EN: 1
; COMPUTE_PGM_RSRC2:TIDIG_COMP_CNT: 0
	.section	.text._ZL18flash_attn_ext_vecILi128ELi2EL9ggml_type3ELS0_2ELb1EEvPKcS2_S2_S2_S2_PKiPfP15HIP_vector_typeIfLj2EEffffjfiS6_IjLj3EEiiiiiiiiiiiliiliiiiil,"axG",@progbits,_ZL18flash_attn_ext_vecILi128ELi2EL9ggml_type3ELS0_2ELb1EEvPKcS2_S2_S2_S2_PKiPfP15HIP_vector_typeIfLj2EEffffjfiS6_IjLj3EEiiiiiiiiiiiliiliiiiil,comdat
	.globl	_ZL18flash_attn_ext_vecILi128ELi2EL9ggml_type3ELS0_2ELb1EEvPKcS2_S2_S2_S2_PKiPfP15HIP_vector_typeIfLj2EEffffjfiS6_IjLj3EEiiiiiiiiiiiliiliiiiil ; -- Begin function _ZL18flash_attn_ext_vecILi128ELi2EL9ggml_type3ELS0_2ELb1EEvPKcS2_S2_S2_S2_PKiPfP15HIP_vector_typeIfLj2EEffffjfiS6_IjLj3EEiiiiiiiiiiiliiliiiiil
	.p2align	8
	.type	_ZL18flash_attn_ext_vecILi128ELi2EL9ggml_type3ELS0_2ELb1EEvPKcS2_S2_S2_S2_PKiPfP15HIP_vector_typeIfLj2EEffffjfiS6_IjLj3EEiiiiiiiiiiiliiliiiiil,@function
_ZL18flash_attn_ext_vecILi128ELi2EL9ggml_type3ELS0_2ELb1EEvPKcS2_S2_S2_S2_PKiPfP15HIP_vector_typeIfLj2EEffffjfiS6_IjLj3EEiiiiiiiiiiiliiliiiiil: ; @_ZL18flash_attn_ext_vecILi128ELi2EL9ggml_type3ELS0_2ELb1EEvPKcS2_S2_S2_S2_PKiPfP15HIP_vector_typeIfLj2EEffffjfiS6_IjLj3EEiiiiiiiiiiiliiliiiiil
; %bb.0:
	s_clause 0x2
	s_load_b64 s[24:25], s[2:3], 0x64
	s_load_b64 s[36:37], s[2:3], 0x80
	;; [unrolled: 1-line block ×3, first 2 shown]
	s_lshr_b32 s6, ttmp7, 16
	s_clause 0x1
	s_load_b128 s[20:23], s[2:3], 0x40
	s_load_b64 s[30:31], s[2:3], 0x50
	v_mov_b32_e32 v219, 1.0
	s_mov_b32 s39, 0
	s_wait_kmcnt 0x0
	s_cvt_f32_u32 s4, s25
	s_sub_co_i32 s5, 0, s25
	s_delay_alu instid0(SALU_CYCLE_2) | instskip(NEXT) | instid1(TRANS32_DEP_1)
	v_rcp_iflag_f32_e32 v1, s4
	v_readfirstlane_b32 s4, v1
	s_mul_f32 s4, s4, 0x4f7ffffe
	s_wait_alu 0xfffe
	s_delay_alu instid0(SALU_CYCLE_2) | instskip(SKIP_1) | instid1(SALU_CYCLE_2)
	s_cvt_u32_f32 s4, s4
	s_wait_alu 0xfffe
	s_mul_i32 s5, s5, s4
	s_wait_alu 0xfffe
	s_mul_hi_u32 s5, s4, s5
	s_wait_alu 0xfffe
	s_add_co_i32 s4, s4, s5
	s_wait_alu 0xfffe
	s_mul_hi_u32 s4, s6, s4
	s_wait_alu 0xfffe
	s_mul_i32 s5, s4, s25
	s_add_co_i32 s7, s4, 1
	s_wait_alu 0xfffe
	s_sub_co_i32 s5, s6, s5
	s_wait_alu 0xfffe
	s_sub_co_i32 s8, s5, s25
	s_cmp_ge_u32 s5, s25
	s_cselect_b32 s4, s7, s4
	s_cselect_b32 s5, s8, s5
	s_wait_alu 0xfffe
	s_add_co_i32 s7, s4, 1
	s_cmp_ge_u32 s5, s25
	s_cselect_b32 s26, s7, s4
	s_abs_i32 s4, s37
	s_abs_i32 s9, s25
	s_wait_alu 0xfffe
	s_cvt_f32_u32 s5, s4
	s_sub_co_i32 s7, 0, s4
	s_xor_b32 s8, s25, s37
	s_wait_alu 0xfffe
	v_rcp_iflag_f32_e32 v1, s5
	s_ashr_i32 s8, s8, 31
	s_delay_alu instid0(TRANS32_DEP_1) | instskip(SKIP_2) | instid1(SALU_CYCLE_2)
	v_readfirstlane_b32 s5, v1
	s_mul_f32 s5, s5, 0x4f7ffffe
	s_wait_alu 0xfffe
	s_cvt_u32_f32 s5, s5
	s_wait_alu 0xfffe
	s_delay_alu instid0(SALU_CYCLE_2) | instskip(NEXT) | instid1(SALU_CYCLE_1)
	s_mul_i32 s7, s7, s5
	s_mul_hi_u32 s7, s5, s7
	s_delay_alu instid0(SALU_CYCLE_1)
	s_add_co_i32 s5, s5, s7
	s_mul_i32 s7, s26, s25
	s_wait_alu 0xfffe
	s_mul_hi_u32 s5, s9, s5
	s_sub_co_i32 s28, s6, s7
	s_wait_alu 0xfffe
	s_mul_i32 s10, s5, s4
	s_add_co_i32 s7, s5, 1
	s_sub_co_i32 s6, s9, s10
	s_delay_alu instid0(SALU_CYCLE_1)
	s_sub_co_i32 s9, s6, s4
	s_cmp_ge_u32 s6, s4
	s_cselect_b32 s5, s7, s5
	s_cselect_b32 s6, s9, s6
	s_wait_alu 0xfffe
	s_add_co_i32 s7, s5, 1
	s_cmp_ge_u32 s6, s4
	s_cselect_b32 s4, s7, s5
	s_abs_i32 s34, s40
	s_wait_alu 0xfffe
	s_xor_b32 s4, s4, s8
	s_wait_alu 0xfffe
	s_sub_co_i32 s27, s4, s8
	s_cvt_f32_u32 s4, s34
	s_abs_i32 s37, s27
	s_cmp_le_f32 s21, 0
	s_cvt_f32_u32 s5, s37
	s_wait_alu 0xfffe
	v_rcp_iflag_f32_e32 v1, s4
	s_delay_alu instid0(SALU_CYCLE_1) | instskip(NEXT) | instid1(TRANS32_DEP_2)
	v_rcp_iflag_f32_e32 v2, s5
	v_readfirstlane_b32 s33, v1
	s_delay_alu instid0(TRANS32_DEP_1)
	v_readfirstlane_b32 s38, v2
	s_cbranch_scc1 .LBB22_2
; %bb.1:
	v_sub_co_u32 v1, s4, s28, s30
	s_and_b32 s6, s4, exec_lo
	s_cselect_b32 s6, s22, s23
	s_add_co_i32 s7, s28, 1
	v_readfirstlane_b32 s5, v1
	s_lshl_b32 s5, s5, 1
	s_wait_alu 0xfffe
	s_or_b32 s5, s5, 1
	s_and_b32 s4, s4, exec_lo
	s_wait_alu 0xfffe
	s_cselect_b32 s4, s7, s5
	s_cmp_neq_f32 s6, 1.0
	s_wait_alu 0xfffe
	s_cvt_f32_i32 s4, s4
	s_wait_alu 0xfffe
	s_delay_alu instid0(SALU_CYCLE_2)
	s_cselect_b32 s5, s4, 1.0
	s_wait_alu 0xfffe
	s_cmp_neq_f32 s5, 0
	s_cselect_b32 s4, s6, 1.0
	s_wait_alu 0xfffe
	v_frexp_mant_f32_e64 v1, |s4|
	s_delay_alu instid0(VALU_DEP_1) | instskip(SKIP_3) | instid1(SALU_CYCLE_1)
	v_readfirstlane_b32 s6, v1
	v_cvt_f64_f32_e64 v[1:2], |s4|
	s_cmp_lt_f32 s6, 0x3f2aaaab
	s_cselect_b32 s7, -1, 0
	s_and_b32 s8, s7, exec_lo
	s_cselect_b32 s8, 2.0, 1.0
	s_delay_alu instid0(SALU_CYCLE_1) | instskip(NEXT) | instid1(SALU_CYCLE_3)
	s_mul_f32 s6, s6, s8
	s_add_f32 s8, s6, 1.0
	s_add_f32 s10, s6, -1.0
	s_delay_alu instid0(SALU_CYCLE_2) | instskip(SKIP_1) | instid1(SALU_CYCLE_3)
	v_s_rcp_f32 s9, s8
	s_add_f32 s13, s8, -1.0
	s_sub_f32 s6, s6, s13
	s_delay_alu instid0(TRANS32_DEP_1) | instskip(NEXT) | instid1(SALU_CYCLE_3)
	s_mul_f32 s11, s10, s9
	s_mul_f32 s12, s8, s11
	s_delay_alu instid0(SALU_CYCLE_3) | instskip(NEXT) | instid1(VALU_DEP_1)
	s_xor_b32 s14, s12, 0x80000000
	v_frexp_exp_i32_f64_e32 v1, v[1:2]
	s_fmac_f32 s14, s11, s8
	s_delay_alu instid0(SALU_CYCLE_3) | instskip(NEXT) | instid1(SALU_CYCLE_3)
	s_fmac_f32 s14, s11, s6
	s_add_f32 s6, s12, s14
	s_delay_alu instid0(SALU_CYCLE_3) | instskip(SKIP_2) | instid1(SALU_CYCLE_1)
	s_sub_f32 s8, s10, s6
	s_sub_f32 s12, s6, s12
	s_wait_alu 0xfffe
	s_sub_f32 s10, s10, s8
	s_delay_alu instid0(SALU_CYCLE_1) | instskip(NEXT) | instid1(SALU_CYCLE_2)
	s_sub_f32 s12, s12, s14
	s_sub_f32 s6, s10, s6
	s_delay_alu instid0(SALU_CYCLE_3) | instskip(SKIP_1) | instid1(SALU_CYCLE_2)
	s_add_f32 s6, s12, s6
	s_mov_b32 s12, 0x3e76c4e1
	s_add_f32 s6, s8, s6
	s_delay_alu instid0(SALU_CYCLE_3) | instskip(NEXT) | instid1(SALU_CYCLE_3)
	s_mul_f32 s6, s9, s6
	s_add_f32 s8, s11, s6
	s_wait_alu 0xfffe
	s_delay_alu instid0(SALU_CYCLE_2) | instskip(SKIP_2) | instid1(SALU_CYCLE_1)
	s_sub_f32 s9, s8, s11
	s_mul_f32 s10, s8, s8
	s_wait_alu 0xfffe
	s_sub_f32 s6, s6, s9
	s_delay_alu instid0(SALU_CYCLE_1) | instskip(SKIP_4) | instid1(SALU_CYCLE_2)
	s_xor_b32 s9, s10, 0x80000000
	s_wait_alu 0xfffe
	s_fmac_f32 s9, s8, s8
	s_add_f32 s11, s6, s6
	s_wait_alu 0xfffe
	s_fmac_f32 s9, s8, s11
	s_wait_alu 0xfffe
	s_delay_alu instid0(SALU_CYCLE_2) | instskip(NEXT) | instid1(SALU_CYCLE_3)
	s_add_f32 s11, s10, s9
	s_fmaak_f32 s12, s11, s12, 0x3e91f4c4
	s_sub_f32 s10, s11, s10
	s_delay_alu instid0(SALU_CYCLE_2) | instskip(NEXT) | instid1(SALU_CYCLE_2)
	s_fmaak_f32 s12, s11, s12, 0x3ecccdef
	s_sub_f32 s9, s9, s10
	s_mul_f32 s10, s8, s11
	s_delay_alu instid0(SALU_CYCLE_1) | instskip(NEXT) | instid1(SALU_CYCLE_2)
	s_mul_f32 s13, s11, s12
	s_xor_b32 s15, s10, 0x80000000
	s_delay_alu instid0(SALU_CYCLE_2) | instskip(SKIP_2) | instid1(SALU_CYCLE_2)
	s_xor_b32 s14, s13, 0x80000000
	s_fmac_f32 s15, s11, s8
	s_fmac_f32 s14, s11, s12
	;; [unrolled: 1-line block ×3, first 2 shown]
	s_wait_alu 0xfffe
	s_delay_alu instid0(SALU_CYCLE_1) | instskip(NEXT) | instid1(SALU_CYCLE_1)
	s_fmac_f32 s14, s9, s12
	s_fmac_f32 s15, s9, s8
	s_delay_alu instid0(SALU_CYCLE_2) | instskip(NEXT) | instid1(SALU_CYCLE_3)
	s_add_f32 s12, s13, s14
	s_sub_f32 s13, s12, s13
	s_add_f32 s16, s12, 0x3f2aaaaa
	s_delay_alu instid0(SALU_CYCLE_2) | instskip(NEXT) | instid1(SALU_CYCLE_2)
	s_sub_f32 s13, s14, s13
	s_add_f32 s14, s16, 0xbf2aaaaa
	s_delay_alu instid0(SALU_CYCLE_2) | instskip(NEXT) | instid1(SALU_CYCLE_2)
	s_add_f32 s11, s13, 0x31739010
	s_sub_f32 s12, s12, s14
	s_delay_alu instid0(SALU_CYCLE_3) | instskip(SKIP_2) | instid1(SALU_CYCLE_1)
	s_add_f32 s9, s11, s12
	s_add_f32 s11, s10, s15
	s_wait_alu 0xfffe
	s_add_f32 s12, s16, s9
	s_delay_alu instid0(SALU_CYCLE_1) | instskip(NEXT) | instid1(SALU_CYCLE_2)
	s_sub_f32 s10, s11, s10
	s_mul_f32 s13, s11, s12
	s_sub_f32 s14, s16, s12
	s_delay_alu instid0(SALU_CYCLE_1) | instskip(NEXT) | instid1(SALU_CYCLE_1)
	s_sub_f32 s10, s15, s10
	s_xor_b32 s16, s13, 0x80000000
	s_delay_alu instid0(SALU_CYCLE_1)
	s_add_f32 s9, s9, s14
	s_fmac_f32 s16, s11, s12
	v_readfirstlane_b32 s14, v1
	v_ldexp_f32 v1, s8, 1
	s_cmp_lg_u32 s7, 0
	s_wait_alu 0xfffe
	s_fmac_f32 s16, s11, s9
	s_sub_co_ci_u32 s7, s14, 0
	v_readfirstlane_b32 s8, v1
	s_delay_alu instid0(SALU_CYCLE_1) | instskip(SKIP_2) | instid1(SALU_CYCLE_1)
	s_fmac_f32 s16, s10, s12
	s_cvt_f32_i32 s7, s7
	v_ldexp_f32 v1, s6, 1
	s_add_f32 s9, s13, s16
	s_delay_alu instid0(SALU_CYCLE_1) | instskip(NEXT) | instid1(VALU_DEP_1)
	s_mul_f32 s6, s7, 0x3f317218
	v_readfirstlane_b32 s12, v1
	s_wait_alu 0xfffe
	s_add_f32 s10, s8, s9
	s_sub_f32 s11, s9, s13
	s_xor_b32 s13, s6, 0x80000000
	s_delay_alu instid0(SALU_CYCLE_1) | instskip(NEXT) | instid1(SALU_CYCLE_1)
	s_sub_f32 s8, s10, s8
	s_sub_f32 s11, s16, s11
	s_fmamk_f32 s13, s7, 0x3f317218, s13
	s_wait_alu 0xfffe
	s_sub_f32 s8, s9, s8
	s_add_f32 s9, s12, s11
	s_fmamk_f32 s7, s7, 0xb102e308, s13
	s_wait_alu 0xfffe
	s_delay_alu instid0(SALU_CYCLE_1) | instskip(NEXT) | instid1(SALU_CYCLE_1)
	s_add_f32 s8, s9, s8
	s_add_f32 s9, s6, s7
	s_wait_alu 0xfffe
	s_delay_alu instid0(SALU_CYCLE_1) | instskip(NEXT) | instid1(SALU_CYCLE_1)
	s_add_f32 s11, s10, s8
	s_sub_f32 s6, s9, s6
	s_delay_alu instid0(SALU_CYCLE_2)
	s_add_f32 s12, s9, s11
	s_sub_f32 s10, s11, s10
	s_wait_alu 0xfffe
	s_sub_f32 s6, s7, s6
	s_sub_f32 s13, s12, s9
	;; [unrolled: 1-line block ×3, first 2 shown]
	s_delay_alu instid0(SALU_CYCLE_2)
	s_sub_f32 s14, s12, s13
	s_sub_f32 s8, s11, s13
	s_wait_alu 0xfffe
	s_add_f32 s10, s6, s7
	s_sub_f32 s9, s9, s14
	s_wait_alu 0xfffe
	s_delay_alu instid0(SALU_CYCLE_2) | instskip(SKIP_2) | instid1(SALU_CYCLE_1)
	s_add_f32 s8, s8, s9
	s_sub_f32 s9, s10, s6
	s_wait_alu 0xfffe
	s_add_f32 s8, s10, s8
	s_delay_alu instid0(SALU_CYCLE_1) | instskip(SKIP_4) | instid1(SALU_CYCLE_2)
	s_sub_f32 s10, s10, s9
	s_sub_f32 s7, s7, s9
	s_wait_alu 0xfffe
	s_add_f32 s11, s12, s8
	s_sub_f32 s6, s6, s10
	s_sub_f32 s9, s11, s12
	s_wait_alu 0xfffe
	s_delay_alu instid0(SALU_CYCLE_1) | instskip(NEXT) | instid1(SALU_CYCLE_1)
	s_add_f32 s6, s7, s6
	s_sub_f32 s7, s8, s9
	s_wait_alu 0xfffe
	s_delay_alu instid0(SALU_CYCLE_2) | instskip(SKIP_1) | instid1(SALU_CYCLE_2)
	s_add_f32 s6, s6, s7
	s_wait_alu 0xfffe
	s_add_f32 s7, s11, s6
	s_wait_alu 0xfffe
	s_delay_alu instid0(SALU_CYCLE_2) | instskip(SKIP_2) | instid1(SALU_CYCLE_1)
	s_mul_f32 s8, s5, s7
	s_sub_f32 s9, s7, s11
	s_wait_alu 0xfffe
	s_xor_b32 s10, s8, 0x80000000
	s_delay_alu instid0(SALU_CYCLE_1) | instskip(SKIP_2) | instid1(SALU_CYCLE_2)
	s_sub_f32 s6, s6, s9
	s_fmac_f32 s10, s5, s7
	s_wait_alu 0xfffe
	s_fmac_f32 s10, s5, s6
	v_cmp_class_f32_e64 s6, s8, 0x204
	s_delay_alu instid0(SALU_CYCLE_2) | instskip(SKIP_2) | instid1(SALU_CYCLE_1)
	s_add_f32 s7, s8, s10
	s_and_b32 s6, s6, exec_lo
	s_wait_alu 0xfffe
	s_sub_f32 s6, s7, s8
	s_cselect_b32 s7, s8, s7
	s_wait_alu 0xfffe
	s_and_b32 s8, s7, 0x7fffffff
	s_sub_f32 s6, s10, s6
	s_wait_alu 0xfffe
	s_cmp_neq_f32 s8, 0x7f800000
	s_delay_alu instid0(SALU_CYCLE_1)
	s_cselect_b32 s6, s6, 0
	s_cmp_eq_f32 s7, 0x42b17218
	s_cselect_b32 s8, 0x37000000, 0
	s_wait_alu 0xfffe
	s_sub_f32 s7, s7, s8
	s_add_f32 s6, s8, s6
	s_wait_alu 0xfffe
	s_delay_alu instid0(SALU_CYCLE_1) | instskip(SKIP_1) | instid1(SALU_CYCLE_2)
	s_mul_f32 s9, s7, 0x3fb8aa3b
	s_wait_alu 0xfffe
	s_xor_b32 s10, s9, 0x80000000
	s_rndne_f32 s11, s9
	s_fmamk_f32 s10, s7, 0x3fb8aa3b, s10
	s_cmp_nlt_f32 s7, 0xc2ce8ed0
	s_delay_alu instid0(SALU_CYCLE_1) | instskip(NEXT) | instid1(SALU_CYCLE_1)
	s_sub_f32 s9, s9, s11
	s_fmamk_f32 s10, s7, 0x32a5705f, s10
	s_cselect_b32 vcc_lo, -1, 0
	s_cmp_ngt_f32 s7, 0x42b17218
	s_trunc_f32 s7, s5
	s_wait_alu 0xfffe
	s_add_f32 s9, s9, s10
	s_cvt_i32_f32 s10, s11
	s_wait_alu 0xfffe
	s_delay_alu instid0(SALU_CYCLE_1) | instskip(SKIP_1) | instid1(TRANS32_DEP_1)
	v_s_exp_f32 s9, s9
	s_wait_alu 0xf1ff
	v_ldexp_f32 v1, s9, s10
	s_mul_f32 s9, s5, 0.5
	s_delay_alu instid0(VALU_DEP_1)
	v_cndmask_b32_e32 v1, 0, v1, vcc_lo
	s_cselect_b32 vcc_lo, -1, 0
	s_cmp_eq_f32 s7, s5
	s_wait_alu 0xfffe
	s_trunc_f32 s10, s9
	v_cndmask_b32_e32 v1, 0x7f800000, v1, vcc_lo
	s_cselect_b32 s11, -1, 0
	s_wait_alu 0xfffe
	s_cmp_neq_f32 s10, s9
	s_delay_alu instid0(VALU_DEP_1)
	v_fma_f32 v2, s6, v1, v1
	v_cmp_class_f32_e64 vcc_lo, v1, 0x204
	s_cselect_b32 s8, -1, 0
	s_wait_alu 0xfffe
	s_and_b32 s6, s11, s8
	s_wait_alu 0xfffd
	v_cndmask_b32_e32 v1, v2, v1, vcc_lo
	s_wait_alu 0xfffe
	s_and_b32 s8, s6, exec_lo
	s_cselect_b32 s8, s4, 1.0
	s_cmp_eq_f32 s7, s5
	v_cmp_class_f32_e64 s7, s4, 0x204
	s_wait_alu 0xfffe
	v_bfi_b32 v1, 0x7fffffff, v1, s8
	s_cselect_b32 vcc_lo, -1, 0
	s_cmp_lt_f32 s4, 0
	s_wait_alu 0xfffe
	s_delay_alu instid0(VALU_DEP_1) | instskip(SKIP_3) | instid1(VALU_DEP_1)
	v_cndmask_b32_e32 v2, 0x7fc00000, v1, vcc_lo
	s_cselect_b32 vcc_lo, -1, 0
	s_cmp_eq_f32 s4, 0
	s_wait_alu 0xfffe
	v_cndmask_b32_e32 v1, v1, v2, vcc_lo
	s_cselect_b32 s8, -1, 0
	s_wait_alu 0xfffe
	s_or_b32 vcc_lo, s8, s7
	s_cmp_lt_f32 s5, 0
	s_cselect_b32 s5, -1, 0
	s_wait_alu 0xfffe
	s_xor_b32 s5, s5, s8
	s_wait_alu 0xfffe
	s_and_b32 s5, s5, exec_lo
	s_cselect_b32 s5, 0, 0x7f800000
	s_and_b32 s6, s6, exec_lo
	s_cselect_b32 s6, s4, 0
	s_cmp_o_f32 s4, s4
	s_wait_alu 0xfffe
	v_mov_b32_e32 v2, s6
	s_delay_alu instid0(VALU_DEP_1) | instskip(NEXT) | instid1(VALU_DEP_1)
	v_bfi_b32 v2, 0x7fffffff, s5, v2
	v_cndmask_b32_e32 v1, v1, v2, vcc_lo
	s_cselect_b32 vcc_lo, -1, 0
	s_wait_alu 0xfffe
	s_delay_alu instid0(VALU_DEP_1)
	v_cndmask_b32_e32 v219, 0x7fc00000, v1, vcc_lo
.LBB22_2:
	s_load_b64 s[0:1], s[0:1], 0x4
	v_bfe_u32 v30, v0, 10, 10
	v_dual_mov_b32 v12, 0 :: v_dual_and_b32 v217, 0x3ff, v0
	s_load_b512 s[4:19], s[2:3], 0x0
	v_bfe_u32 v0, v0, 20, 10
	s_delay_alu instid0(VALU_DEP_3) | instskip(NEXT) | instid1(VALU_DEP_3)
	v_lshlrev_b32_e32 v31, 8, v30
	v_lshlrev_b32_e32 v32, 2, v217
	s_lshl_b32 s30, ttmp9, 1
	s_mov_b32 s21, exec_lo
	s_wait_kmcnt 0x0
	v_mul_u32_u24_e32 v1, s1, v30
	s_lshr_b32 s0, s0, 16
	s_wait_alu 0xfffe
	s_mul_i32 s0, s0, s1
	s_wait_alu 0xfffe
	v_mad_u32_u24 v1, s0, v217, v1
	v_cmp_lt_u32_e64 s0, 1, v30
	s_delay_alu instid0(VALU_DEP_2) | instskip(NEXT) | instid1(VALU_DEP_1)
	v_add_lshl_u32 v18, v1, v0, 4
	v_add_nc_u32_e32 v0, 0x604, v18
	v_add_nc_u32_e32 v1, 0x400, v18
	ds_store_2addr_b32 v0, v12, v12 offset1:1
	ds_store_2addr_b32 v1, v12, v12 offset0:128 offset1:131
	v_cmpx_gt_u32_e32 2, v30
	s_cbranch_execz .LBB22_13
; %bb.3:
	v_or_b32_e32 v0, s30, v30
	v_add_nc_u32_e32 v1, v31, v32
	s_mov_b32 s1, exec_lo
	s_delay_alu instid0(VALU_DEP_2)
	v_cmpx_le_i32_e64 s24, v0
	s_wait_alu 0xfffe
	s_xor_b32 s1, exec_lo, s1
	s_cbranch_execz .LBB22_7
; %bb.4:
	v_mov_b32_e32 v0, 0
	s_mov_b32 s22, exec_lo
	ds_store_b32 v1, v0
	v_cmpx_gt_u32_e32 4, v217
; %bb.5:
	v_dual_mov_b32 v1, v0 :: v_dual_add_nc_u32 v2, v1, v32
	ds_store_b64 v2, v[0:1] offset:128
; %bb.6:
	s_or_b32 exec_lo, exec_lo, s22
                                        ; implicit-def: $vgpr1
.LBB22_7:
	s_wait_alu 0xfffe
	s_and_not1_saveexec_b32 s1, s1
	s_cbranch_execz .LBB22_13
; %bb.8:
	s_load_b96 s[44:46], s[2:3], 0x70
	v_lshlrev_b32_e32 v2, 2, v32
	s_wait_kmcnt 0x0
	v_mul_lo_u32 v0, s44, v30
	s_mul_i32 s1, s26, s46
	s_mul_i32 s22, s44, s30
	;; [unrolled: 1-line block ×3, first 2 shown]
	s_wait_alu 0xfffe
	s_add_co_i32 s1, s1, s22
	s_wait_alu 0xfffe
	s_add_co_i32 s22, s1, s23
	s_delay_alu instid0(SALU_CYCLE_1)
	s_ashr_i32 s23, s22, 31
	v_ashrrev_i32_e32 v3, 31, v0
	s_add_nc_u64 s[4:5], s[4:5], s[22:23]
	s_wait_alu 0xfffe
	v_add_co_u32 v0, vcc_lo, s4, v0
	s_wait_alu 0xfffd
	v_add_co_ci_u32_e64 v3, null, s5, v3, vcc_lo
	s_delay_alu instid0(VALU_DEP_2) | instskip(SKIP_1) | instid1(VALU_DEP_2)
	v_add_co_u32 v2, vcc_lo, v0, v2
	s_wait_alu 0xfffd
	v_add_co_ci_u32_e64 v3, null, 0, v3, vcc_lo
	v_mbcnt_lo_u32_b32 v0, -1, 0
	global_load_b128 v[8:11], v[2:3], off
	v_xor_b32_e32 v3, 4, v0
	v_xor_b32_e32 v13, 2, v0
	;; [unrolled: 1-line block ×3, first 2 shown]
	s_delay_alu instid0(VALU_DEP_3) | instskip(SKIP_3) | instid1(VALU_DEP_2)
	v_cmp_gt_i32_e32 vcc_lo, 32, v3
	s_wait_alu 0xfffd
	v_cndmask_b32_e32 v3, v0, v3, vcc_lo
	v_cmp_gt_i32_e32 vcc_lo, 32, v13
	v_lshlrev_b32_e32 v3, 2, v3
	s_wait_alu 0xfffd
	v_cndmask_b32_e32 v13, v0, v13, vcc_lo
	v_cmp_gt_i32_e32 vcc_lo, 32, v14
	s_wait_alu 0xfffd
	v_cndmask_b32_e32 v0, v0, v14, vcc_lo
	s_delay_alu instid0(VALU_DEP_1) | instskip(SKIP_4) | instid1(VALU_DEP_2)
	v_lshlrev_b32_e32 v0, 2, v0
	s_wait_loadcnt 0x0
	v_dual_mul_f32 v2, s20, v8 :: v_dual_mul_f32 v7, s20, v10
	v_mul_f32_e32 v4, s20, v9
	v_mul_f32_e32 v6, s20, v11
	v_max_num_f32_e64 v5, |v2|, |v4|
	v_fma_f32 v8, s20, v8, v4
	v_lshlrev_b32_e32 v13, 2, v13
	s_delay_alu instid0(VALU_DEP_3) | instskip(NEXT) | instid1(VALU_DEP_3)
	v_max3_num_f32 v5, v5, |v7|, |v6|
	v_fmac_f32_e32 v8, s20, v10
	ds_bpermute_b32 v9, v3, v5
	v_fmac_f32_e32 v8, s20, v11
	s_mov_b32 s20, exec_lo
	ds_bpermute_b32 v3, v3, v8
	s_wait_dscnt 0x1
	v_max_num_f32_e32 v9, v9, v9
	s_delay_alu instid0(VALU_DEP_1)
	v_max_num_f32_e32 v5, v5, v9
	s_wait_dscnt 0x0
	v_add_f32_e32 v3, v8, v3
	ds_bpermute_b32 v9, v13, v5
	ds_bpermute_b32 v8, v13, v3
	s_wait_dscnt 0x1
	v_max_num_f32_e32 v9, v9, v9
	s_wait_dscnt 0x0
	v_dual_add_f32 v3, v3, v8 :: v_dual_mov_b32 v8, 0
	s_delay_alu instid0(VALU_DEP_2) | instskip(SKIP_3) | instid1(VALU_DEP_1)
	v_max_num_f32_e32 v5, v5, v9
	ds_bpermute_b32 v9, v0, v5
	s_wait_dscnt 0x0
	v_max_num_f32_e32 v9, v9, v9
	v_max_num_f32_e32 v9, v5, v9
	s_delay_alu instid0(VALU_DEP_1) | instskip(SKIP_1) | instid1(VALU_DEP_2)
	v_div_scale_f32 v10, null, 0x42fe0000, 0x42fe0000, v9
	v_div_scale_f32 v13, vcc_lo, v9, 0x42fe0000, v9
	v_rcp_f32_e32 v11, v10
	s_delay_alu instid0(TRANS32_DEP_1) | instskip(NEXT) | instid1(VALU_DEP_1)
	v_fma_f32 v5, -v10, v11, 1.0
	v_fmac_f32_e32 v11, v5, v11
	s_delay_alu instid0(VALU_DEP_1) | instskip(NEXT) | instid1(VALU_DEP_1)
	v_mul_f32_e32 v14, v13, v11
	v_fma_f32 v5, -v10, v14, v13
	s_delay_alu instid0(VALU_DEP_1) | instskip(SKIP_3) | instid1(VALU_DEP_1)
	v_fmac_f32_e32 v14, v5, v11
	ds_bpermute_b32 v5, v0, v3
	v_fma_f32 v0, -v10, v14, v13
	s_wait_alu 0xfffd
	v_div_fmas_f32 v0, v0, v11, v14
	s_delay_alu instid0(VALU_DEP_1) | instskip(NEXT) | instid1(VALU_DEP_1)
	v_div_fixup_f32 v0, v0, 0x42fe0000, v9
	v_cmpx_neq_f32_e32 0, v0
	s_cbranch_execz .LBB22_10
; %bb.9:
	v_div_scale_f32 v8, null, v0, v0, v2
	v_div_scale_f32 v9, null, v0, v0, v4
	;; [unrolled: 1-line block ×4, first 2 shown]
	s_delay_alu instid0(VALU_DEP_4) | instskip(NEXT) | instid1(VALU_DEP_3)
	v_rcp_f32_e32 v10, v8
	v_rcp_f32_e32 v14, v9
	s_delay_alu instid0(VALU_DEP_2) | instskip(NEXT) | instid1(VALU_DEP_1)
	v_rcp_f32_e32 v15, v11
	v_rcp_f32_e32 v16, v13
	v_div_scale_f32 v20, vcc_lo, v2, v0, v2
	v_fma_f32 v17, -v8, v10, 1.0
	s_delay_alu instid0(TRANS32_DEP_3) | instskip(NEXT) | instid1(TRANS32_DEP_2)
	v_fma_f32 v19, -v9, v14, 1.0
	v_fma_f32 v21, -v11, v15, 1.0
	s_delay_alu instid0(TRANS32_DEP_1) | instskip(NEXT) | instid1(VALU_DEP_4)
	v_fma_f32 v22, -v13, v16, 1.0
	v_fmac_f32_e32 v10, v17, v10
	s_delay_alu instid0(VALU_DEP_3) | instskip(SKIP_1) | instid1(VALU_DEP_4)
	v_dual_fmac_f32 v14, v19, v14 :: v_dual_fmac_f32 v15, v21, v15
	v_div_scale_f32 v17, s1, v4, v0, v4
	v_fmac_f32_e32 v16, v22, v16
	v_div_scale_f32 v21, s5, v6, v0, v6
	v_div_scale_f32 v19, s4, v7, v0, v7
	s_delay_alu instid0(VALU_DEP_4) | instskip(NEXT) | instid1(VALU_DEP_3)
	v_mul_f32_e32 v23, v17, v14
	v_dual_mul_f32 v22, v20, v10 :: v_dual_mul_f32 v25, v21, v16
	s_delay_alu instid0(VALU_DEP_2) | instskip(NEXT) | instid1(VALU_DEP_2)
	v_fma_f32 v27, -v9, v23, v17
	v_fma_f32 v26, -v8, v22, v20
	s_delay_alu instid0(VALU_DEP_3) | instskip(SKIP_1) | instid1(VALU_DEP_2)
	v_fma_f32 v29, -v13, v25, v21
	v_mul_f32_e32 v24, v19, v15
	v_dual_fmac_f32 v22, v26, v10 :: v_dual_fmac_f32 v25, v29, v16
	s_delay_alu instid0(VALU_DEP_2) | instskip(SKIP_1) | instid1(VALU_DEP_3)
	v_fma_f32 v28, -v11, v24, v19
	v_fmac_f32_e32 v23, v27, v14
	v_fma_f32 v8, -v8, v22, v20
	s_delay_alu instid0(VALU_DEP_3) | instskip(NEXT) | instid1(VALU_DEP_3)
	v_fmac_f32_e32 v24, v28, v15
	v_fma_f32 v9, -v9, v23, v17
	s_wait_alu 0xfffd
	s_delay_alu instid0(VALU_DEP_3)
	v_div_fmas_f32 v8, v8, v10, v22
	s_mov_b32 vcc_lo, s1
	v_fma_f32 v11, -v11, v24, v19
	s_wait_alu 0xfffe
	v_div_fmas_f32 v9, v9, v14, v23
	s_mov_b32 vcc_lo, s4
	v_div_fixup_f32 v2, v8, v0, v2
	s_wait_alu 0xfffe
	v_div_fmas_f32 v10, v11, v15, v24
	v_fma_f32 v11, -v13, v25, v21
	s_mov_b32 vcc_lo, s5
	v_div_fixup_f32 v4, v9, v0, v4
	v_trunc_f32_e32 v14, v2
	v_div_fixup_f32 v7, v10, v0, v7
	s_wait_alu 0xfffe
	v_div_fmas_f32 v10, v11, v16, v25
	s_delay_alu instid0(VALU_DEP_2) | instskip(NEXT) | instid1(VALU_DEP_2)
	v_trunc_f32_e32 v9, v7
	v_div_fixup_f32 v6, v10, v0, v6
	v_trunc_f32_e32 v10, v4
	s_delay_alu instid0(VALU_DEP_3) | instskip(NEXT) | instid1(VALU_DEP_3)
	v_sub_f32_e32 v11, v7, v9
	v_trunc_f32_e32 v8, v6
	s_delay_alu instid0(VALU_DEP_3) | instskip(NEXT) | instid1(VALU_DEP_3)
	v_sub_f32_e32 v13, v4, v10
	v_cmp_ge_f32_e64 s1, |v11|, 0.5
	s_delay_alu instid0(VALU_DEP_3) | instskip(SKIP_1) | instid1(VALU_DEP_2)
	v_sub_f32_e32 v15, v6, v8
	s_wait_alu 0xf1ff
	v_cndmask_b32_e64 v11, 0, 1.0, s1
	v_cmp_ge_f32_e64 s1, |v13|, 0.5
	s_delay_alu instid0(VALU_DEP_2) | instskip(SKIP_1) | instid1(VALU_DEP_2)
	v_bfi_b32 v7, 0x7fffffff, v11, v7
	s_wait_alu 0xf1ff
	v_cndmask_b32_e64 v13, 0, 1.0, s1
	v_cmp_ge_f32_e64 s1, |v15|, 0.5
	s_delay_alu instid0(VALU_DEP_3) | instskip(NEXT) | instid1(VALU_DEP_3)
	v_add_f32_e32 v7, v9, v7
	v_bfi_b32 v4, 0x7fffffff, v13, v4
	s_wait_alu 0xf1ff
	s_delay_alu instid0(VALU_DEP_3) | instskip(NEXT) | instid1(VALU_DEP_3)
	v_cndmask_b32_e64 v15, 0, 1.0, s1
	v_cvt_i32_f32_e32 v7, v7
	s_delay_alu instid0(VALU_DEP_3) | instskip(NEXT) | instid1(VALU_DEP_3)
	v_add_f32_e32 v4, v10, v4
	v_bfi_b32 v6, 0x7fffffff, v15, v6
	s_delay_alu instid0(VALU_DEP_2) | instskip(SKIP_1) | instid1(VALU_DEP_3)
	v_cvt_i32_f32_e32 v4, v4
	v_sub_f32_e32 v11, v2, v14
	v_add_f32_e32 v6, v8, v6
	s_delay_alu instid0(VALU_DEP_3) | instskip(NEXT) | instid1(VALU_DEP_3)
	v_and_b32_e32 v4, 0xff, v4
	v_cmp_ge_f32_e64 s1, |v11|, 0.5
	s_delay_alu instid0(VALU_DEP_3) | instskip(NEXT) | instid1(VALU_DEP_3)
	v_cvt_i32_f32_e32 v6, v6
	v_lshlrev_b32_e32 v4, 8, v4
	s_wait_alu 0xf1ff
	s_delay_alu instid0(VALU_DEP_3) | instskip(NEXT) | instid1(VALU_DEP_1)
	v_cndmask_b32_e64 v9, 0, 1.0, s1
	v_bfi_b32 v2, 0x7fffffff, v9, v2
	s_delay_alu instid0(VALU_DEP_1) | instskip(NEXT) | instid1(VALU_DEP_1)
	v_dual_add_f32 v2, v14, v2 :: v_dual_and_b32 v7, 0xff, v7
	v_lshlrev_b32_e32 v7, 16, v7
	s_delay_alu instid0(VALU_DEP_2) | instskip(NEXT) | instid1(VALU_DEP_2)
	v_cvt_i32_f32_e32 v2, v2
	v_lshl_or_b32 v6, v6, 24, v7
	s_delay_alu instid0(VALU_DEP_2) | instskip(NEXT) | instid1(VALU_DEP_1)
	v_and_b32_e32 v2, 0xff, v2
	v_or3_b32 v8, v6, v4, v2
.LBB22_10:
	s_wait_alu 0xfffe
	s_or_b32 exec_lo, exec_lo, s20
	v_and_b32_e32 v2, 7, v217
	s_mov_b32 s1, exec_lo
	ds_store_b32 v1, v8
	v_cmpx_eq_u32_e32 0, v2
	s_cbranch_execz .LBB22_12
; %bb.11:
	s_wait_dscnt 0x1
	v_add_f32_e32 v1, v3, v5
	v_add_nc_u32_e32 v2, v31, v217
	ds_store_b64 v2, v[0:1] offset:128
.LBB22_12:
	s_wait_alu 0xfffe
	s_or_b32 exec_lo, exec_lo, s1
.LBB22_13:
	s_delay_alu instid0(SALU_CYCLE_1)
	s_or_b32 exec_lo, exec_lo, s21
	v_and_b32_e32 v19, 1, v217
	s_wait_dscnt 0x0
	s_barrier_signal -1
	s_barrier_wait -1
	global_inv scope:SCOPE_SE
	v_lshlrev_b32_e32 v16, 2, v19
	s_cmp_eq_u64 s[14:15], 0
	s_mov_b32 s29, s36
	ds_load_2addr_b32 v[220:221], v16 offset1:2
	ds_load_2addr_b32 v[222:223], v16 offset0:4 offset1:6
	ds_load_2addr_b32 v[224:225], v16 offset0:8 offset1:10
	;; [unrolled: 1-line block ×3, first 2 shown]
	ds_load_b128 v[0:3], v12 offset:128
	ds_load_b128 v[4:7], v12 offset:144
	ds_load_2addr_b32 v[228:229], v16 offset0:16 offset1:18
	ds_load_2addr_b32 v[230:231], v16 offset0:20 offset1:22
	;; [unrolled: 1-line block ×9, first 2 shown]
	ds_load_b128 v[8:11], v12 offset:384
	ds_load_b128 v[12:15], v12 offset:400
	ds_load_2addr_b32 v[50:51], v16 offset0:84 offset1:86
	ds_load_2addr_b32 v[52:53], v16 offset0:88 offset1:90
	;; [unrolled: 1-line block ×3, first 2 shown]
	s_wait_loadcnt_dscnt 0x0
	s_barrier_signal -1
	s_barrier_wait -1
	global_inv scope:SCOPE_SE
	s_cbranch_scc1 .LBB22_15
; %bb.14:
	s_load_b32 s1, s[2:3], 0xd0
	s_mov_b32 s5, 0
	s_wait_kmcnt 0x0
	s_mul_i32 s1, s1, s26
	s_wait_alu 0xfffe
	s_add_co_i32 s4, s1, ttmp9
	s_wait_alu 0xfffe
	s_lshl_b64 s[4:5], s[4:5], 2
	s_wait_alu 0xfffe
	s_add_nc_u64 s[4:5], s[14:15], s[4:5]
	s_load_b32 s29, s[4:5], 0x0
.LBB22_15:
	v_lshlrev_b32_e32 v17, 5, v30
	s_and_b32 s14, ttmp7, 0xffff
	v_add_nc_u32_e32 v213, 0x600, v18
	v_mbcnt_lo_u32_b32 v122, -1, 0
	s_lshl_b32 s15, s14, 7
	v_add_nc_u32_e32 v20, v17, v217
	s_wait_kmcnt 0x0
	s_wait_alu 0xfffe
	s_cmp_ge_i32 s15, s29
	s_mov_b32 s35, 0
	v_lshlrev_b32_e32 v18, 1, v20
	scratch_store_b32 off, v18, off         ; 4-byte Folded Spill
	s_cbranch_scc1 .LBB22_43
; %bb.16:
	s_mul_f32 s46, s38, 0x4f7ffffe
	s_sub_co_i32 s44, 0, s37
	s_mul_f32 s52, s33, 0x4f7ffffe
	s_abs_i32 s38, s28
	s_cvt_u32_f32 s46, s46
	s_mov_b32 s47, s39
	s_cvt_u32_f32 s52, s52
	s_clause 0x2
	scratch_store_b32 off, v20, off offset:124
	scratch_store_b32 off, v31, off offset:120
	scratch_store_b32 off, v30, off offset:116
	s_wait_alu 0xfffe
	s_mul_i32 s44, s44, s46
	s_clause 0x1
	s_load_b128 s[20:23], s[2:3], 0x98
	s_load_b64 s[4:5], s[2:3], 0x8c
	s_mul_hi_u32 s44, s46, s44
	s_sub_co_i32 s40, 0, s34
	s_wait_alu 0xfffe
	s_add_co_i32 s46, s46, s44
	s_mov_b32 s43, s39
	s_mul_u64 s[46:47], s[38:39], s[46:47]
	s_mov_b32 s45, s39
	s_mul_i32 s40, s40, s52
	s_mul_i32 s39, s47, s37
	s_ashr_i32 s53, s28, 31
	s_ashr_i32 s54, s27, 31
	s_mul_hi_u32 s40, s52, s40
	s_sub_co_i32 s38, s38, s39
	s_abs_i32 s42, s26
	s_ashr_i32 s27, s26, 31
	s_xor_b32 s53, s53, s54
	s_add_co_i32 s44, s52, s40
	s_add_co_i32 s39, s47, 1
	s_sub_co_i32 s40, s38, s37
	s_cmp_ge_u32 s38, s37
	s_wait_alu 0xfffe
	s_mul_u64 s[44:45], s[42:43], s[44:45]
	s_cselect_b32 s39, s39, s47
	s_cselect_b32 s38, s40, s38
	s_add_co_i32 s40, s39, 1
	s_cmp_ge_u32 s38, s37
	scratch_store_b32 off, v32, off offset:128 ; 4-byte Folded Spill
	s_cselect_b32 s37, s40, s39
	s_wait_alu 0xfffe
	s_mul_i32 s38, s45, s34
	s_xor_b32 s37, s37, s53
	s_clause 0x2
	s_load_b64 s[48:49], s[2:3], 0xa8
	s_load_b64 s[50:51], s[2:3], 0xc8
	s_load_b32 s55, s[2:3], 0xd4
	s_sub_co_i32 s37, s37, s53
	s_sub_co_i32 s40, s42, s38
	s_wait_kmcnt 0x0
	s_mul_i32 s38, s37, s5
	s_mul_i32 s42, s37, s23
	s_sub_co_i32 s44, s40, s34
	s_ashr_i32 s39, s38, 31
	s_ashr_i32 s43, s42, 31
	s_cmp_ge_u32 s40, s34
	v_and_b32_e32 v18, 0x7e, v217
	s_wait_alu 0xfffe
	s_cselect_b32 s5, s44, s40
	s_mul_i32 s33, s41, s30
	s_wait_alu 0xfffe
	s_sub_co_i32 s23, s5, s34
	s_cmp_ge_u32 s5, s34
	v_bfe_u32 v21, v217, 3, 27
	s_cselect_b32 s5, s23, s5
	v_add_nc_u32_e32 v18, v17, v18
	s_wait_alu 0xfffe
	s_xor_b32 s5, s5, s27
	v_mul_lo_u32 v28, v17, s22
	s_wait_alu 0xfffe
	s_sub_co_i32 s44, s5, s27
	s_ashr_i32 s5, s33, 31
	s_wait_alu 0xfffe
	s_ashr_i32 s45, s44, 31
	s_cmp_lg_u64 s[10:11], 0
	v_mul_hi_u32_u24_e32 v22, 18, v21
	s_cselect_b32 s37, -1, 0
	s_lshl_b32 s34, s55, 7
	s_cmp_lt_i32 s30, s24
	v_mul_u32_u24_e32 v21, 18, v21
	v_add_nc_u32_e32 v23, s36, v18
	s_cselect_b32 s23, -1, 0
	s_or_b32 s40, s30, 1
	s_wait_alu 0xfffe
	s_and_b32 s23, s37, s23
	s_cmp_lt_i32 s40, s24
	v_ashrrev_i32_e32 v24, 31, v23
	v_mad_co_u64_u32 v[35:36], null, s48, s26, v[21:22]
	s_cselect_b32 s46, -1, 0
	s_ashr_i32 s47, s36, 31
	v_add_co_u32 v21, s36, s36, v18
	s_wait_alu 0xf1ff
	v_add_co_ci_u32_e64 v22, null, s47, 0, s36
	s_mov_b32 s41, s35
	v_lshlrev_b64_e32 v[23:24], 1, v[23:24]
	s_lshl_b32 s40, s15, 1
	s_mul_u64 s[44:45], s[50:51], s[44:45]
	s_add_nc_u64 s[50:51], s[10:11], s[40:41]
	v_lshlrev_b64_e32 v[21:22], 1, v[21:22]
	s_wait_alu 0xfffe
	s_add_nc_u64 s[50:51], s[50:51], s[44:45]
	s_mul_i32 s36, s49, s26
	s_mul_i32 s47, s48, s27
	v_add_co_u32 v67, vcc_lo, s50, v23
	v_and_b32_e32 v29, 12, v32
	v_ashrrev_i32_e32 v31, 31, v28
	s_wait_alu 0xfffe
	v_add3_u32 v36, s47, s36, v36
	s_wait_alu 0xfffd
	v_add_co_ci_u32_e64 v68, null, s51, v24, vcc_lo
	v_add_co_u32 v23, vcc_lo, s50, v21
	v_cmp_eq_u32_e64 s1, 0, v19
	v_add_nc_u32_e32 v19, s22, v28
	v_add_nc_u32_e32 v32, 31, v17
	s_wait_alu 0xfffd
	v_add_co_ci_u32_e64 v24, null, s51, v22, vcc_lo
	v_add_co_u32 v21, vcc_lo, v35, v28
	s_wait_alu 0xfffd
	v_add_co_ci_u32_e64 v22, null, v36, v31, vcc_lo
	v_add_co_u32 v38, vcc_lo, v35, v29
	v_add_nc_u32_e32 v20, s22, v19
	s_wait_alu 0xfffd
	v_add_co_ci_u32_e64 v39, null, 0, v36, vcc_lo
	v_mul_lo_u32 v40, s22, v32
	v_add_co_u32 v28, vcc_lo, v38, v28
	v_add_nc_u32_e32 v25, s22, v20
	s_wait_alu 0xfffd
	v_add_co_ci_u32_e64 v29, null, v39, v31, vcc_lo
	v_add_co_u32 v75, vcc_lo, v38, s42
	s_wait_alu 0xfffd
	v_add_co_ci_u32_e64 v76, null, s43, v39, vcc_lo
	v_add_nc_u32_e32 v39, 30, v17
	v_ashrrev_i32_e32 v38, 31, v40
	v_add_nc_u32_e32 v26, s22, v25
	v_add_co_u32 v31, vcc_lo, v75, v40
	s_delay_alu instid0(VALU_DEP_4)
	v_mul_lo_u32 v39, s22, v39
	s_wait_alu 0xfffd
	v_add_co_ci_u32_e64 v32, null, v76, v38, vcc_lo
	v_add_co_u32 v83, vcc_lo, v35, s42
	v_add_nc_u32_e32 v41, 29, v17
	v_dual_mov_b32 v218, 0 :: v_dual_add_nc_u32 v27, s22, v26
	s_wait_alu 0xfffd
	v_add_co_ci_u32_e64 v84, null, s43, v36, vcc_lo
	v_add_co_u32 v35, vcc_lo, v83, v40
	v_mul_lo_u32 v40, s22, v41
	v_add_nc_u32_e32 v30, s22, v27
	s_wait_alu 0xfffd
	v_add_co_ci_u32_e64 v36, null, v84, v38, vcc_lo
	v_ashrrev_i32_e32 v38, 31, v39
	v_add_nc_u32_e32 v41, 28, v17
	v_add_co_u32 v56, vcc_lo, v75, v39
	v_add_nc_u32_e32 v33, s22, v30
	s_wait_alu 0xfffd
	v_add_co_ci_u32_e64 v57, null, v76, v38, vcc_lo
	v_add_co_u32 v59, vcc_lo, v83, v39
	v_mul_lo_u32 v39, s22, v41
	s_wait_alu 0xfffd
	v_add_co_ci_u32_e64 v60, null, v84, v38, vcc_lo
	v_ashrrev_i32_e32 v38, 31, v40
	v_add_nc_u32_e32 v34, s22, v33
	v_add_co_u32 v63, vcc_lo, v75, v40
	v_add_nc_u32_e32 v41, 27, v17
	s_wait_alu 0xfffd
	v_add_co_ci_u32_e64 v64, null, v76, v38, vcc_lo
	v_add_co_u32 v61, vcc_lo, v83, v40
	s_wait_alu 0xfffd
	v_add_co_ci_u32_e64 v62, null, v84, v38, vcc_lo
	v_ashrrev_i32_e32 v38, 31, v39
	v_add_nc_u32_e32 v37, s22, v34
	v_add_co_u32 v72, vcc_lo, v75, v39
	v_add_nc_u32_e32 v40, 26, v17
	s_wait_alu 0xfffd
	v_add_co_ci_u32_e64 v73, null, v76, v38, vcc_lo
	v_add_co_u32 v107, vcc_lo, v83, v39
	v_add_nc_u32_e32 v58, s22, v37
	s_wait_alu 0xfffd
	v_add_co_ci_u32_e64 v108, null, v84, v38, vcc_lo
	v_mul_lo_u32 v38, s22, v41
	v_add_nc_u32_e32 v42, 25, v17
	v_add_nc_u32_e32 v65, s22, v58
	v_mul_lo_u32 v40, s22, v40
	v_add_nc_u32_e32 v43, 24, v17
	v_add_nc_u32_e32 v44, 21, v17
	v_mul_lo_u32 v39, s22, v42
	v_add_nc_u32_e32 v66, s22, v65
	v_ashrrev_i32_e32 v109, 31, v38
	v_add_nc_u32_e32 v42, 23, v17
	v_add_co_u32 v111, vcc_lo, v75, v38
	v_mul_lo_u32 v41, s22, v43
	v_ashrrev_i32_e32 v88, 31, v40
	s_wait_alu 0xfffd
	v_add_co_ci_u32_e64 v112, null, v76, v109, vcc_lo
	v_add_co_u32 v38, vcc_lo, v83, v38
	v_add_nc_u32_e32 v69, s22, v66
	v_add_nc_u32_e32 v43, 22, v17
	s_wait_alu 0xfffd
	v_add_co_ci_u32_e64 v113, null, v84, v109, vcc_lo
	v_add_co_u32 v114, vcc_lo, v75, v40
	v_mul_lo_u32 v42, s22, v42
	v_ashrrev_i32_e32 v89, 31, v39
	s_wait_alu 0xfffd
	v_add_co_ci_u32_e64 v115, null, v76, v88, vcc_lo
	v_add_co_u32 v40, vcc_lo, v83, v40
	v_add_nc_u32_e32 v70, s22, v69
	s_wait_alu 0xfffd
	v_add_co_ci_u32_e64 v116, null, v84, v88, vcc_lo
	v_add_co_u32 v117, vcc_lo, v75, v39
	v_mul_lo_u32 v43, s22, v43
	v_ashrrev_i32_e32 v90, 31, v41
	s_wait_alu 0xfffd
	v_add_co_ci_u32_e64 v118, null, v76, v89, vcc_lo
	v_add_co_u32 v39, vcc_lo, v83, v39
	v_add_nc_u32_e32 v45, 20, v17
	s_wait_alu 0xfffd
	v_add_co_ci_u32_e64 v120, null, v84, v89, vcc_lo
	v_add_co_u32 v119, vcc_lo, v75, v41
	v_add_nc_u32_e32 v74, s22, v70
	v_mul_lo_u32 v44, s22, v44
	v_ashrrev_i32_e32 v91, 31, v42
	s_wait_alu 0xfffd
	v_add_co_ci_u32_e64 v121, null, v76, v90, vcc_lo
	v_add_co_u32 v41, vcc_lo, v83, v41
	v_add_nc_u32_e32 v87, 19, v17
	s_wait_alu 0xfffd
	v_add_co_ci_u32_e64 v124, null, v84, v90, vcc_lo
	v_add_co_u32 v123, vcc_lo, v75, v42
	v_mul_lo_u32 v45, s22, v45
	v_ashrrev_i32_e32 v92, 31, v43
	v_add_nc_u32_e32 v79, s22, v74
	s_wait_alu 0xfffd
	v_add_co_ci_u32_e64 v125, null, v76, v91, vcc_lo
	v_add_co_u32 v42, vcc_lo, v83, v42
	s_wait_alu 0xfffd
	v_add_co_ci_u32_e64 v128, null, v84, v91, vcc_lo
	v_add_co_u32 v127, vcc_lo, v75, v43
	v_mul_lo_u32 v87, s22, v87
	v_ashrrev_i32_e32 v93, 31, v44
	s_wait_alu 0xfffd
	v_add_co_ci_u32_e64 v129, null, v76, v92, vcc_lo
	v_add_co_u32 v43, vcc_lo, v83, v43
	v_add_nc_u32_e32 v82, s22, v79
	s_wait_alu 0xfffd
	v_add_co_ci_u32_e64 v132, null, v84, v92, vcc_lo
	v_add_co_u32 v131, vcc_lo, v75, v44
	v_ashrrev_i32_e32 v94, 31, v45
	s_wait_alu 0xfffd
	v_add_co_ci_u32_e64 v133, null, v76, v93, vcc_lo
	v_add_co_u32 v44, vcc_lo, v83, v44
	v_add_nc_u32_e32 v86, s22, v82
	s_wait_alu 0xfffd
	v_add_co_ci_u32_e64 v136, null, v84, v93, vcc_lo
	v_add_co_u32 v135, vcc_lo, v75, v45
	v_ashrrev_i32_e32 v95, 31, v87
	s_wait_alu 0xfffd
	v_add_co_ci_u32_e64 v137, null, v76, v94, vcc_lo
	v_add_co_u32 v45, vcc_lo, v83, v45
	s_wait_alu 0xfffd
	v_add_co_ci_u32_e64 v140, null, v84, v94, vcc_lo
	v_add_co_u32 v139, vcc_lo, v75, v87
	v_ashrrev_i32_e32 v96, 31, v86
	s_wait_alu 0xfffd
	v_add_co_ci_u32_e64 v141, null, v76, v95, vcc_lo
	v_add_co_u32 v143, vcc_lo, v83, v87
	;; [unrolled: 7-line block ×18, first 2 shown]
	s_wait_alu 0xfffd
	v_add_co_ci_u32_e64 v208, null, v84, v105, vcc_lo
	v_add_co_u32 v207, vcc_lo, v75, v20
	v_ashrrev_i32_e32 v110, 31, v19
	v_and_b32_e32 v71, 30, v122
	s_wait_alu 0xfffd
	v_add_co_ci_u32_e64 v209, null, v76, v106, vcc_lo
	v_add_co_u32 v20, vcc_lo, v83, v20
	s_wait_alu 0xfffd
	v_add_co_ci_u32_e64 v212, null, v84, v106, vcc_lo
	v_add_co_u32 v75, vcc_lo, v75, v19
	s_wait_alu 0xfffd
	v_add_co_ci_u32_e64 v211, null, v76, v110, vcc_lo
	v_add_nc_u32_e32 v71, 2, v71
	v_xor_b32_e32 v76, 1, v122
	v_add_co_u32 v215, vcc_lo, v83, v19
	s_wait_alu 0xfffd
	v_add_co_ci_u32_e64 v216, null, v84, v110, vcc_lo
	s_delay_alu instid0(VALU_DEP_3)
	v_cmp_lt_i32_e32 vcc_lo, v76, v71
	v_xor_b32_e32 v77, 8, v122
	v_xor_b32_e32 v78, 16, v122
	s_mul_u64 s[48:49], s[20:21], s[26:27]
	s_mul_i32 s21, s4, s15
	s_wait_alu 0xfffd
	v_cndmask_b32_e32 v19, v122, v76, vcc_lo
	v_xor_b32_e32 v76, 2, v122
	s_mul_i32 s27, s34, s4
	s_add_nc_u64 s[40:41], s[44:45], s[40:41]
	s_add_nc_u64 s[50:51], s[6:7], s[38:39]
	v_lshlrev_b32_e32 v71, 2, v19
	v_xor_b32_e32 v19, 4, v122
	v_cmp_gt_i32_e32 vcc_lo, 32, v76
	s_add_nc_u64 s[10:11], s[10:11], s[40:41]
	s_clause 0x1
	scratch_store_b32 off, v213, off offset:132
	scratch_store_b32 off, v217, off offset:112
	s_wait_alu 0xfffd
	v_dual_cndmask_b32 v76, v122, v76 :: v_dual_and_b32 v217, 4, v217
	v_cmp_gt_i32_e32 vcc_lo, 32, v19
	s_mul_i32 s20, s22, s15
	s_mul_i32 s22, s34, s22
	s_wait_alu 0xfffd
	v_dual_cndmask_b32 v19, v122, v19 :: v_dual_lshlrev_b32 v76, 2, v76
	v_cmp_gt_i32_e32 vcc_lo, 32, v77
	v_mul_lo_u32 v91, v18, s4
	v_lshlrev_b32_e32 v18, 1, v18
	s_delay_alu instid0(VALU_DEP_4)
	v_lshlrev_b32_e32 v19, 2, v19
	s_wait_alu 0xfffd
	v_cndmask_b32_e32 v77, v122, v77, vcc_lo
	v_cmp_gt_i32_e32 vcc_lo, 32, v78
	scratch_store_b32 off, v76, off offset:4 ; 4-byte Folded Spill
	v_ashrrev_i32_e32 v92, 31, v91
	v_lshlrev_b32_e32 v76, 2, v77
	s_wait_alu 0xfffd
	v_cndmask_b32_e32 v78, v122, v78, vcc_lo
	scratch_store_b32 off, v19, off offset:8 ; 4-byte Folded Spill
	v_add_nc_u32_e32 v19, s4, v91
	s_wait_alu 0xfffe
	v_add_co_u32 v16, s4, s48, v16
	scratch_store_b32 off, v76, off offset:12 ; 4-byte Folded Spill
	v_lshlrev_b32_e32 v76, 2, v78
	s_wait_alu 0xf1ff
	v_add_co_ci_u32_e64 v81, null, s49, 0, s4
	v_add_co_u32 v77, vcc_lo, v16, v19
	scratch_store_b32 off, v76, off offset:16 ; 4-byte Folded Spill
	v_lshlrev_b32_e32 v76, 1, v17
	v_ashrrev_i32_e32 v17, 31, v19
	v_add_co_u32 v18, s4, s10, v18
	s_wait_alu 0xf1ff
	v_add_co_ci_u32_e64 v80, null, s11, 0, s4
	s_wait_alu 0xfffd
	v_add_co_ci_u32_e64 v78, null, v81, v17, vcc_lo
	v_add_co_u32 v77, vcc_lo, s50, v77
	s_add_nc_u64 s[10:11], s[50:51], s[48:49]
	s_wait_alu 0xfffd
	v_add_co_ci_u32_e64 v78, null, s51, v78, vcc_lo
	v_add_co_u32 v79, vcc_lo, v18, 2
	s_wait_alu 0xfffd
	v_add_co_ci_u32_e64 v80, null, 0, v80, vcc_lo
	v_add_co_u32 v16, vcc_lo, v16, s38
	s_wait_alu 0xfffd
	v_add_co_ci_u32_e64 v18, null, s39, v81, vcc_lo
	s_delay_alu instid0(VALU_DEP_2) | instskip(SKIP_1) | instid1(VALU_DEP_2)
	v_add_co_u32 v16, vcc_lo, v16, v91
	s_wait_alu 0xfffd
	v_add_co_ci_u32_e64 v18, null, v18, v92, vcc_lo
	s_wait_alu 0xfffe
	v_add_co_u32 v81, vcc_lo, s10, v19
	s_wait_alu 0xfffd
	v_add_co_ci_u32_e64 v82, null, s11, v17, vcc_lo
	v_add_co_u32 v83, vcc_lo, s6, v16
	s_wait_alu 0xfffd
	v_add_co_ci_u32_e64 v84, null, s7, v18, vcc_lo
	v_add_co_u32 v85, vcc_lo, v23, 2
	s_add_nc_u64 s[10:11], s[8:9], s[42:43]
	s_wait_alu 0xfffd
	v_add_co_ci_u32_e64 v86, null, 0, v24, vcc_lo
	s_wait_alu 0xfffe
	v_add_co_u32 v87, vcc_lo, s10, v21
	s_wait_alu 0xfffd
	v_add_co_ci_u32_e64 v88, null, s11, v22, vcc_lo
	v_add_co_u32 v16, vcc_lo, s10, v28
	s_wait_alu 0xfffd
	v_add_co_ci_u32_e64 v17, null, s11, v29, vcc_lo
	s_add_nc_u64 s[10:11], s[48:49], s[38:39]
	v_add_co_u32 v89, vcc_lo, v16, 2
	s_wait_alu 0xfffe
	s_add_nc_u64 s[6:7], s[6:7], s[10:11]
	s_wait_alu 0xfffd
	v_add_co_ci_u32_e64 v90, null, 0, v17, vcc_lo
	s_wait_alu 0xfffe
	v_add_co_u32 v16, vcc_lo, s6, v91
	s_wait_alu 0xfffd
	v_add_co_ci_u32_e64 v17, null, s7, v92, vcc_lo
	v_add_co_u32 v18, vcc_lo, s8, v31
	s_wait_alu 0xfffd
	v_add_co_ci_u32_e64 v19, null, s9, v32, vcc_lo
	;; [unrolled: 3-line block ×91, first 2 shown]
	ds_load_b128 v[16:19], v213
	v_add_co_u32 v21, vcc_lo, s8, v75
	s_wait_alu 0xfffd
	v_add_co_ci_u32_e64 v22, null, s9, v211, vcc_lo
	v_add_co_u32 v211, vcc_lo, s8, v20
	s_wait_alu 0xfffd
	v_add_co_ci_u32_e64 v212, null, s9, v212, vcc_lo
	;; [unrolled: 3-line block ×4, first 2 shown]
	v_mov_b32_e32 v70, 0
	v_dual_mov_b32 v20, 0xfeffffff :: v_dual_mov_b32 v69, 0
	v_mov_b32_e32 v21, 0xfeffffff
	s_and_b32 s8, s37, s46
	s_lshl_b64 s[6:7], s[34:35], 1
	s_mov_b32 s9, 0xbbbac73d
	s_clause 0xb
	scratch_store_b32 off, v219, off offset:20
	scratch_store_b64 off, v[220:221], off offset:24
	scratch_store_b64 off, v[222:223], off offset:32
	;; [unrolled: 1-line block ×11, first 2 shown]
.LBB22_17:                              ; =>This Inner Loop Header: Depth=1
	v_add_co_u32 v22, vcc_lo, v83, s21
	s_wait_alu 0xfffd
	v_add_co_ci_u32_e64 v23, null, 0, v84, vcc_lo
	v_add_co_u32 v24, vcc_lo, v91, s21
	s_wait_alu 0xfffd
	v_add_co_ci_u32_e64 v25, null, 0, v92, vcc_lo
	global_load_b32 v26, v[22:23], off offset:4
	global_load_b32 v27, v[24:25], off offset:-60
	s_clause 0x1
	global_load_b32 v28, v[22:23], off offset:12
	global_load_b32 v29, v[22:23], off offset:24
	global_load_b32 v30, v[24:25], off offset:-40
	s_clause 0x1
	global_load_b32 v32, v[22:23], off offset:32
	;; [unrolled: 4-line block ×3, first 2 shown]
	global_load_b32 v38, v[22:23], off offset:64
	global_load_b32 v39, v[24:25], off
	global_load_b32 v22, v[22:23], off offset:72
	s_wait_loadcnt 0xb
	v_lshrrev_b32_e32 v41, 4, v26
	s_wait_loadcnt 0xa
	v_lshrrev_b32_e32 v40, 16, v27
	v_cvt_f32_f16_e32 v58, v27
	s_wait_loadcnt 0x8
	v_and_b32_e32 v35, 0xf0f0f0f, v29
	s_wait_loadcnt 0x7
	v_cvt_f32_f16_e32 v34, v30
	v_lshrrev_b32_e32 v30, 16, v30
	v_lshrrev_b32_e32 v29, 4, v29
	v_cvt_f32_f16_e32 v63, v40
	v_and_b32_e32 v59, 0xf0f0f0f, v26
	v_and_b32_e32 v56, 0xf0f0f0f, v28
	v_lshrrev_b32_e32 v42, 4, v28
	s_wait_loadcnt 0x6
	v_and_b32_e32 v31, 0xf0f0f0f, v32
	v_lshrrev_b32_e32 v32, 4, v32
	s_wait_loadcnt 0x4
	v_cvt_f32_f16_e32 v27, v36
	v_lshrrev_b32_e32 v43, 16, v36
	s_wait_loadcnt 0x1
	v_cvt_f32_f16_e32 v24, v39
	v_cvt_f32_f16_e32 v57, v30
	v_and_b32_e32 v36, 0xf0f0f0f, v29
	v_mul_f32_e32 v30, v1, v63
	v_dot4_i32_iu8 v29, v59, v220, 0 neg_lo:[1,1,0]
	v_and_b32_e32 v28, 0xf0f0f0f, v33
	v_and_b32_e32 v26, 0xf0f0f0f, v37
	v_lshrrev_b32_e32 v44, 4, v33
	v_lshrrev_b32_e32 v37, 4, v37
	v_dual_mul_f32 v64, v3, v57 :: v_dual_and_b32 v25, 0xf0f0f0f, v38
	v_and_b32_e32 v62, 0xf0f0f0f, v41
	v_and_b32_e32 v61, 0xf0f0f0f, v42
	v_dual_mul_f32 v60, v2, v34 :: v_dual_and_b32 v33, 0xf0f0f0f, v32
	v_cvt_f32_f16_e32 v32, v43
	v_mul_f32_e32 v40, v0, v58
	v_dot4_i32_iu8 v41, v56, v221, 0 neg_lo:[1,1,0]
	v_cvt_f32_i32_e32 v42, v29
	v_dual_mul_f32 v43, 0x3e000000, v30 :: v_dual_mul_f32 v64, 0x3e000000, v64
	v_and_b32_e32 v29, 0xf0f0f0f, v37
	v_dot4_i32_iu8 v37, v62, v222, 0 neg_lo:[1,1,0]
	v_cvt_f32_i32_e32 v41, v41
	s_delay_alu instid0(VALU_DEP_4)
	v_fma_f32 v42, v40, v42, v43
	v_dot4_i32_iu8 v45, v61, v223, 0 neg_lo:[1,1,0]
	v_lshrrev_b32_e32 v39, 16, v39
	v_cvt_f32_i32_e32 v37, v37
	v_fma_f32 v41, v40, v41, v43
	v_add_f32_e32 v42, 0, v42
	v_cvt_f32_i32_e32 v45, v45
	v_and_b32_e32 v30, 0xf0f0f0f, v44
	v_dot4_i32_iu8 v44, v35, v224, 0 neg_lo:[1,1,0]
	v_fma_f32 v37, v40, v37, v43
	v_add_f32_e32 v41, v42, v41
	s_wait_loadcnt 0x0
	v_and_b32_e32 v23, 0xf0f0f0f, v22
	v_dot4_i32_iu8 v42, v31, v225, 0 neg_lo:[1,1,0]
	v_cvt_f32_i32_e32 v44, v44
	v_fmac_f32_e32 v43, v40, v45
	v_add_f32_e32 v40, v41, v37
	v_cvt_f32_f16_e32 v37, v39
	v_cvt_f32_i32_e32 v39, v42
	v_dot4_i32_iu8 v41, v36, v226, 0 neg_lo:[1,1,0]
	v_fma_f32 v42, v60, v44, v64
	v_add_f32_e32 v40, v40, v43
	v_dot4_i32_iu8 v44, v33, v227, 0 neg_lo:[1,1,0]
	v_fma_f32 v39, v60, v39, v64
	v_cvt_f32_i32_e32 v41, v41
	s_delay_alu instid0(VALU_DEP_4) | instskip(SKIP_2) | instid1(VALU_DEP_4)
	v_dual_mul_f32 v45, v5, v32 :: v_dual_add_f32 v40, v40, v42
	v_dot4_i32_iu8 v43, v28, v228, 0 neg_lo:[1,1,0]
	v_cvt_f32_i32_e32 v44, v44
	v_fma_f32 v41, v60, v41, v64
	v_lshrrev_b32_e32 v38, 4, v38
	v_add_f32_e32 v39, v40, v39
	v_dual_mul_f32 v42, v4, v27 :: v_dual_mul_f32 v45, 0x3e000000, v45
	v_dot4_i32_iu8 v40, v26, v229, 0 neg_lo:[1,1,0]
	v_cvt_f32_i32_e32 v43, v43
	s_delay_alu instid0(VALU_DEP_4) | instskip(SKIP_2) | instid1(VALU_DEP_4)
	v_dual_fmac_f32 v64, v60, v44 :: v_dual_add_f32 v39, v39, v41
	v_dot4_i32_iu8 v44, v29, v231, 0 neg_lo:[1,1,0]
	v_lshrrev_b32_e32 v22, 4, v22
	v_fma_f32 v41, v42, v43, v45
	v_dot4_i32_iu8 v43, v25, v232, 0 neg_lo:[1,1,0]
	v_dual_add_f32 v39, v39, v64 :: v_dual_and_b32 v60, 0xf0f0f0f, v38
	v_cvt_f32_i32_e32 v38, v40
	v_dot4_i32_iu8 v40, v30, v230, 0 neg_lo:[1,1,0]
	v_cvt_f32_i32_e32 v44, v44
	s_delay_alu instid0(VALU_DEP_4)
	v_add_f32_e32 v39, v39, v41
	v_mul_f32_e32 v64, v7, v37
	v_fma_f32 v38, v42, v38, v45
	v_cvt_f32_i32_e32 v40, v40
	v_mul_f32_e32 v41, v6, v24
	v_cvt_f32_i32_e32 v43, v43
	s_delay_alu instid0(VALU_DEP_3) | instskip(SKIP_4) | instid1(VALU_DEP_4)
	v_fma_f32 v40, v42, v40, v45
	v_dual_fmac_f32 v45, v42, v44 :: v_dual_add_f32 v38, v39, v38
	v_mul_f32_e32 v65, 0x3e000000, v64
	v_dot4_i32_iu8 v39, v23, v233, 0 neg_lo:[1,1,0]
	v_and_b32_e32 v64, 0xf0f0f0f, v22
	v_add_f32_e32 v38, v38, v40
	v_dot4_i32_iu8 v40, v60, v234, 0 neg_lo:[1,1,0]
	s_delay_alu instid0(VALU_DEP_4) | instskip(SKIP_1) | instid1(VALU_DEP_4)
	v_cvt_f32_i32_e32 v39, v39
	v_fma_f32 v42, v41, v43, v65
	v_add_f32_e32 v38, v38, v45
	s_delay_alu instid0(VALU_DEP_4) | instskip(NEXT) | instid1(VALU_DEP_4)
	v_cvt_f32_i32_e32 v22, v40
	v_fma_f32 v39, v41, v39, v65
	v_dot4_i32_iu8 v40, v64, v235, 0 neg_lo:[1,1,0]
	s_delay_alu instid0(VALU_DEP_4) | instskip(NEXT) | instid1(VALU_DEP_4)
	v_add_f32_e32 v38, v38, v42
	v_fma_f32 v22, v41, v22, v65
	s_delay_alu instid0(VALU_DEP_2) | instskip(NEXT) | instid1(VALU_DEP_4)
	v_add_f32_e32 v38, v38, v39
	v_cvt_f32_i32_e32 v39, v40
	s_delay_alu instid0(VALU_DEP_1) | instskip(NEXT) | instid1(VALU_DEP_1)
	v_dual_add_f32 v22, v38, v22 :: v_dual_fmac_f32 v65, v41, v39
	v_add_f32_e32 v22, v22, v65
                                        ; implicit-def: $vgpr65
	ds_bpermute_b32 v38, v71, v22
	s_wait_dscnt 0x0
	v_add_f32_e32 v22, v22, v38
	s_delay_alu instid0(VALU_DEP_1)
	v_cmp_ngt_f32_e64 s4, 0x3f200000, |v22|
	s_and_saveexec_b32 s10, s4
	s_wait_alu 0xfffe
	s_xor_b32 s4, exec_lo, s10
	s_cbranch_execz .LBB22_19
; %bb.18:                               ;   in Loop: Header=BB22_17 Depth=1
	v_add_f32_e64 v38, |v22|, |v22|
	s_delay_alu instid0(VALU_DEP_1) | instskip(SKIP_1) | instid1(VALU_DEP_2)
	v_mul_f32_e32 v39, 0x3fb8aa3b, v38
	v_cmp_ngt_f32_e32 vcc_lo, 0xc2ce8ed0, v38
	v_rndne_f32_e32 v40, v39
	v_fma_f32 v41, 0x3fb8aa3b, v38, -v39
	s_delay_alu instid0(VALU_DEP_2) | instskip(NEXT) | instid1(VALU_DEP_2)
	v_sub_f32_e32 v39, v39, v40
	v_fmac_f32_e32 v41, 0x32a5705f, v38
	v_cvt_i32_f32_e32 v40, v40
	s_delay_alu instid0(VALU_DEP_2) | instskip(NEXT) | instid1(VALU_DEP_1)
	v_add_f32_e32 v39, v39, v41
	v_exp_f32_e32 v39, v39
	s_delay_alu instid0(TRANS32_DEP_1) | instskip(SKIP_1) | instid1(VALU_DEP_1)
	v_ldexp_f32 v39, v39, v40
	s_wait_alu 0xfffd
	v_cndmask_b32_e32 v39, 0, v39, vcc_lo
	v_cmp_nlt_f32_e32 vcc_lo, 0x42b17218, v38
	s_wait_alu 0xfffd
	s_delay_alu instid0(VALU_DEP_2) | instskip(NEXT) | instid1(VALU_DEP_1)
	v_cndmask_b32_e32 v38, 0x7f800000, v39, vcc_lo
	v_add_f32_e32 v38, 1.0, v38
	s_delay_alu instid0(VALU_DEP_1) | instskip(NEXT) | instid1(TRANS32_DEP_1)
	v_rcp_f32_e32 v38, v38
	v_fma_f32 v65, v38, -2.0, 1.0
.LBB22_19:                              ;   in Loop: Header=BB22_17 Depth=1
	s_wait_alu 0xfffe
	s_and_not1_saveexec_b32 s4, s4
	s_cbranch_execz .LBB22_21
; %bb.20:                               ;   in Loop: Header=BB22_17 Depth=1
	v_mul_f32_e32 v38, v22, v22
	s_delay_alu instid0(VALU_DEP_1) | instskip(NEXT) | instid1(VALU_DEP_1)
	v_fmaak_f32 v39, s9, v38, 0x3ca908c9
	v_fmaak_f32 v39, v38, v39, 0xbd5c1c4e
	s_delay_alu instid0(VALU_DEP_1) | instskip(NEXT) | instid1(VALU_DEP_1)
	v_fmaak_f32 v39, v38, v39, 0x3e088382
	v_fmaak_f32 v39, v38, v39, 0xbeaaaa99
	s_delay_alu instid0(VALU_DEP_1) | instskip(NEXT) | instid1(VALU_DEP_1)
	v_mul_f32_e64 v39, |v22|, v39
	v_fma_f32 v65, v38, v39, |v22|
.LBB22_21:                              ;   in Loop: Header=BB22_17 Depth=1
	s_wait_alu 0xfffe
	s_or_b32 exec_lo, exec_lo, s4
	s_delay_alu instid0(VALU_DEP_1) | instskip(SKIP_1) | instid1(VALU_DEP_1)
	v_bfi_b32 v22, 0x7fffffff, v65, v22
	s_and_not1_b32 vcc_lo, exec_lo, s23
	v_mul_f32_e32 v22, s31, v22
	s_wait_alu 0xfffe
	s_cbranch_vccnz .LBB22_23
; %bb.22:                               ;   in Loop: Header=BB22_17 Depth=1
	v_add_co_u32 v38, vcc_lo, v79, s33
	s_wait_alu 0xfffd
	v_add_co_ci_u32_e64 v39, null, s5, v80, vcc_lo
	global_load_u16 v38, v[38:39], off offset:-2
	s_wait_loadcnt 0x0
	v_fma_mix_f32 v22, v219, v38, v22 op_sel_hi:[0,1,0]
.LBB22_23:                              ;   in Loop: Header=BB22_17 Depth=1
	v_dot4_i32_iu8 v38, v59, v236, 0 neg_lo:[1,1,0]
	v_dual_mul_f32 v39, v9, v63 :: v_dual_mul_f32 v40, v8, v58
	v_dot4_i32_iu8 v41, v56, v237, 0 neg_lo:[1,1,0]
	v_dot4_i32_iu8 v42, v62, v238, 0 neg_lo:[1,1,0]
	s_delay_alu instid0(VALU_DEP_4) | instskip(NEXT) | instid1(VALU_DEP_4)
	v_cvt_f32_i32_e32 v38, v38
	v_mul_f32_e32 v39, 0x3e000000, v39
	v_dot4_i32_iu8 v43, v61, v239, 0 neg_lo:[1,1,0]
	v_cvt_f32_i32_e32 v41, v41
	v_cvt_f32_i32_e32 v42, v42
	v_dot4_i32_iu8 v31, v31, v241, 0 neg_lo:[1,1,0]
	v_fma_f32 v38, v40, v38, v39
	v_cvt_f32_i32_e32 v43, v43
	v_dot4_i32_iu8 v35, v35, v240, 0 neg_lo:[1,1,0]
	v_dot4_i32_iu8 v36, v36, v46, 0 neg_lo:[1,1,0]
	v_cvt_f32_i32_e32 v31, v31
	v_add_f32_e32 v38, 0, v38
	v_fma_f32 v41, v40, v41, v39
	v_mul_f32_e32 v44, v11, v57
	v_fma_f32 v42, v40, v42, v39
	v_dual_fmac_f32 v39, v40, v43 :: v_dual_mul_f32 v34, v10, v34
	s_delay_alu instid0(VALU_DEP_4) | instskip(NEXT) | instid1(VALU_DEP_4)
	v_dual_add_f32 v38, v38, v41 :: v_dual_mul_f32 v27, v12, v27
	v_mul_f32_e32 v41, 0x3e000000, v44
	v_cvt_f32_i32_e32 v35, v35
	v_cvt_f32_i32_e32 v36, v36
	v_dot4_i32_iu8 v33, v33, v47, 0 neg_lo:[1,1,0]
	v_dot4_i32_iu8 v28, v28, v48, 0 neg_lo:[1,1,0]
	v_fma_f32 v31, v34, v31, v41
	v_add_f32_e32 v38, v38, v42
	v_fma_f32 v35, v34, v35, v41
	v_fma_f32 v36, v34, v36, v41
	v_cvt_f32_i32_e32 v33, v33
	v_dot4_i32_iu8 v26, v26, v49, 0 neg_lo:[1,1,0]
	v_add_f32_e32 v38, v38, v39
	v_mul_f32_e32 v32, v13, v32
	v_cvt_f32_i32_e32 v28, v28
	v_dot4_i32_iu8 v30, v30, v50, 0 neg_lo:[1,1,0]
	v_cvt_f32_i32_e32 v26, v26
	s_delay_alu instid0(VALU_DEP_4) | instskip(SKIP_3) | instid1(VALU_DEP_4)
	v_dual_add_f32 v35, v38, v35 :: v_dual_mul_f32 v32, 0x3e000000, v32
	v_fmac_f32_e32 v41, v34, v33
	v_dot4_i32_iu8 v29, v29, v51, 0 neg_lo:[1,1,0]
	v_dot4_i32_iu8 v23, v23, v53, 0 neg_lo:[1,1,0]
	v_add_f32_e32 v31, v35, v31
	v_fma_f32 v28, v27, v28, v32
	v_fma_f32 v26, v27, v26, v32
	v_cvt_f32_i32_e32 v30, v30
	v_cvt_f32_i32_e32 v29, v29
	v_add_f32_e32 v31, v31, v36
	v_mul_f32_e32 v24, v14, v24
	v_cvt_f32_i32_e32 v23, v23
	v_fma_f32 v30, v27, v30, v32
	v_dot4_i32_iu8 v25, v25, v52, 0 neg_lo:[1,1,0]
	v_add_f32_e32 v31, v31, v41
	s_delay_alu instid0(VALU_DEP_2) | instskip(NEXT) | instid1(VALU_DEP_2)
	v_cvt_f32_i32_e32 v25, v25
	v_add_f32_e32 v28, v31, v28
	s_delay_alu instid0(VALU_DEP_1) | instskip(NEXT) | instid1(VALU_DEP_1)
	v_dual_mul_f32 v31, v15, v37 :: v_dual_add_f32 v26, v28, v26
	v_mul_f32_e32 v28, 0x3e000000, v31
	s_delay_alu instid0(VALU_DEP_1) | instskip(SKIP_3) | instid1(VALU_DEP_2)
	v_fma_f32 v23, v24, v23, v28
	v_fmac_f32_e32 v32, v27, v29
	v_dot4_i32_iu8 v27, v60, v54, 0 neg_lo:[1,1,0]
	v_fma_f32 v25, v24, v25, v28
	v_cvt_f32_i32_e32 v27, v27
	s_delay_alu instid0(VALU_DEP_1) | instskip(SKIP_1) | instid1(VALU_DEP_1)
	v_fma_f32 v27, v24, v27, v28
	v_add_f32_e32 v26, v26, v30
	v_add_f32_e32 v26, v26, v32
	s_delay_alu instid0(VALU_DEP_1) | instskip(SKIP_1) | instid1(VALU_DEP_2)
	v_add_f32_e32 v25, v26, v25
	v_dot4_i32_iu8 v26, v64, v55, 0 neg_lo:[1,1,0]
	v_add_f32_e32 v23, v25, v23
	s_delay_alu instid0(VALU_DEP_2) | instskip(NEXT) | instid1(VALU_DEP_1)
	v_cvt_f32_i32_e32 v25, v26
	v_dual_add_f32 v23, v23, v27 :: v_dual_fmac_f32 v28, v24, v25
	s_delay_alu instid0(VALU_DEP_1) | instskip(SKIP_3) | instid1(VALU_DEP_1)
	v_add_f32_e32 v23, v23, v28
	ds_bpermute_b32 v24, v71, v23
	s_wait_dscnt 0x0
	v_add_f32_e32 v23, v23, v24
                                        ; implicit-def: $vgpr24
	v_cmp_ngt_f32_e64 s4, 0x3f200000, |v23|
	s_and_saveexec_b32 s10, s4
	s_wait_alu 0xfffe
	s_xor_b32 s4, exec_lo, s10
	s_cbranch_execz .LBB22_25
; %bb.24:                               ;   in Loop: Header=BB22_17 Depth=1
	v_add_f32_e64 v24, |v23|, |v23|
	s_delay_alu instid0(VALU_DEP_1) | instskip(SKIP_1) | instid1(VALU_DEP_2)
	v_mul_f32_e32 v25, 0x3fb8aa3b, v24
	v_cmp_ngt_f32_e32 vcc_lo, 0xc2ce8ed0, v24
	v_rndne_f32_e32 v26, v25
	v_fma_f32 v27, 0x3fb8aa3b, v24, -v25
	s_delay_alu instid0(VALU_DEP_2) | instskip(NEXT) | instid1(VALU_DEP_2)
	v_sub_f32_e32 v25, v25, v26
	v_fmac_f32_e32 v27, 0x32a5705f, v24
	v_cvt_i32_f32_e32 v26, v26
	s_delay_alu instid0(VALU_DEP_2) | instskip(NEXT) | instid1(VALU_DEP_1)
	v_add_f32_e32 v25, v25, v27
	v_exp_f32_e32 v25, v25
	s_delay_alu instid0(TRANS32_DEP_1) | instskip(SKIP_1) | instid1(VALU_DEP_1)
	v_ldexp_f32 v25, v25, v26
	s_wait_alu 0xfffd
	v_cndmask_b32_e32 v25, 0, v25, vcc_lo
	v_cmp_nlt_f32_e32 vcc_lo, 0x42b17218, v24
	s_wait_alu 0xfffd
	s_delay_alu instid0(VALU_DEP_2) | instskip(NEXT) | instid1(VALU_DEP_1)
	v_cndmask_b32_e32 v24, 0x7f800000, v25, vcc_lo
	v_add_f32_e32 v24, 1.0, v24
	s_delay_alu instid0(VALU_DEP_1) | instskip(NEXT) | instid1(TRANS32_DEP_1)
	v_rcp_f32_e32 v24, v24
	v_fma_f32 v24, v24, -2.0, 1.0
.LBB22_25:                              ;   in Loop: Header=BB22_17 Depth=1
	s_wait_alu 0xfffe
	s_and_not1_saveexec_b32 s4, s4
	s_cbranch_execz .LBB22_27
; %bb.26:                               ;   in Loop: Header=BB22_17 Depth=1
	v_mul_f32_e32 v24, v23, v23
	s_delay_alu instid0(VALU_DEP_1) | instskip(NEXT) | instid1(VALU_DEP_1)
	v_fmaak_f32 v25, s9, v24, 0x3ca908c9
	v_fmaak_f32 v25, v24, v25, 0xbd5c1c4e
	s_delay_alu instid0(VALU_DEP_1) | instskip(NEXT) | instid1(VALU_DEP_1)
	v_fmaak_f32 v25, v24, v25, 0x3e088382
	v_fmaak_f32 v25, v24, v25, 0xbeaaaa99
	s_delay_alu instid0(VALU_DEP_1) | instskip(NEXT) | instid1(VALU_DEP_1)
	v_mul_f32_e64 v25, |v23|, v25
	v_fma_f32 v24, v24, v25, |v23|
.LBB22_27:                              ;   in Loop: Header=BB22_17 Depth=1
	s_wait_alu 0xfffe
	s_or_b32 exec_lo, exec_lo, s4
	s_delay_alu instid0(VALU_DEP_1) | instskip(SKIP_1) | instid1(VALU_DEP_1)
	v_bfi_b32 v23, 0x7fffffff, v24, v23
	s_and_not1_b32 vcc_lo, exec_lo, s8
	v_mul_f32_e32 v23, s31, v23
	s_wait_alu 0xfffe
	s_cbranch_vccnz .LBB22_29
; %bb.28:                               ;   in Loop: Header=BB22_17 Depth=1
	v_add_co_u32 v24, vcc_lo, v67, s33
	s_wait_alu 0xfffd
	v_add_co_ci_u32_e64 v25, null, s5, v68, vcc_lo
	global_load_u16 v24, v[24:25], off
	s_wait_loadcnt 0x0
	v_fma_mix_f32 v23, v219, v24, v23 op_sel_hi:[0,1,0]
.LBB22_29:                              ;   in Loop: Header=BB22_17 Depth=1
	v_add_co_u32 v24, vcc_lo, v77, s21
	s_wait_alu 0xfffd
	v_add_co_ci_u32_e64 v25, null, 0, v78, vcc_lo
	v_add_co_u32 v26, vcc_lo, v81, s21
	s_wait_alu 0xfffd
	v_add_co_ci_u32_e64 v27, null, 0, v82, vcc_lo
	global_load_b32 v28, v[24:25], off offset:4
	global_load_b32 v29, v[26:27], off
	s_clause 0x1
	global_load_b32 v30, v[24:25], off offset:12
	global_load_b32 v31, v[24:25], off offset:24
	global_load_b32 v32, v[26:27], off offset:20
	s_clause 0x1
	global_load_b32 v34, v[24:25], off offset:32
	global_load_b32 v35, v[24:25], off offset:44
	global_load_b32 v38, v[26:27], off offset:40
	;; [unrolled: 4-line block ×3, first 2 shown]
	global_load_b32 v24, v[24:25], off offset:72
	s_wait_loadcnt 0xb
	v_lshrrev_b32_e32 v43, 4, v28
	s_wait_loadcnt 0xa
	v_lshrrev_b32_e32 v42, 16, v29
	v_cvt_f32_f16_e32 v60, v29
	s_wait_loadcnt 0x8
	v_and_b32_e32 v37, 0xf0f0f0f, v31
	s_wait_loadcnt 0x7
	v_cvt_f32_f16_e32 v36, v32
	v_lshrrev_b32_e32 v32, 16, v32
	v_lshrrev_b32_e32 v31, 4, v31
	v_cvt_f32_f16_e32 v65, v42
	v_and_b32_e32 v61, 0xf0f0f0f, v28
	v_lshrrev_b32_e32 v44, 4, v30
	s_wait_loadcnt 0x6
	v_dual_mul_f32 v62, v2, v36 :: v_dual_and_b32 v33, 0xf0f0f0f, v34
	v_lshrrev_b32_e32 v34, 4, v34
	s_wait_loadcnt 0x4
	v_cvt_f32_f16_e32 v29, v38
	v_lshrrev_b32_e32 v38, 16, v38
	v_cvt_f32_f16_e32 v59, v32
	v_and_b32_e32 v56, 0xf0f0f0f, v31
	v_mul_f32_e32 v32, v1, v65
	v_dot4_i32_iu8 v31, v61, v220, 0 neg_lo:[1,1,0]
	v_and_b32_e32 v58, 0xf0f0f0f, v30
	v_and_b32_e32 v30, 0xf0f0f0f, v35
	v_lshrrev_b32_e32 v45, 4, v35
	v_and_b32_e32 v64, 0xf0f0f0f, v43
	v_and_b32_e32 v35, 0xf0f0f0f, v34
	v_cvt_f32_f16_e32 v34, v38
	v_mul_f32_e32 v38, v0, v60
	v_and_b32_e32 v63, 0xf0f0f0f, v44
	v_cvt_f32_i32_e32 v43, v31
	v_mul_f32_e32 v44, 0x3e000000, v32
	s_wait_loadcnt 0x1
	v_cvt_f32_f16_e32 v26, v41
	v_and_b32_e32 v28, 0xf0f0f0f, v39
	v_lshrrev_b32_e32 v39, 4, v39
	v_dot4_i32_iu8 v57, v63, v223, 0 neg_lo:[1,1,0]
	v_fma_f32 v43, v38, v43, v44
	v_dual_mul_f32 v66, v3, v59 :: v_dual_and_b32 v27, 0xf0f0f0f, v40
	s_delay_alu instid0(VALU_DEP_4) | instskip(SKIP_1) | instid1(VALU_DEP_4)
	v_and_b32_e32 v31, 0xf0f0f0f, v39
	v_dot4_i32_iu8 v39, v64, v222, 0 neg_lo:[1,1,0]
	v_add_f32_e32 v43, 0, v43
	v_dot4_i32_iu8 v42, v58, v221, 0 neg_lo:[1,1,0]
	v_and_b32_e32 v32, 0xf0f0f0f, v45
	v_dot4_i32_iu8 v45, v37, v224, 0 neg_lo:[1,1,0]
	v_cvt_f32_i32_e32 v39, v39
	v_cvt_f32_i32_e32 v57, v57
	;; [unrolled: 1-line block ×3, first 2 shown]
	v_lshrrev_b32_e32 v41, 16, v41
	v_cvt_f32_i32_e32 v45, v45
	v_fma_f32 v39, v38, v39, v44
	v_mul_f32_e32 v66, 0x3e000000, v66
	v_fma_f32 v42, v38, v42, v44
	s_wait_loadcnt 0x0
	v_dual_fmac_f32 v44, v38, v57 :: v_dual_and_b32 v25, 0xf0f0f0f, v24
	v_cvt_f32_f16_e32 v57, v41
	v_dot4_i32_iu8 v41, v56, v226, 0 neg_lo:[1,1,0]
	v_add_f32_e32 v42, v43, v42
	v_dot4_i32_iu8 v43, v33, v225, 0 neg_lo:[1,1,0]
	v_lshrrev_b32_e32 v40, 4, v40
	v_lshrrev_b32_e32 v24, 4, v24
	v_cvt_f32_i32_e32 v41, v41
	v_add_f32_e32 v38, v42, v39
	v_cvt_f32_i32_e32 v39, v43
	v_fma_f32 v42, v62, v45, v66
	v_mul_f32_e32 v45, v5, v34
	v_dot4_i32_iu8 v43, v30, v228, 0 neg_lo:[1,1,0]
	v_add_f32_e32 v38, v38, v44
	v_dot4_i32_iu8 v44, v35, v227, 0 neg_lo:[1,1,0]
	v_fma_f32 v39, v62, v39, v66
	v_fma_f32 v41, v62, v41, v66
	v_cvt_f32_i32_e32 v43, v43
	v_add_f32_e32 v38, v38, v42
	v_cvt_f32_i32_e32 v44, v44
	v_mul_f32_e32 v42, v4, v29
	s_delay_alu instid0(VALU_DEP_3) | instskip(NEXT) | instid1(VALU_DEP_3)
	v_dual_mul_f32 v45, 0x3e000000, v45 :: v_dual_add_f32 v38, v38, v39
	v_fmac_f32_e32 v66, v62, v44
	v_and_b32_e32 v62, 0xf0f0f0f, v40
	v_dot4_i32_iu8 v40, v32, v230, 0 neg_lo:[1,1,0]
	v_dot4_i32_iu8 v44, v31, v231, 0 neg_lo:[1,1,0]
	v_add_f32_e32 v38, v38, v41
	v_fma_f32 v41, v42, v43, v45
	v_dot4_i32_iu8 v43, v27, v232, 0 neg_lo:[1,1,0]
	v_cvt_f32_i32_e32 v40, v40
	v_cvt_f32_i32_e32 v44, v44
	v_add_f32_e32 v38, v38, v66
	v_mul_f32_e32 v66, v7, v57
	v_cvt_f32_i32_e32 v43, v43
	v_fma_f32 v40, v42, v40, v45
	s_delay_alu instid0(VALU_DEP_4) | instskip(SKIP_4) | instid1(VALU_DEP_3)
	v_add_f32_e32 v38, v38, v41
	v_mul_f32_e32 v41, v6, v26
	v_dot4_i32_iu8 v39, v28, v229, 0 neg_lo:[1,1,0]
	v_mul_f32_e32 v72, 0x3e000000, v66
	v_and_b32_e32 v66, 0xf0f0f0f, v24
	v_cvt_f32_i32_e32 v39, v39
	s_delay_alu instid0(VALU_DEP_1) | instskip(SKIP_2) | instid1(VALU_DEP_3)
	v_fma_f32 v39, v42, v39, v45
	v_fmac_f32_e32 v45, v42, v44
	v_fma_f32 v42, v41, v43, v72
	v_add_f32_e32 v38, v38, v39
	v_dot4_i32_iu8 v39, v25, v233, 0 neg_lo:[1,1,0]
	s_delay_alu instid0(VALU_DEP_2) | instskip(NEXT) | instid1(VALU_DEP_2)
	v_add_f32_e32 v38, v38, v40
	v_cvt_f32_i32_e32 v39, v39
	v_dot4_i32_iu8 v40, v62, v234, 0 neg_lo:[1,1,0]
	s_delay_alu instid0(VALU_DEP_3) | instskip(NEXT) | instid1(VALU_DEP_3)
	v_add_f32_e32 v38, v38, v45
	v_fma_f32 v39, v41, v39, v72
	s_delay_alu instid0(VALU_DEP_3) | instskip(SKIP_1) | instid1(VALU_DEP_4)
	v_cvt_f32_i32_e32 v24, v40
	v_dot4_i32_iu8 v40, v66, v235, 0 neg_lo:[1,1,0]
	v_add_f32_e32 v38, v38, v42
	s_delay_alu instid0(VALU_DEP_3) | instskip(NEXT) | instid1(VALU_DEP_2)
	v_fma_f32 v24, v41, v24, v72
	v_add_f32_e32 v38, v38, v39
	s_delay_alu instid0(VALU_DEP_4) | instskip(NEXT) | instid1(VALU_DEP_2)
	v_cvt_f32_i32_e32 v39, v40
	v_add_f32_e32 v24, v38, v24
	s_delay_alu instid0(VALU_DEP_2) | instskip(NEXT) | instid1(VALU_DEP_1)
	v_fmac_f32_e32 v72, v41, v39
	v_add_f32_e32 v24, v24, v72
                                        ; implicit-def: $vgpr72
	ds_bpermute_b32 v38, v71, v24
	s_wait_dscnt 0x0
	v_add_f32_e32 v24, v24, v38
	s_delay_alu instid0(VALU_DEP_1)
	v_cmp_ngt_f32_e64 s4, 0x3f200000, |v24|
	s_and_saveexec_b32 s10, s4
	s_wait_alu 0xfffe
	s_xor_b32 s4, exec_lo, s10
	s_cbranch_execz .LBB22_31
; %bb.30:                               ;   in Loop: Header=BB22_17 Depth=1
	v_add_f32_e64 v38, |v24|, |v24|
	s_delay_alu instid0(VALU_DEP_1) | instskip(SKIP_1) | instid1(VALU_DEP_2)
	v_mul_f32_e32 v39, 0x3fb8aa3b, v38
	v_cmp_ngt_f32_e32 vcc_lo, 0xc2ce8ed0, v38
	v_rndne_f32_e32 v40, v39
	v_fma_f32 v41, 0x3fb8aa3b, v38, -v39
	s_delay_alu instid0(VALU_DEP_2) | instskip(NEXT) | instid1(VALU_DEP_2)
	v_sub_f32_e32 v39, v39, v40
	v_fmac_f32_e32 v41, 0x32a5705f, v38
	v_cvt_i32_f32_e32 v40, v40
	s_delay_alu instid0(VALU_DEP_2) | instskip(NEXT) | instid1(VALU_DEP_1)
	v_add_f32_e32 v39, v39, v41
	v_exp_f32_e32 v39, v39
	s_delay_alu instid0(TRANS32_DEP_1) | instskip(SKIP_1) | instid1(VALU_DEP_1)
	v_ldexp_f32 v39, v39, v40
	s_wait_alu 0xfffd
	v_cndmask_b32_e32 v39, 0, v39, vcc_lo
	v_cmp_nlt_f32_e32 vcc_lo, 0x42b17218, v38
	s_wait_alu 0xfffd
	s_delay_alu instid0(VALU_DEP_2) | instskip(NEXT) | instid1(VALU_DEP_1)
	v_cndmask_b32_e32 v38, 0x7f800000, v39, vcc_lo
	v_add_f32_e32 v38, 1.0, v38
	s_delay_alu instid0(VALU_DEP_1) | instskip(NEXT) | instid1(TRANS32_DEP_1)
	v_rcp_f32_e32 v38, v38
	v_fma_f32 v72, v38, -2.0, 1.0
.LBB22_31:                              ;   in Loop: Header=BB22_17 Depth=1
	s_wait_alu 0xfffe
	s_and_not1_saveexec_b32 s4, s4
	s_cbranch_execz .LBB22_33
; %bb.32:                               ;   in Loop: Header=BB22_17 Depth=1
	v_mul_f32_e32 v38, v24, v24
	s_delay_alu instid0(VALU_DEP_1) | instskip(NEXT) | instid1(VALU_DEP_1)
	v_fmaak_f32 v39, s9, v38, 0x3ca908c9
	v_fmaak_f32 v39, v38, v39, 0xbd5c1c4e
	s_delay_alu instid0(VALU_DEP_1) | instskip(NEXT) | instid1(VALU_DEP_1)
	v_fmaak_f32 v39, v38, v39, 0x3e088382
	v_fmaak_f32 v39, v38, v39, 0xbeaaaa99
	s_delay_alu instid0(VALU_DEP_1) | instskip(NEXT) | instid1(VALU_DEP_1)
	v_mul_f32_e64 v39, |v24|, v39
	v_fma_f32 v72, v38, v39, |v24|
.LBB22_33:                              ;   in Loop: Header=BB22_17 Depth=1
	s_wait_alu 0xfffe
	s_or_b32 exec_lo, exec_lo, s4
	s_delay_alu instid0(VALU_DEP_1) | instskip(SKIP_1) | instid1(VALU_DEP_1)
	v_bfi_b32 v24, 0x7fffffff, v72, v24
	s_and_not1_b32 vcc_lo, exec_lo, s23
	v_mul_f32_e32 v24, s31, v24
	s_wait_alu 0xfffe
	s_cbranch_vccnz .LBB22_35
; %bb.34:                               ;   in Loop: Header=BB22_17 Depth=1
	v_add_co_u32 v38, vcc_lo, v79, s33
	s_wait_alu 0xfffd
	v_add_co_ci_u32_e64 v39, null, s5, v80, vcc_lo
	global_load_u16 v38, v[38:39], off
	s_wait_loadcnt 0x0
	v_fma_mix_f32 v24, v219, v38, v24 op_sel_hi:[0,1,0]
.LBB22_35:                              ;   in Loop: Header=BB22_17 Depth=1
	v_dot4_i32_iu8 v38, v61, v236, 0 neg_lo:[1,1,0]
	v_dual_mul_f32 v39, v9, v65 :: v_dual_mul_f32 v40, v8, v60
	v_dot4_i32_iu8 v41, v58, v237, 0 neg_lo:[1,1,0]
	v_dot4_i32_iu8 v42, v64, v238, 0 neg_lo:[1,1,0]
	s_delay_alu instid0(VALU_DEP_4) | instskip(NEXT) | instid1(VALU_DEP_4)
	v_cvt_f32_i32_e32 v38, v38
	v_mul_f32_e32 v39, 0x3e000000, v39
	v_dot4_i32_iu8 v43, v63, v239, 0 neg_lo:[1,1,0]
	v_cvt_f32_i32_e32 v41, v41
	v_cvt_f32_i32_e32 v42, v42
	v_dot4_i32_iu8 v37, v37, v240, 0 neg_lo:[1,1,0]
	v_fma_f32 v38, v40, v38, v39
	v_cvt_f32_i32_e32 v43, v43
	v_dot4_i32_iu8 v33, v33, v241, 0 neg_lo:[1,1,0]
	v_dot4_i32_iu8 v35, v35, v47, 0 neg_lo:[1,1,0]
	v_cvt_f32_i32_e32 v37, v37
	v_add_f32_e32 v38, 0, v38
	v_fma_f32 v41, v40, v41, v39
	v_fma_f32 v42, v40, v42, v39
	v_dual_mul_f32 v36, v10, v36 :: v_dual_fmac_f32 v39, v40, v43
	v_dot4_i32_iu8 v40, v56, v46, 0 neg_lo:[1,1,0]
	s_delay_alu instid0(VALU_DEP_4)
	v_add_f32_e32 v38, v38, v41
	v_cvt_f32_i32_e32 v33, v33
	v_dot4_i32_iu8 v30, v30, v48, 0 neg_lo:[1,1,0]
	v_mul_f32_e32 v29, v12, v29
	v_cvt_f32_i32_e32 v35, v35
	v_add_f32_e32 v38, v38, v42
	v_dot4_i32_iu8 v28, v28, v49, 0 neg_lo:[1,1,0]
	v_cvt_f32_i32_e32 v30, v30
	v_dot4_i32_iu8 v32, v32, v50, 0 neg_lo:[1,1,0]
	v_dot4_i32_iu8 v31, v31, v51, 0 neg_lo:[1,1,0]
	v_add_f32_e32 v38, v38, v39
	v_mul_f32_e32 v44, v11, v59
	v_cvt_f32_i32_e32 v39, v40
	v_cvt_f32_i32_e32 v28, v28
	;; [unrolled: 1-line block ×4, first 2 shown]
	v_dual_mul_f32 v41, 0x3e000000, v44 :: v_dual_mul_f32 v34, v13, v34
	v_dot4_i32_iu8 v27, v27, v52, 0 neg_lo:[1,1,0]
	v_dot4_i32_iu8 v25, v25, v53, 0 neg_lo:[1,1,0]
	s_delay_alu instid0(VALU_DEP_3) | instskip(SKIP_1) | instid1(VALU_DEP_4)
	v_fma_f32 v37, v36, v37, v41
	v_fma_f32 v33, v36, v33, v41
	v_cvt_f32_i32_e32 v27, v27
	s_delay_alu instid0(VALU_DEP_4) | instskip(NEXT) | instid1(VALU_DEP_4)
	v_cvt_f32_i32_e32 v25, v25
	v_add_f32_e32 v37, v38, v37
	v_fma_f32 v38, v36, v39, v41
	v_fmac_f32_e32 v41, v36, v35
	s_delay_alu instid0(VALU_DEP_3) | instskip(NEXT) | instid1(VALU_DEP_1)
	v_add_f32_e32 v33, v37, v33
	v_add_f32_e32 v33, v33, v38
	s_delay_alu instid0(VALU_DEP_1) | instskip(NEXT) | instid1(VALU_DEP_1)
	v_dual_mul_f32 v34, 0x3e000000, v34 :: v_dual_add_f32 v33, v33, v41
	v_fma_f32 v30, v29, v30, v34
	v_fma_f32 v28, v29, v28, v34
	;; [unrolled: 1-line block ×3, first 2 shown]
	v_fmac_f32_e32 v34, v29, v31
	v_dot4_i32_iu8 v29, v62, v54, 0 neg_lo:[1,1,0]
	v_dual_add_f32 v30, v33, v30 :: v_dual_mul_f32 v33, v15, v57
	s_delay_alu instid0(VALU_DEP_2) | instskip(NEXT) | instid1(VALU_DEP_2)
	v_cvt_f32_i32_e32 v29, v29
	v_add_f32_e32 v28, v30, v28
	s_delay_alu instid0(VALU_DEP_3) | instskip(NEXT) | instid1(VALU_DEP_2)
	v_mul_f32_e32 v30, 0x3e000000, v33
	v_add_f32_e32 v28, v28, v32
	s_delay_alu instid0(VALU_DEP_1) | instskip(SKIP_1) | instid1(VALU_DEP_1)
	v_add_f32_e32 v28, v28, v34
	v_mul_f32_e32 v26, v14, v26
	v_fma_f32 v27, v26, v27, v30
	s_delay_alu instid0(VALU_DEP_1) | instskip(SKIP_3) | instid1(VALU_DEP_3)
	v_add_f32_e32 v27, v28, v27
	v_fma_f32 v25, v26, v25, v30
	v_dot4_i32_iu8 v28, v66, v55, 0 neg_lo:[1,1,0]
	v_fma_f32 v29, v26, v29, v30
	v_add_f32_e32 v25, v27, v25
	s_delay_alu instid0(VALU_DEP_3) | instskip(NEXT) | instid1(VALU_DEP_1)
	v_cvt_f32_i32_e32 v27, v28
	v_dual_add_f32 v25, v25, v29 :: v_dual_fmac_f32 v30, v26, v27
	s_delay_alu instid0(VALU_DEP_1) | instskip(SKIP_3) | instid1(VALU_DEP_1)
	v_add_f32_e32 v25, v25, v30
	ds_bpermute_b32 v26, v71, v25
	s_wait_dscnt 0x0
	v_add_f32_e32 v25, v25, v26
                                        ; implicit-def: $vgpr26
	v_cmp_ngt_f32_e64 s4, 0x3f200000, |v25|
	s_and_saveexec_b32 s10, s4
	s_wait_alu 0xfffe
	s_xor_b32 s4, exec_lo, s10
	s_cbranch_execz .LBB22_37
; %bb.36:                               ;   in Loop: Header=BB22_17 Depth=1
	v_add_f32_e64 v26, |v25|, |v25|
	s_delay_alu instid0(VALU_DEP_1) | instskip(SKIP_1) | instid1(VALU_DEP_2)
	v_mul_f32_e32 v27, 0x3fb8aa3b, v26
	v_cmp_ngt_f32_e32 vcc_lo, 0xc2ce8ed0, v26
	v_rndne_f32_e32 v28, v27
	v_fma_f32 v29, 0x3fb8aa3b, v26, -v27
	s_delay_alu instid0(VALU_DEP_2) | instskip(NEXT) | instid1(VALU_DEP_2)
	v_sub_f32_e32 v27, v27, v28
	v_fmac_f32_e32 v29, 0x32a5705f, v26
	v_cvt_i32_f32_e32 v28, v28
	s_delay_alu instid0(VALU_DEP_2) | instskip(NEXT) | instid1(VALU_DEP_1)
	v_add_f32_e32 v27, v27, v29
	v_exp_f32_e32 v27, v27
	s_delay_alu instid0(TRANS32_DEP_1) | instskip(SKIP_1) | instid1(VALU_DEP_1)
	v_ldexp_f32 v27, v27, v28
	s_wait_alu 0xfffd
	v_cndmask_b32_e32 v27, 0, v27, vcc_lo
	v_cmp_nlt_f32_e32 vcc_lo, 0x42b17218, v26
	s_wait_alu 0xfffd
	s_delay_alu instid0(VALU_DEP_2) | instskip(NEXT) | instid1(VALU_DEP_1)
	v_cndmask_b32_e32 v26, 0x7f800000, v27, vcc_lo
	v_add_f32_e32 v26, 1.0, v26
	s_delay_alu instid0(VALU_DEP_1) | instskip(NEXT) | instid1(TRANS32_DEP_1)
	v_rcp_f32_e32 v26, v26
	v_fma_f32 v26, v26, -2.0, 1.0
.LBB22_37:                              ;   in Loop: Header=BB22_17 Depth=1
	s_wait_alu 0xfffe
	s_and_not1_saveexec_b32 s4, s4
	s_cbranch_execz .LBB22_39
; %bb.38:                               ;   in Loop: Header=BB22_17 Depth=1
	v_mul_f32_e32 v26, v25, v25
	s_delay_alu instid0(VALU_DEP_1) | instskip(NEXT) | instid1(VALU_DEP_1)
	v_fmaak_f32 v27, s9, v26, 0x3ca908c9
	v_fmaak_f32 v27, v26, v27, 0xbd5c1c4e
	s_delay_alu instid0(VALU_DEP_1) | instskip(NEXT) | instid1(VALU_DEP_1)
	v_fmaak_f32 v27, v26, v27, 0x3e088382
	v_fmaak_f32 v27, v26, v27, 0xbeaaaa99
	s_delay_alu instid0(VALU_DEP_1) | instskip(NEXT) | instid1(VALU_DEP_1)
	v_mul_f32_e64 v27, |v25|, v27
	v_fma_f32 v26, v26, v27, |v25|
.LBB22_39:                              ;   in Loop: Header=BB22_17 Depth=1
	s_wait_alu 0xfffe
	s_or_b32 exec_lo, exec_lo, s4
	s_delay_alu instid0(VALU_DEP_1) | instskip(SKIP_1) | instid1(VALU_DEP_1)
	v_bfi_b32 v25, 0x7fffffff, v26, v25
	s_and_not1_b32 vcc_lo, exec_lo, s8
	v_mul_f32_e32 v25, s31, v25
	s_wait_alu 0xfffe
	s_cbranch_vccnz .LBB22_41
; %bb.40:                               ;   in Loop: Header=BB22_17 Depth=1
	v_add_co_u32 v26, vcc_lo, v85, s33
	s_wait_alu 0xfffd
	v_add_co_ci_u32_e64 v27, null, s5, v86, vcc_lo
	global_load_u16 v26, v[26:27], off
	s_wait_loadcnt 0x0
	v_fma_mix_f32 v25, v219, v26, v25 op_sel_hi:[0,1,0]
.LBB22_41:                              ;   in Loop: Header=BB22_17 Depth=1
	scratch_load_b32 v29, off, off offset:4 ; 4-byte Folded Reload
	v_dual_add_f32 v26, 0x40051340, v23 :: v_dual_add_f32 v27, 0x40051340, v25
	s_add_co_i32 s15, s15, s34
	v_add_f32_e32 v28, 0x40051340, v24
	s_cmp_ge_i32 s15, s29
	s_delay_alu instid0(VALU_DEP_2) | instskip(SKIP_1) | instid1(VALU_DEP_1)
	v_max3_num_f32 v26, v21, v26, v27
	v_add_f32_e32 v27, 0x40051340, v22
	v_max3_num_f32 v27, v20, v27, v28
	s_wait_loadcnt 0x0
	ds_bpermute_b32 v28, v29, v26
	s_wait_dscnt 0x0
	v_max_num_f32_e32 v28, v28, v28
	s_delay_alu instid0(VALU_DEP_1) | instskip(SKIP_4) | instid1(VALU_DEP_1)
	v_max_num_f32_e32 v26, v26, v28
	ds_bpermute_b32 v28, v29, v27
	scratch_load_b32 v29, off, off offset:8 ; 4-byte Folded Reload
	s_wait_dscnt 0x0
	v_max_num_f32_e32 v28, v28, v28
	v_max_num_f32_e32 v27, v27, v28
	s_wait_loadcnt 0x0
	ds_bpermute_b32 v28, v29, v26
	s_wait_dscnt 0x0
	v_max_num_f32_e32 v28, v28, v28
	s_delay_alu instid0(VALU_DEP_1) | instskip(SKIP_4) | instid1(VALU_DEP_1)
	v_max_num_f32_e32 v26, v26, v28
	ds_bpermute_b32 v28, v29, v27
	scratch_load_b32 v29, off, off offset:12 ; 4-byte Folded Reload
	s_wait_dscnt 0x0
	v_max_num_f32_e32 v28, v28, v28
	v_max_num_f32_e32 v27, v27, v28
	;; [unrolled: 11-line block ×3, first 2 shown]
	s_wait_loadcnt 0x0
	ds_bpermute_b32 v28, v29, v26
	ds_bpermute_b32 v29, v29, v27
	s_wait_dscnt 0x0
	v_dual_max_num_f32 v28, v28, v28 :: v_dual_max_num_f32 v29, v29, v29
	s_delay_alu instid0(VALU_DEP_1) | instskip(NEXT) | instid1(VALU_DEP_1)
	v_dual_max_num_f32 v57, v26, v28 :: v_dual_max_num_f32 v56, v27, v29
	v_dual_sub_f32 v21, v21, v57 :: v_dual_sub_f32 v20, v20, v56
	s_delay_alu instid0(VALU_DEP_1) | instskip(SKIP_1) | instid1(VALU_DEP_3)
	v_mul_f32_e32 v26, 0x3fb8aa3b, v21
	v_cmp_ngt_f32_e32 vcc_lo, 0xc2ce8ed0, v21
	v_cmp_ngt_f32_e64 s4, 0xc2ce8ed0, v20
	s_delay_alu instid0(VALU_DEP_3) | instskip(SKIP_1) | instid1(VALU_DEP_1)
	v_fma_f32 v27, 0x3fb8aa3b, v21, -v26
	v_rndne_f32_e32 v28, v26
	v_dual_fmac_f32 v27, 0x32a5705f, v21 :: v_dual_sub_f32 v26, v26, v28
	v_cvt_i32_f32_e32 v28, v28
	s_delay_alu instid0(VALU_DEP_2) | instskip(NEXT) | instid1(VALU_DEP_1)
	v_dual_add_f32 v26, v26, v27 :: v_dual_mul_f32 v27, 0x3fb8aa3b, v20
	v_exp_f32_e32 v26, v26
	s_delay_alu instid0(VALU_DEP_1) | instskip(SKIP_1) | instid1(VALU_DEP_2)
	v_fma_f32 v29, 0x3fb8aa3b, v20, -v27
	v_rndne_f32_e32 v30, v27
	v_fmac_f32_e32 v29, 0x32a5705f, v20
	s_delay_alu instid0(VALU_DEP_2) | instskip(NEXT) | instid1(TRANS32_DEP_1)
	v_sub_f32_e32 v27, v27, v30
	v_ldexp_f32 v26, v26, v28
	v_cvt_i32_f32_e32 v28, v30
	s_wait_alu 0xfffd
	s_delay_alu instid0(VALU_DEP_2) | instskip(SKIP_1) | instid1(VALU_DEP_2)
	v_dual_add_f32 v27, v27, v29 :: v_dual_cndmask_b32 v26, 0, v26
	v_cmp_nlt_f32_e32 vcc_lo, 0x42b17218, v21
	v_exp_f32_e32 v27, v27
	s_wait_alu 0xfffd
	s_delay_alu instid0(VALU_DEP_2) | instskip(NEXT) | instid1(TRANS32_DEP_1)
	v_cndmask_b32_e32 v220, 0x7f800000, v26, vcc_lo
	v_ldexp_f32 v27, v27, v28
	s_wait_alu 0xf1ff
	s_delay_alu instid0(VALU_DEP_1) | instskip(SKIP_2) | instid1(VALU_DEP_1)
	v_cndmask_b32_e64 v21, 0, v27, s4
	v_cmp_nlt_f32_e64 s4, 0x42b17218, v20
	s_wait_alu 0xf1ff
	v_cndmask_b32_e64 v219, 0x7f800000, v21, s4
	v_cvt_f16_f32_e64 v21, v220
	s_delay_alu instid0(VALU_DEP_2) | instskip(NEXT) | instid1(VALU_DEP_2)
	v_cvt_f16_f32_e64 v20, v219
	v_and_b32_e32 v21, 0xffff, v21
	s_delay_alu instid0(VALU_DEP_2) | instskip(NEXT) | instid1(VALU_DEP_2)
	v_and_b32_e32 v20, 0xffff, v20
	v_mul_u32_u24_e32 v21, 0x10001, v21
	s_delay_alu instid0(VALU_DEP_2) | instskip(NEXT) | instid1(VALU_DEP_2)
	v_mul_u32_u24_e32 v20, 0x10001, v20
	v_pk_mul_f16 v225, v18, v21
	v_pk_mul_f16 v224, v19, v21
	s_delay_alu instid0(VALU_DEP_3) | instskip(SKIP_3) | instid1(VALU_DEP_2)
	v_pk_mul_f16 v223, v16, v20
	v_pk_mul_f16 v222, v17, v20
	v_cndmask_b32_e64 v16, v218, v22, s1
	v_cndmask_b32_e64 v17, v25, v23, s1
	;; [unrolled: 1-line block ×3, first 2 shown]
	s_delay_alu instid0(VALU_DEP_1) | instskip(NEXT) | instid1(VALU_DEP_1)
	v_dual_sub_f32 v17, v17, v57 :: v_dual_sub_f32 v16, v16, v56
	v_mul_f32_e32 v18, 0x3fb8aa3b, v17
	v_cmp_ngt_f32_e32 vcc_lo, 0xc2ce8ed0, v17
	s_delay_alu instid0(VALU_DEP_3) | instskip(NEXT) | instid1(VALU_DEP_3)
	v_cmp_ngt_f32_e64 s4, 0xc2ce8ed0, v16
	v_fma_f32 v19, 0x3fb8aa3b, v17, -v18
	v_rndne_f32_e32 v20, v18
	s_delay_alu instid0(VALU_DEP_1) | instskip(SKIP_1) | instid1(VALU_DEP_2)
	v_dual_fmac_f32 v19, 0x32a5705f, v17 :: v_dual_sub_f32 v18, v18, v20
	v_cvt_i32_f32_e32 v20, v20
	v_dual_add_f32 v18, v18, v19 :: v_dual_mul_f32 v19, 0x3fb8aa3b, v16
	s_delay_alu instid0(VALU_DEP_1) | instskip(NEXT) | instid1(VALU_DEP_1)
	v_exp_f32_e32 v18, v18
	v_fma_f32 v21, 0x3fb8aa3b, v16, -v19
	v_rndne_f32_e32 v22, v19
	s_delay_alu instid0(VALU_DEP_1) | instskip(NEXT) | instid1(TRANS32_DEP_1)
	v_sub_f32_e32 v19, v19, v22
	v_ldexp_f32 v18, v18, v20
	s_delay_alu instid0(VALU_DEP_4) | instskip(SKIP_2) | instid1(VALU_DEP_3)
	v_fmac_f32_e32 v21, 0x32a5705f, v16
	v_cvt_i32_f32_e32 v20, v22
	s_wait_alu 0xfffd
	v_cndmask_b32_e32 v18, 0, v18, vcc_lo
	v_cmp_nlt_f32_e32 vcc_lo, 0x42b17218, v17
	v_add_f32_e32 v19, v19, v21
	s_wait_alu 0xfffd
	s_delay_alu instid0(VALU_DEP_3) | instskip(SKIP_3) | instid1(TRANS32_DEP_1)
	v_cndmask_b32_e32 v221, 0x7f800000, v18, vcc_lo
	scratch_load_b32 v18, off, off          ; 4-byte Folded Reload
	v_exp_f32_e32 v19, v19
	v_fma_f32 v69, v69, v220, v221
	v_ldexp_f32 v19, v19, v20
	s_wait_alu 0xf1ff
	s_delay_alu instid0(VALU_DEP_1) | instskip(SKIP_2) | instid1(VALU_DEP_1)
	v_cndmask_b32_e64 v17, 0, v19, s4
	v_cmp_nlt_f32_e64 s4, 0x42b17218, v16
	s_wait_alu 0xf1ff
	v_cndmask_b32_e64 v218, 0x7f800000, v17, s4
	v_cvt_f16_f32_e64 v17, v221
	s_delay_alu instid0(VALU_DEP_2)
	v_cvt_f16_f32_e64 v16, v218
	v_fma_f32 v70, v70, v219, v218
	s_wait_loadcnt 0x0
	ds_store_b16 v18, v16
	ds_store_b16 v18, v17 offset:256
	ds_load_b128 v[20:23], v76
	ds_load_b128 v[16:19], v76 offset:16
	s_wait_dscnt 0x1
	v_lshrrev_b32_e32 v232, 16, v20
	v_lshrrev_b32_e32 v230, 16, v21
	;; [unrolled: 1-line block ×4, first 2 shown]
	v_and_b32_e32 v233, 0xffff, v20
	v_and_b32_e32 v231, 0xffff, v21
	;; [unrolled: 1-line block ×4, first 2 shown]
	ds_load_b128 v[20:23], v76 offset:256
	ds_load_b128 v[24:27], v76 offset:272
	s_wait_dscnt 0x2
	v_lshrrev_b32_e32 v242, 16, v16
	v_lshrrev_b32_e32 v238, 16, v17
	v_and_b32_e32 v244, 0xffff, v16
	v_lshrrev_b32_e32 v234, 16, v18
	v_and_b32_e32 v240, 0xffff, v17
	v_and_b32_e32 v236, 0xffff, v18
	s_wait_dscnt 0x1
	v_lshrrev_b32_e32 v254, 16, v20
	v_lshrrev_b32_e32 v248, 16, v22
	v_and_b32_e32 v64, 0xffff, v20
	v_and_b32_e32 v249, 0xffff, v22
	v_lshrrev_b32_e32 v20, 16, v19
	v_and_b32_e32 v22, 0xffff, v19
	ds_load_b128 v[16:19], v76 offset:32
	ds_load_b128 v[37:40], v76 offset:48
	s_wait_dscnt 0x2
	v_lshrrev_b32_e32 v235, 16, v26
	v_and_b32_e32 v237, 0xffff, v26
	v_lshrrev_b32_e32 v250, 16, v21
	v_lshrrev_b32_e32 v246, 16, v23
	v_and_b32_e32 v252, 0xffff, v21
	v_and_b32_e32 v247, 0xffff, v23
	v_lshrrev_b32_e32 v243, 16, v24
	v_lshrrev_b32_e32 v21, 16, v27
	v_and_b32_e32 v245, 0xffff, v24
	v_and_b32_e32 v23, 0xffff, v27
	v_lshrrev_b32_e32 v239, 16, v25
	v_and_b32_e32 v241, 0xffff, v25
	v_mul_u32_u24_e32 v22, 0x10001, v22
	v_mul_u32_u24_e32 v20, 0x10001, v20
	;; [unrolled: 1-line block ×4, first 2 shown]
	s_wait_dscnt 0x1
	v_lshrrev_b32_e32 v24, 16, v16
	s_wait_dscnt 0x0
	v_lshrrev_b32_e32 v75, 16, v37
	v_and_b32_e32 v26, 0xffff, v37
	v_add_co_u32 v37, vcc_lo, v89, s20
	v_lshrrev_b32_e32 v59, 16, v38
	v_and_b32_e32 v72, 0xffff, v38
	s_wait_alu 0xfffd
	v_add_co_ci_u32_e64 v38, null, 0, v90, vcc_lo
	v_lshrrev_b32_e32 v62, 16, v17
	v_and_b32_e32 v27, 0xffff, v16
	v_lshrrev_b32_e32 v60, 16, v18
	v_lshrrev_b32_e32 v251, 16, v19
	v_and_b32_e32 v73, 0xffff, v17
	v_and_b32_e32 v66, 0xffff, v18
	;; [unrolled: 1-line block ×3, first 2 shown]
	ds_load_b128 v[16:19], v76 offset:288
	ds_load_b128 v[41:44], v76 offset:304
	v_lshrrev_b32_e32 v255, 16, v39
	v_and_b32_e32 v61, 0xffff, v39
	global_load_b32 v39, v[37:38], off
	v_add_co_u32 v37, vcc_lo, v87, s20
	s_wait_alu 0xfffd
	v_add_co_ci_u32_e64 v38, null, 0, v88, vcc_lo
	global_load_u16 v37, v[37:38], off
	s_wait_dscnt 0x1
	v_lshrrev_b32_e32 v35, 16, v16
	v_lshrrev_b32_e32 v31, 16, v18
	v_and_b32_e32 v36, 0xffff, v16
	v_and_b32_e32 v32, 0xffff, v18
	v_lshrrev_b32_e32 v16, 16, v40
	v_and_b32_e32 v18, 0xffff, v40
	s_wait_dscnt 0x0
	v_lshrrev_b32_e32 v25, 16, v41
	v_lshrrev_b32_e32 v65, 16, v42
	v_and_b32_e32 v28, 0xffff, v41
	v_and_b32_e32 v74, 0xffff, v42
	v_lshrrev_b32_e32 v63, 16, v43
	v_and_b32_e32 v58, 0xffff, v43
	v_lshrrev_b32_e32 v33, 16, v17
	v_lshrrev_b32_e32 v29, 16, v19
	v_and_b32_e32 v34, 0xffff, v17
	v_and_b32_e32 v30, 0xffff, v19
	v_lshrrev_b32_e32 v17, 16, v44
	v_and_b32_e32 v19, 0xffff, v44
	v_mul_u32_u24_e32 v33, 0x10001, v33
	v_mul_u32_u24_e32 v34, 0x10001, v34
	;; [unrolled: 1-line block ×9, first 2 shown]
	s_wait_loadcnt 0x1
	v_ashrrev_i32_e32 v38, v217, v39
	s_delay_alu instid0(VALU_DEP_1) | instskip(SKIP_2) | instid1(VALU_DEP_2)
	v_and_b32_e32 v38, 0xf0f0f0f, v38
	s_wait_loadcnt 0x0
	v_mul_u32_u24_e32 v37, 0x10001, v37
	v_lshlrev_b16 v39, 8, v38
	v_and_b32_e32 v40, 0xf00, v38
	v_lshrrev_b32_e32 v38, 16, v38
	s_delay_alu instid0(VALU_DEP_3) | instskip(NEXT) | instid1(VALU_DEP_1)
	v_add_nc_u16 v39, 0xf800, v39
	v_lshrrev_b16 v39, 8, v39
	s_delay_alu instid0(VALU_DEP_1) | instskip(NEXT) | instid1(VALU_DEP_4)
	v_or_b32_e32 v39, v40, v39
	v_lshlrev_b16 v40, 8, v38
	v_and_b32_e32 v38, 0xf00, v38
	s_delay_alu instid0(VALU_DEP_3) | instskip(NEXT) | instid1(VALU_DEP_3)
	v_add_nc_u16 v39, 0xf800, v39
	v_add_nc_u16 v40, 0xf800, v40
	s_delay_alu instid0(VALU_DEP_1) | instskip(NEXT) | instid1(VALU_DEP_1)
	v_lshrrev_b16 v40, 8, v40
	v_or_b32_e32 v38, v38, v40
	s_delay_alu instid0(VALU_DEP_4) | instskip(SKIP_1) | instid1(VALU_DEP_3)
	v_lshrrev_b32_e32 v40, 8, v39
	v_bfe_i32 v39, v39, 0, 8
	v_add_nc_u16 v38, 0xf800, v38
	s_delay_alu instid0(VALU_DEP_3) | instskip(NEXT) | instid1(VALU_DEP_3)
	v_bfe_i32 v40, v40, 0, 8
	v_cvt_f16_i16_e32 v39, v39
	s_delay_alu instid0(VALU_DEP_2) | instskip(NEXT) | instid1(VALU_DEP_1)
	v_cvt_f16_i16_e32 v40, v40
	v_pack_b32_f16 v39, v39, v40
	v_lshrrev_b32_e32 v40, 8, v38
	v_bfe_i32 v38, v38, 0, 8
	s_delay_alu instid0(VALU_DEP_3) | instskip(NEXT) | instid1(VALU_DEP_3)
	v_pk_mul_f16 v39, v39, v37
	v_bfe_i32 v40, v40, 0, 8
	s_delay_alu instid0(VALU_DEP_3) | instskip(NEXT) | instid1(VALU_DEP_2)
	v_cvt_f16_i16_e32 v38, v38
	v_cvt_f16_i16_e32 v40, v40
	s_delay_alu instid0(VALU_DEP_1) | instskip(SKIP_1) | instid1(VALU_DEP_2)
	v_pack_b32_f16 v38, v38, v40
	v_mul_u32_u24_e32 v40, 0x10001, v64
	v_pk_mul_f16 v37, v38, v37
	v_mul_u32_u24_e32 v38, 0x10001, v233
	s_delay_alu instid0(VALU_DEP_1) | instskip(NEXT) | instid1(VALU_DEP_4)
	v_pk_fma_f16 v41, v39, v38, v223
	v_pk_fma_f16 v39, v39, v40, v225
	s_delay_alu instid0(VALU_DEP_4)
	v_pk_fma_f16 v42, v37, v38, v222
	v_pk_fma_f16 v40, v37, v40, v224
	v_add_co_u32 v37, vcc_lo, v213, s20
	s_wait_alu 0xfffd
	v_add_co_ci_u32_e64 v38, null, 0, v214, vcc_lo
	global_load_b32 v43, v[37:38], off
	v_add_co_u32 v37, vcc_lo, v215, s20
	s_wait_alu 0xfffd
	v_add_co_ci_u32_e64 v38, null, 0, v216, vcc_lo
	global_load_u16 v37, v[37:38], off
	s_wait_loadcnt 0x1
	v_ashrrev_i32_e32 v38, v217, v43
	s_delay_alu instid0(VALU_DEP_1) | instskip(SKIP_2) | instid1(VALU_DEP_2)
	v_and_b32_e32 v38, 0xf0f0f0f, v38
	s_wait_loadcnt 0x0
	v_mul_u32_u24_e32 v37, 0x10001, v37
	v_lshlrev_b16 v43, 8, v38
	v_and_b32_e32 v44, 0xf00, v38
	v_lshrrev_b32_e32 v38, 16, v38
	s_delay_alu instid0(VALU_DEP_3) | instskip(NEXT) | instid1(VALU_DEP_1)
	v_add_nc_u16 v43, 0xf800, v43
	v_lshrrev_b16 v43, 8, v43
	s_delay_alu instid0(VALU_DEP_1) | instskip(NEXT) | instid1(VALU_DEP_4)
	v_or_b32_e32 v43, v44, v43
	v_lshlrev_b16 v44, 8, v38
	v_and_b32_e32 v38, 0xf00, v38
	s_delay_alu instid0(VALU_DEP_3) | instskip(NEXT) | instid1(VALU_DEP_3)
	v_add_nc_u16 v43, 0xf800, v43
	v_add_nc_u16 v44, 0xf800, v44
	s_delay_alu instid0(VALU_DEP_1) | instskip(NEXT) | instid1(VALU_DEP_1)
	v_lshrrev_b16 v44, 8, v44
	v_or_b32_e32 v38, v38, v44
	s_delay_alu instid0(VALU_DEP_4) | instskip(SKIP_1) | instid1(VALU_DEP_3)
	v_lshrrev_b32_e32 v44, 8, v43
	v_bfe_i32 v43, v43, 0, 8
	v_add_nc_u16 v38, 0xf800, v38
	s_delay_alu instid0(VALU_DEP_3) | instskip(NEXT) | instid1(VALU_DEP_3)
	v_bfe_i32 v44, v44, 0, 8
	v_cvt_f16_i16_e32 v43, v43
	s_delay_alu instid0(VALU_DEP_2) | instskip(NEXT) | instid1(VALU_DEP_1)
	v_cvt_f16_i16_e32 v44, v44
	v_pack_b32_f16 v43, v43, v44
	v_lshrrev_b32_e32 v44, 8, v38
	v_bfe_i32 v38, v38, 0, 8
	s_delay_alu instid0(VALU_DEP_3) | instskip(NEXT) | instid1(VALU_DEP_3)
	v_pk_mul_f16 v43, v43, v37
	v_bfe_i32 v44, v44, 0, 8
	s_delay_alu instid0(VALU_DEP_3) | instskip(NEXT) | instid1(VALU_DEP_2)
	v_cvt_f16_i16_e32 v38, v38
	v_cvt_f16_i16_e32 v44, v44
	s_delay_alu instid0(VALU_DEP_1) | instskip(SKIP_1) | instid1(VALU_DEP_2)
	v_pack_b32_f16 v38, v38, v44
	v_mul_u32_u24_e32 v44, 0x10001, v254
	v_pk_mul_f16 v37, v38, v37
	v_mul_u32_u24_e32 v38, 0x10001, v232
	s_delay_alu instid0(VALU_DEP_3) | instskip(NEXT) | instid1(VALU_DEP_3)
	v_pk_fma_f16 v39, v43, v44, v39
	v_pk_fma_f16 v40, v37, v44, v40
	s_delay_alu instid0(VALU_DEP_3)
	v_pk_fma_f16 v42, v37, v38, v42
	v_add_co_u32 v37, vcc_lo, v209, s20
	v_pk_fma_f16 v41, v43, v38, v41
	s_wait_alu 0xfffd
	v_add_co_ci_u32_e64 v38, null, 0, v210, vcc_lo
	global_load_b32 v43, v[37:38], off
	v_add_co_u32 v37, vcc_lo, v211, s20
	s_wait_alu 0xfffd
	v_add_co_ci_u32_e64 v38, null, 0, v212, vcc_lo
	global_load_u16 v37, v[37:38], off
	s_wait_loadcnt 0x1
	v_ashrrev_i32_e32 v38, v217, v43
	s_delay_alu instid0(VALU_DEP_1) | instskip(SKIP_2) | instid1(VALU_DEP_2)
	v_and_b32_e32 v38, 0xf0f0f0f, v38
	s_wait_loadcnt 0x0
	v_mul_u32_u24_e32 v37, 0x10001, v37
	v_lshlrev_b16 v43, 8, v38
	v_and_b32_e32 v44, 0xf00, v38
	v_lshrrev_b32_e32 v38, 16, v38
	s_delay_alu instid0(VALU_DEP_3) | instskip(NEXT) | instid1(VALU_DEP_1)
	v_add_nc_u16 v43, 0xf800, v43
	v_lshrrev_b16 v43, 8, v43
	s_delay_alu instid0(VALU_DEP_1) | instskip(NEXT) | instid1(VALU_DEP_4)
	v_or_b32_e32 v43, v44, v43
	v_lshlrev_b16 v44, 8, v38
	v_and_b32_e32 v38, 0xf00, v38
	s_delay_alu instid0(VALU_DEP_3) | instskip(NEXT) | instid1(VALU_DEP_3)
	v_add_nc_u16 v43, 0xf800, v43
	v_add_nc_u16 v44, 0xf800, v44
	s_delay_alu instid0(VALU_DEP_1) | instskip(NEXT) | instid1(VALU_DEP_1)
	v_lshrrev_b16 v44, 8, v44
	v_or_b32_e32 v38, v38, v44
	s_delay_alu instid0(VALU_DEP_4) | instskip(SKIP_1) | instid1(VALU_DEP_3)
	v_lshrrev_b32_e32 v44, 8, v43
	v_bfe_i32 v43, v43, 0, 8
	v_add_nc_u16 v38, 0xf800, v38
	s_delay_alu instid0(VALU_DEP_3) | instskip(NEXT) | instid1(VALU_DEP_3)
	v_bfe_i32 v44, v44, 0, 8
	v_cvt_f16_i16_e32 v43, v43
	s_delay_alu instid0(VALU_DEP_2) | instskip(NEXT) | instid1(VALU_DEP_1)
	v_cvt_f16_i16_e32 v44, v44
	v_pack_b32_f16 v43, v43, v44
	v_lshrrev_b32_e32 v44, 8, v38
	v_bfe_i32 v38, v38, 0, 8
	s_delay_alu instid0(VALU_DEP_3) | instskip(NEXT) | instid1(VALU_DEP_3)
	v_pk_mul_f16 v43, v43, v37
	v_bfe_i32 v44, v44, 0, 8
	s_delay_alu instid0(VALU_DEP_3) | instskip(NEXT) | instid1(VALU_DEP_2)
	v_cvt_f16_i16_e32 v38, v38
	v_cvt_f16_i16_e32 v44, v44
	s_delay_alu instid0(VALU_DEP_1) | instskip(SKIP_1) | instid1(VALU_DEP_2)
	v_pack_b32_f16 v38, v38, v44
	v_mul_u32_u24_e32 v44, 0x10001, v252
	v_pk_mul_f16 v37, v38, v37
	v_mul_u32_u24_e32 v38, 0x10001, v231
	s_delay_alu instid0(VALU_DEP_3) | instskip(NEXT) | instid1(VALU_DEP_3)
	v_pk_fma_f16 v39, v43, v44, v39
	v_pk_fma_f16 v40, v37, v44, v40
	s_delay_alu instid0(VALU_DEP_3)
	v_pk_fma_f16 v42, v37, v38, v42
	v_add_co_u32 v37, vcc_lo, v205, s20
	v_pk_fma_f16 v41, v43, v38, v41
	s_wait_alu 0xfffd
	v_add_co_ci_u32_e64 v38, null, 0, v206, vcc_lo
	global_load_b32 v43, v[37:38], off
	v_add_co_u32 v37, vcc_lo, v207, s20
	s_wait_alu 0xfffd
	v_add_co_ci_u32_e64 v38, null, 0, v208, vcc_lo
	global_load_u16 v37, v[37:38], off
	s_wait_loadcnt 0x1
	v_ashrrev_i32_e32 v38, v217, v43
	s_delay_alu instid0(VALU_DEP_1) | instskip(SKIP_2) | instid1(VALU_DEP_2)
	v_and_b32_e32 v38, 0xf0f0f0f, v38
	s_wait_loadcnt 0x0
	v_mul_u32_u24_e32 v37, 0x10001, v37
	v_lshlrev_b16 v43, 8, v38
	v_and_b32_e32 v44, 0xf00, v38
	v_lshrrev_b32_e32 v38, 16, v38
	s_delay_alu instid0(VALU_DEP_3) | instskip(NEXT) | instid1(VALU_DEP_1)
	v_add_nc_u16 v43, 0xf800, v43
	v_lshrrev_b16 v43, 8, v43
	s_delay_alu instid0(VALU_DEP_1) | instskip(NEXT) | instid1(VALU_DEP_4)
	v_or_b32_e32 v43, v44, v43
	v_lshlrev_b16 v44, 8, v38
	v_and_b32_e32 v38, 0xf00, v38
	s_delay_alu instid0(VALU_DEP_3) | instskip(NEXT) | instid1(VALU_DEP_3)
	v_add_nc_u16 v43, 0xf800, v43
	v_add_nc_u16 v44, 0xf800, v44
	s_delay_alu instid0(VALU_DEP_1) | instskip(NEXT) | instid1(VALU_DEP_1)
	v_lshrrev_b16 v44, 8, v44
	v_or_b32_e32 v38, v38, v44
	s_delay_alu instid0(VALU_DEP_4) | instskip(SKIP_1) | instid1(VALU_DEP_3)
	v_lshrrev_b32_e32 v44, 8, v43
	v_bfe_i32 v43, v43, 0, 8
	v_add_nc_u16 v38, 0xf800, v38
	s_delay_alu instid0(VALU_DEP_3) | instskip(NEXT) | instid1(VALU_DEP_3)
	v_bfe_i32 v44, v44, 0, 8
	v_cvt_f16_i16_e32 v43, v43
	s_delay_alu instid0(VALU_DEP_2) | instskip(NEXT) | instid1(VALU_DEP_1)
	v_cvt_f16_i16_e32 v44, v44
	v_pack_b32_f16 v43, v43, v44
	v_lshrrev_b32_e32 v44, 8, v38
	v_bfe_i32 v38, v38, 0, 8
	s_delay_alu instid0(VALU_DEP_3) | instskip(NEXT) | instid1(VALU_DEP_3)
	v_pk_mul_f16 v43, v43, v37
	v_bfe_i32 v44, v44, 0, 8
	s_delay_alu instid0(VALU_DEP_3) | instskip(NEXT) | instid1(VALU_DEP_2)
	v_cvt_f16_i16_e32 v38, v38
	v_cvt_f16_i16_e32 v44, v44
	s_delay_alu instid0(VALU_DEP_1) | instskip(SKIP_1) | instid1(VALU_DEP_2)
	v_pack_b32_f16 v38, v38, v44
	v_mul_u32_u24_e32 v44, 0x10001, v250
	v_pk_mul_f16 v37, v38, v37
	v_mul_u32_u24_e32 v38, 0x10001, v230
	s_delay_alu instid0(VALU_DEP_3) | instskip(NEXT) | instid1(VALU_DEP_3)
	v_pk_fma_f16 v39, v43, v44, v39
	v_pk_fma_f16 v40, v37, v44, v40
	s_delay_alu instid0(VALU_DEP_3)
	v_pk_fma_f16 v42, v37, v38, v42
	v_add_co_u32 v37, vcc_lo, v201, s20
	v_pk_fma_f16 v41, v43, v38, v41
	s_wait_alu 0xfffd
	v_add_co_ci_u32_e64 v38, null, 0, v202, vcc_lo
	global_load_b32 v43, v[37:38], off
	v_add_co_u32 v37, vcc_lo, v203, s20
	s_wait_alu 0xfffd
	v_add_co_ci_u32_e64 v38, null, 0, v204, vcc_lo
	global_load_u16 v37, v[37:38], off
	s_wait_loadcnt 0x1
	v_ashrrev_i32_e32 v38, v217, v43
	s_delay_alu instid0(VALU_DEP_1) | instskip(SKIP_2) | instid1(VALU_DEP_2)
	v_and_b32_e32 v38, 0xf0f0f0f, v38
	s_wait_loadcnt 0x0
	v_mul_u32_u24_e32 v37, 0x10001, v37
	v_lshlrev_b16 v43, 8, v38
	v_and_b32_e32 v44, 0xf00, v38
	v_lshrrev_b32_e32 v38, 16, v38
	s_delay_alu instid0(VALU_DEP_3) | instskip(NEXT) | instid1(VALU_DEP_1)
	v_add_nc_u16 v43, 0xf800, v43
	v_lshrrev_b16 v43, 8, v43
	s_delay_alu instid0(VALU_DEP_1) | instskip(NEXT) | instid1(VALU_DEP_4)
	v_or_b32_e32 v43, v44, v43
	v_lshlrev_b16 v44, 8, v38
	v_and_b32_e32 v38, 0xf00, v38
	s_delay_alu instid0(VALU_DEP_3) | instskip(NEXT) | instid1(VALU_DEP_3)
	v_add_nc_u16 v43, 0xf800, v43
	v_add_nc_u16 v44, 0xf800, v44
	s_delay_alu instid0(VALU_DEP_1) | instskip(NEXT) | instid1(VALU_DEP_1)
	v_lshrrev_b16 v44, 8, v44
	v_or_b32_e32 v38, v38, v44
	s_delay_alu instid0(VALU_DEP_4) | instskip(SKIP_1) | instid1(VALU_DEP_3)
	v_lshrrev_b32_e32 v44, 8, v43
	v_bfe_i32 v43, v43, 0, 8
	v_add_nc_u16 v38, 0xf800, v38
	s_delay_alu instid0(VALU_DEP_3) | instskip(NEXT) | instid1(VALU_DEP_3)
	v_bfe_i32 v44, v44, 0, 8
	v_cvt_f16_i16_e32 v43, v43
	s_delay_alu instid0(VALU_DEP_2) | instskip(NEXT) | instid1(VALU_DEP_1)
	v_cvt_f16_i16_e32 v44, v44
	v_pack_b32_f16 v43, v43, v44
	v_lshrrev_b32_e32 v44, 8, v38
	v_bfe_i32 v38, v38, 0, 8
	s_delay_alu instid0(VALU_DEP_3) | instskip(NEXT) | instid1(VALU_DEP_3)
	v_pk_mul_f16 v43, v43, v37
	v_bfe_i32 v44, v44, 0, 8
	s_delay_alu instid0(VALU_DEP_3) | instskip(NEXT) | instid1(VALU_DEP_2)
	v_cvt_f16_i16_e32 v38, v38
	v_cvt_f16_i16_e32 v44, v44
	s_delay_alu instid0(VALU_DEP_1) | instskip(SKIP_1) | instid1(VALU_DEP_2)
	v_pack_b32_f16 v38, v38, v44
	v_mul_u32_u24_e32 v44, 0x10001, v249
	v_pk_mul_f16 v37, v38, v37
	v_mul_u32_u24_e32 v38, 0x10001, v229
	s_delay_alu instid0(VALU_DEP_3) | instskip(NEXT) | instid1(VALU_DEP_3)
	v_pk_fma_f16 v39, v43, v44, v39
	v_pk_fma_f16 v40, v37, v44, v40
	s_delay_alu instid0(VALU_DEP_3)
	v_pk_fma_f16 v42, v37, v38, v42
	v_add_co_u32 v37, vcc_lo, v197, s20
	v_pk_fma_f16 v41, v43, v38, v41
	s_wait_alu 0xfffd
	v_add_co_ci_u32_e64 v38, null, 0, v198, vcc_lo
	global_load_b32 v43, v[37:38], off
	v_add_co_u32 v37, vcc_lo, v199, s20
	s_wait_alu 0xfffd
	v_add_co_ci_u32_e64 v38, null, 0, v200, vcc_lo
	global_load_u16 v37, v[37:38], off
	s_wait_loadcnt 0x1
	v_ashrrev_i32_e32 v38, v217, v43
	s_delay_alu instid0(VALU_DEP_1) | instskip(SKIP_2) | instid1(VALU_DEP_2)
	v_and_b32_e32 v38, 0xf0f0f0f, v38
	s_wait_loadcnt 0x0
	v_mul_u32_u24_e32 v37, 0x10001, v37
	v_lshlrev_b16 v43, 8, v38
	v_and_b32_e32 v44, 0xf00, v38
	v_lshrrev_b32_e32 v38, 16, v38
	s_delay_alu instid0(VALU_DEP_3) | instskip(NEXT) | instid1(VALU_DEP_1)
	v_add_nc_u16 v43, 0xf800, v43
	v_lshrrev_b16 v43, 8, v43
	s_delay_alu instid0(VALU_DEP_1) | instskip(NEXT) | instid1(VALU_DEP_4)
	v_or_b32_e32 v43, v44, v43
	v_lshlrev_b16 v44, 8, v38
	v_and_b32_e32 v38, 0xf00, v38
	s_delay_alu instid0(VALU_DEP_3) | instskip(NEXT) | instid1(VALU_DEP_3)
	v_add_nc_u16 v43, 0xf800, v43
	v_add_nc_u16 v44, 0xf800, v44
	s_delay_alu instid0(VALU_DEP_1) | instskip(NEXT) | instid1(VALU_DEP_1)
	v_lshrrev_b16 v44, 8, v44
	v_or_b32_e32 v38, v38, v44
	s_delay_alu instid0(VALU_DEP_4) | instskip(SKIP_1) | instid1(VALU_DEP_3)
	v_lshrrev_b32_e32 v44, 8, v43
	v_bfe_i32 v43, v43, 0, 8
	v_add_nc_u16 v38, 0xf800, v38
	s_delay_alu instid0(VALU_DEP_3) | instskip(NEXT) | instid1(VALU_DEP_3)
	v_bfe_i32 v44, v44, 0, 8
	v_cvt_f16_i16_e32 v43, v43
	s_delay_alu instid0(VALU_DEP_2) | instskip(NEXT) | instid1(VALU_DEP_1)
	v_cvt_f16_i16_e32 v44, v44
	v_pack_b32_f16 v43, v43, v44
	v_lshrrev_b32_e32 v44, 8, v38
	v_bfe_i32 v38, v38, 0, 8
	s_delay_alu instid0(VALU_DEP_3) | instskip(NEXT) | instid1(VALU_DEP_3)
	v_pk_mul_f16 v43, v43, v37
	v_bfe_i32 v44, v44, 0, 8
	s_delay_alu instid0(VALU_DEP_3) | instskip(NEXT) | instid1(VALU_DEP_2)
	v_cvt_f16_i16_e32 v38, v38
	v_cvt_f16_i16_e32 v44, v44
	s_delay_alu instid0(VALU_DEP_1) | instskip(SKIP_1) | instid1(VALU_DEP_2)
	v_pack_b32_f16 v38, v38, v44
	v_mul_u32_u24_e32 v44, 0x10001, v248
	v_pk_mul_f16 v37, v38, v37
	v_mul_u32_u24_e32 v38, 0x10001, v228
	s_delay_alu instid0(VALU_DEP_3) | instskip(NEXT) | instid1(VALU_DEP_3)
	v_pk_fma_f16 v39, v43, v44, v39
	v_pk_fma_f16 v40, v37, v44, v40
	s_delay_alu instid0(VALU_DEP_3)
	v_pk_fma_f16 v42, v37, v38, v42
	v_add_co_u32 v37, vcc_lo, v193, s20
	v_pk_fma_f16 v41, v43, v38, v41
	s_wait_alu 0xfffd
	v_add_co_ci_u32_e64 v38, null, 0, v194, vcc_lo
	global_load_b32 v43, v[37:38], off
	v_add_co_u32 v37, vcc_lo, v195, s20
	s_wait_alu 0xfffd
	v_add_co_ci_u32_e64 v38, null, 0, v196, vcc_lo
	global_load_u16 v37, v[37:38], off
	s_wait_loadcnt 0x1
	v_ashrrev_i32_e32 v38, v217, v43
	s_delay_alu instid0(VALU_DEP_1) | instskip(SKIP_2) | instid1(VALU_DEP_2)
	v_and_b32_e32 v38, 0xf0f0f0f, v38
	s_wait_loadcnt 0x0
	v_mul_u32_u24_e32 v37, 0x10001, v37
	v_lshlrev_b16 v43, 8, v38
	v_and_b32_e32 v44, 0xf00, v38
	v_lshrrev_b32_e32 v38, 16, v38
	s_delay_alu instid0(VALU_DEP_3) | instskip(NEXT) | instid1(VALU_DEP_1)
	v_add_nc_u16 v43, 0xf800, v43
	v_lshrrev_b16 v43, 8, v43
	s_delay_alu instid0(VALU_DEP_1) | instskip(NEXT) | instid1(VALU_DEP_4)
	v_or_b32_e32 v43, v44, v43
	v_lshlrev_b16 v44, 8, v38
	v_and_b32_e32 v38, 0xf00, v38
	s_delay_alu instid0(VALU_DEP_3) | instskip(NEXT) | instid1(VALU_DEP_3)
	v_add_nc_u16 v43, 0xf800, v43
	v_add_nc_u16 v44, 0xf800, v44
	s_delay_alu instid0(VALU_DEP_1) | instskip(NEXT) | instid1(VALU_DEP_1)
	v_lshrrev_b16 v44, 8, v44
	v_or_b32_e32 v38, v38, v44
	s_delay_alu instid0(VALU_DEP_4) | instskip(SKIP_1) | instid1(VALU_DEP_3)
	v_lshrrev_b32_e32 v44, 8, v43
	v_bfe_i32 v43, v43, 0, 8
	v_add_nc_u16 v38, 0xf800, v38
	s_delay_alu instid0(VALU_DEP_3) | instskip(NEXT) | instid1(VALU_DEP_3)
	v_bfe_i32 v44, v44, 0, 8
	v_cvt_f16_i16_e32 v43, v43
	s_delay_alu instid0(VALU_DEP_2) | instskip(NEXT) | instid1(VALU_DEP_1)
	v_cvt_f16_i16_e32 v44, v44
	v_pack_b32_f16 v43, v43, v44
	v_lshrrev_b32_e32 v44, 8, v38
	v_bfe_i32 v38, v38, 0, 8
	s_delay_alu instid0(VALU_DEP_3) | instskip(NEXT) | instid1(VALU_DEP_3)
	v_pk_mul_f16 v43, v43, v37
	v_bfe_i32 v44, v44, 0, 8
	s_delay_alu instid0(VALU_DEP_3) | instskip(NEXT) | instid1(VALU_DEP_2)
	v_cvt_f16_i16_e32 v38, v38
	v_cvt_f16_i16_e32 v44, v44
	s_delay_alu instid0(VALU_DEP_1) | instskip(SKIP_1) | instid1(VALU_DEP_2)
	v_pack_b32_f16 v38, v38, v44
	v_mul_u32_u24_e32 v44, 0x10001, v247
	v_pk_mul_f16 v37, v38, v37
	v_mul_u32_u24_e32 v38, 0x10001, v227
	s_delay_alu instid0(VALU_DEP_3) | instskip(NEXT) | instid1(VALU_DEP_3)
	v_pk_fma_f16 v39, v43, v44, v39
	v_pk_fma_f16 v40, v37, v44, v40
	s_delay_alu instid0(VALU_DEP_3)
	v_pk_fma_f16 v42, v37, v38, v42
	v_add_co_u32 v37, vcc_lo, v189, s20
	v_pk_fma_f16 v41, v43, v38, v41
	s_wait_alu 0xfffd
	v_add_co_ci_u32_e64 v38, null, 0, v190, vcc_lo
	global_load_b32 v43, v[37:38], off
	v_add_co_u32 v37, vcc_lo, v191, s20
	s_wait_alu 0xfffd
	v_add_co_ci_u32_e64 v38, null, 0, v192, vcc_lo
	global_load_u16 v37, v[37:38], off
	s_wait_loadcnt 0x1
	v_ashrrev_i32_e32 v38, v217, v43
	s_delay_alu instid0(VALU_DEP_1) | instskip(SKIP_2) | instid1(VALU_DEP_2)
	v_and_b32_e32 v38, 0xf0f0f0f, v38
	s_wait_loadcnt 0x0
	v_mul_u32_u24_e32 v37, 0x10001, v37
	v_lshlrev_b16 v43, 8, v38
	v_and_b32_e32 v44, 0xf00, v38
	v_lshrrev_b32_e32 v38, 16, v38
	s_delay_alu instid0(VALU_DEP_3) | instskip(NEXT) | instid1(VALU_DEP_1)
	v_add_nc_u16 v43, 0xf800, v43
	v_lshrrev_b16 v43, 8, v43
	s_delay_alu instid0(VALU_DEP_1) | instskip(NEXT) | instid1(VALU_DEP_4)
	v_or_b32_e32 v43, v44, v43
	v_lshlrev_b16 v44, 8, v38
	v_and_b32_e32 v38, 0xf00, v38
	s_delay_alu instid0(VALU_DEP_3) | instskip(NEXT) | instid1(VALU_DEP_3)
	v_add_nc_u16 v43, 0xf800, v43
	v_add_nc_u16 v44, 0xf800, v44
	s_delay_alu instid0(VALU_DEP_1) | instskip(NEXT) | instid1(VALU_DEP_1)
	v_lshrrev_b16 v44, 8, v44
	v_or_b32_e32 v38, v38, v44
	s_delay_alu instid0(VALU_DEP_4) | instskip(SKIP_1) | instid1(VALU_DEP_3)
	v_lshrrev_b32_e32 v44, 8, v43
	v_bfe_i32 v43, v43, 0, 8
	v_add_nc_u16 v38, 0xf800, v38
	s_delay_alu instid0(VALU_DEP_3) | instskip(NEXT) | instid1(VALU_DEP_3)
	v_bfe_i32 v44, v44, 0, 8
	v_cvt_f16_i16_e32 v43, v43
	s_delay_alu instid0(VALU_DEP_2) | instskip(NEXT) | instid1(VALU_DEP_1)
	v_cvt_f16_i16_e32 v44, v44
	v_pack_b32_f16 v43, v43, v44
	v_lshrrev_b32_e32 v44, 8, v38
	v_bfe_i32 v38, v38, 0, 8
	s_delay_alu instid0(VALU_DEP_3) | instskip(NEXT) | instid1(VALU_DEP_3)
	v_pk_mul_f16 v43, v43, v37
	v_bfe_i32 v44, v44, 0, 8
	s_delay_alu instid0(VALU_DEP_3) | instskip(NEXT) | instid1(VALU_DEP_2)
	v_cvt_f16_i16_e32 v38, v38
	v_cvt_f16_i16_e32 v44, v44
	s_delay_alu instid0(VALU_DEP_1) | instskip(SKIP_1) | instid1(VALU_DEP_2)
	v_pack_b32_f16 v38, v38, v44
	v_mul_u32_u24_e32 v44, 0x10001, v246
	v_pk_mul_f16 v37, v38, v37
	v_mul_u32_u24_e32 v38, 0x10001, v226
	s_delay_alu instid0(VALU_DEP_3) | instskip(NEXT) | instid1(VALU_DEP_3)
	v_pk_fma_f16 v39, v43, v44, v39
	v_pk_fma_f16 v40, v37, v44, v40
	s_delay_alu instid0(VALU_DEP_3)
	v_pk_fma_f16 v42, v37, v38, v42
	v_add_co_u32 v37, vcc_lo, v185, s20
	v_pk_fma_f16 v41, v43, v38, v41
	s_wait_alu 0xfffd
	v_add_co_ci_u32_e64 v38, null, 0, v186, vcc_lo
	global_load_b32 v43, v[37:38], off
	v_add_co_u32 v37, vcc_lo, v187, s20
	s_wait_alu 0xfffd
	v_add_co_ci_u32_e64 v38, null, 0, v188, vcc_lo
	global_load_u16 v37, v[37:38], off
	s_wait_loadcnt 0x1
	v_ashrrev_i32_e32 v38, v217, v43
	s_delay_alu instid0(VALU_DEP_1) | instskip(SKIP_2) | instid1(VALU_DEP_2)
	v_and_b32_e32 v38, 0xf0f0f0f, v38
	s_wait_loadcnt 0x0
	v_mul_u32_u24_e32 v37, 0x10001, v37
	v_lshlrev_b16 v43, 8, v38
	v_and_b32_e32 v44, 0xf00, v38
	v_lshrrev_b32_e32 v38, 16, v38
	s_delay_alu instid0(VALU_DEP_3) | instskip(NEXT) | instid1(VALU_DEP_1)
	v_add_nc_u16 v43, 0xf800, v43
	v_lshrrev_b16 v43, 8, v43
	s_delay_alu instid0(VALU_DEP_1) | instskip(NEXT) | instid1(VALU_DEP_4)
	v_or_b32_e32 v43, v44, v43
	v_lshlrev_b16 v44, 8, v38
	v_and_b32_e32 v38, 0xf00, v38
	s_delay_alu instid0(VALU_DEP_3) | instskip(NEXT) | instid1(VALU_DEP_3)
	v_add_nc_u16 v43, 0xf800, v43
	v_add_nc_u16 v44, 0xf800, v44
	s_delay_alu instid0(VALU_DEP_1) | instskip(NEXT) | instid1(VALU_DEP_1)
	v_lshrrev_b16 v44, 8, v44
	v_or_b32_e32 v38, v38, v44
	s_delay_alu instid0(VALU_DEP_4) | instskip(SKIP_1) | instid1(VALU_DEP_3)
	v_lshrrev_b32_e32 v44, 8, v43
	v_bfe_i32 v43, v43, 0, 8
	v_add_nc_u16 v38, 0xf800, v38
	s_delay_alu instid0(VALU_DEP_3) | instskip(NEXT) | instid1(VALU_DEP_3)
	v_bfe_i32 v44, v44, 0, 8
	v_cvt_f16_i16_e32 v43, v43
	s_delay_alu instid0(VALU_DEP_2) | instskip(NEXT) | instid1(VALU_DEP_1)
	v_cvt_f16_i16_e32 v44, v44
	v_pack_b32_f16 v43, v43, v44
	v_lshrrev_b32_e32 v44, 8, v38
	v_bfe_i32 v38, v38, 0, 8
	s_delay_alu instid0(VALU_DEP_3) | instskip(NEXT) | instid1(VALU_DEP_3)
	v_pk_mul_f16 v43, v43, v37
	v_bfe_i32 v44, v44, 0, 8
	s_delay_alu instid0(VALU_DEP_3) | instskip(NEXT) | instid1(VALU_DEP_2)
	v_cvt_f16_i16_e32 v38, v38
	v_cvt_f16_i16_e32 v44, v44
	s_delay_alu instid0(VALU_DEP_1) | instskip(SKIP_1) | instid1(VALU_DEP_2)
	v_pack_b32_f16 v38, v38, v44
	v_mul_u32_u24_e32 v44, 0x10001, v245
	v_pk_mul_f16 v37, v38, v37
	v_mul_u32_u24_e32 v38, 0x10001, v244
	s_delay_alu instid0(VALU_DEP_3) | instskip(NEXT) | instid1(VALU_DEP_3)
	v_pk_fma_f16 v39, v43, v44, v39
	v_pk_fma_f16 v40, v37, v44, v40
	s_delay_alu instid0(VALU_DEP_3)
	v_pk_fma_f16 v42, v37, v38, v42
	v_add_co_u32 v37, vcc_lo, v181, s20
	v_pk_fma_f16 v41, v43, v38, v41
	s_wait_alu 0xfffd
	v_add_co_ci_u32_e64 v38, null, 0, v182, vcc_lo
	global_load_b32 v43, v[37:38], off
	v_add_co_u32 v37, vcc_lo, v183, s20
	s_wait_alu 0xfffd
	v_add_co_ci_u32_e64 v38, null, 0, v184, vcc_lo
	global_load_u16 v37, v[37:38], off
	s_wait_loadcnt 0x1
	v_ashrrev_i32_e32 v38, v217, v43
	s_delay_alu instid0(VALU_DEP_1) | instskip(SKIP_2) | instid1(VALU_DEP_2)
	v_and_b32_e32 v38, 0xf0f0f0f, v38
	s_wait_loadcnt 0x0
	v_mul_u32_u24_e32 v37, 0x10001, v37
	v_lshlrev_b16 v43, 8, v38
	v_and_b32_e32 v44, 0xf00, v38
	v_lshrrev_b32_e32 v38, 16, v38
	s_delay_alu instid0(VALU_DEP_3) | instskip(NEXT) | instid1(VALU_DEP_1)
	v_add_nc_u16 v43, 0xf800, v43
	v_lshrrev_b16 v43, 8, v43
	s_delay_alu instid0(VALU_DEP_1) | instskip(NEXT) | instid1(VALU_DEP_4)
	v_or_b32_e32 v43, v44, v43
	v_lshlrev_b16 v44, 8, v38
	v_and_b32_e32 v38, 0xf00, v38
	s_delay_alu instid0(VALU_DEP_3) | instskip(NEXT) | instid1(VALU_DEP_3)
	v_add_nc_u16 v43, 0xf800, v43
	v_add_nc_u16 v44, 0xf800, v44
	s_delay_alu instid0(VALU_DEP_1) | instskip(NEXT) | instid1(VALU_DEP_1)
	v_lshrrev_b16 v44, 8, v44
	v_or_b32_e32 v38, v38, v44
	s_delay_alu instid0(VALU_DEP_4) | instskip(SKIP_1) | instid1(VALU_DEP_3)
	v_lshrrev_b32_e32 v44, 8, v43
	v_bfe_i32 v43, v43, 0, 8
	v_add_nc_u16 v38, 0xf800, v38
	s_delay_alu instid0(VALU_DEP_3) | instskip(NEXT) | instid1(VALU_DEP_3)
	v_bfe_i32 v44, v44, 0, 8
	v_cvt_f16_i16_e32 v43, v43
	s_delay_alu instid0(VALU_DEP_2) | instskip(NEXT) | instid1(VALU_DEP_1)
	v_cvt_f16_i16_e32 v44, v44
	v_pack_b32_f16 v43, v43, v44
	v_lshrrev_b32_e32 v44, 8, v38
	v_bfe_i32 v38, v38, 0, 8
	s_delay_alu instid0(VALU_DEP_3) | instskip(NEXT) | instid1(VALU_DEP_3)
	v_pk_mul_f16 v43, v43, v37
	v_bfe_i32 v44, v44, 0, 8
	s_delay_alu instid0(VALU_DEP_3) | instskip(NEXT) | instid1(VALU_DEP_2)
	v_cvt_f16_i16_e32 v38, v38
	v_cvt_f16_i16_e32 v44, v44
	s_delay_alu instid0(VALU_DEP_1) | instskip(SKIP_1) | instid1(VALU_DEP_2)
	v_pack_b32_f16 v38, v38, v44
	v_mul_u32_u24_e32 v44, 0x10001, v243
	v_pk_mul_f16 v37, v38, v37
	v_mul_u32_u24_e32 v38, 0x10001, v242
	s_delay_alu instid0(VALU_DEP_3) | instskip(NEXT) | instid1(VALU_DEP_3)
	v_pk_fma_f16 v39, v43, v44, v39
	v_pk_fma_f16 v40, v37, v44, v40
	s_delay_alu instid0(VALU_DEP_3)
	v_pk_fma_f16 v42, v37, v38, v42
	v_add_co_u32 v37, vcc_lo, v177, s20
	v_pk_fma_f16 v41, v43, v38, v41
	s_wait_alu 0xfffd
	v_add_co_ci_u32_e64 v38, null, 0, v178, vcc_lo
	global_load_b32 v43, v[37:38], off
	v_add_co_u32 v37, vcc_lo, v179, s20
	s_wait_alu 0xfffd
	v_add_co_ci_u32_e64 v38, null, 0, v180, vcc_lo
	global_load_u16 v37, v[37:38], off
	s_wait_loadcnt 0x1
	v_ashrrev_i32_e32 v38, v217, v43
	s_delay_alu instid0(VALU_DEP_1) | instskip(SKIP_2) | instid1(VALU_DEP_2)
	v_and_b32_e32 v38, 0xf0f0f0f, v38
	s_wait_loadcnt 0x0
	v_mul_u32_u24_e32 v37, 0x10001, v37
	v_lshlrev_b16 v43, 8, v38
	v_and_b32_e32 v44, 0xf00, v38
	v_lshrrev_b32_e32 v38, 16, v38
	s_delay_alu instid0(VALU_DEP_3) | instskip(NEXT) | instid1(VALU_DEP_1)
	v_add_nc_u16 v43, 0xf800, v43
	v_lshrrev_b16 v43, 8, v43
	s_delay_alu instid0(VALU_DEP_1) | instskip(NEXT) | instid1(VALU_DEP_4)
	v_or_b32_e32 v43, v44, v43
	v_lshlrev_b16 v44, 8, v38
	v_and_b32_e32 v38, 0xf00, v38
	s_delay_alu instid0(VALU_DEP_3) | instskip(NEXT) | instid1(VALU_DEP_3)
	v_add_nc_u16 v43, 0xf800, v43
	v_add_nc_u16 v44, 0xf800, v44
	s_delay_alu instid0(VALU_DEP_1) | instskip(NEXT) | instid1(VALU_DEP_1)
	v_lshrrev_b16 v44, 8, v44
	v_or_b32_e32 v38, v38, v44
	s_delay_alu instid0(VALU_DEP_4) | instskip(SKIP_1) | instid1(VALU_DEP_3)
	v_lshrrev_b32_e32 v44, 8, v43
	v_bfe_i32 v43, v43, 0, 8
	v_add_nc_u16 v38, 0xf800, v38
	s_delay_alu instid0(VALU_DEP_3) | instskip(NEXT) | instid1(VALU_DEP_3)
	v_bfe_i32 v44, v44, 0, 8
	v_cvt_f16_i16_e32 v43, v43
	s_delay_alu instid0(VALU_DEP_2) | instskip(NEXT) | instid1(VALU_DEP_1)
	v_cvt_f16_i16_e32 v44, v44
	v_pack_b32_f16 v43, v43, v44
	v_lshrrev_b32_e32 v44, 8, v38
	v_bfe_i32 v38, v38, 0, 8
	s_delay_alu instid0(VALU_DEP_3) | instskip(NEXT) | instid1(VALU_DEP_3)
	v_pk_mul_f16 v43, v43, v37
	v_bfe_i32 v44, v44, 0, 8
	s_delay_alu instid0(VALU_DEP_3) | instskip(NEXT) | instid1(VALU_DEP_2)
	v_cvt_f16_i16_e32 v38, v38
	v_cvt_f16_i16_e32 v44, v44
	s_delay_alu instid0(VALU_DEP_1) | instskip(SKIP_1) | instid1(VALU_DEP_2)
	v_pack_b32_f16 v38, v38, v44
	v_mul_u32_u24_e32 v44, 0x10001, v241
	v_pk_mul_f16 v37, v38, v37
	v_mul_u32_u24_e32 v38, 0x10001, v240
	s_delay_alu instid0(VALU_DEP_3) | instskip(NEXT) | instid1(VALU_DEP_3)
	v_pk_fma_f16 v39, v43, v44, v39
	v_pk_fma_f16 v40, v37, v44, v40
	s_delay_alu instid0(VALU_DEP_3)
	v_pk_fma_f16 v42, v37, v38, v42
	v_add_co_u32 v37, vcc_lo, v173, s20
	v_pk_fma_f16 v41, v43, v38, v41
	s_wait_alu 0xfffd
	v_add_co_ci_u32_e64 v38, null, 0, v174, vcc_lo
	global_load_b32 v43, v[37:38], off
	v_add_co_u32 v37, vcc_lo, v175, s20
	s_wait_alu 0xfffd
	v_add_co_ci_u32_e64 v38, null, 0, v176, vcc_lo
	global_load_u16 v37, v[37:38], off
	s_wait_loadcnt 0x1
	v_ashrrev_i32_e32 v38, v217, v43
	s_delay_alu instid0(VALU_DEP_1) | instskip(SKIP_2) | instid1(VALU_DEP_2)
	v_and_b32_e32 v38, 0xf0f0f0f, v38
	s_wait_loadcnt 0x0
	v_mul_u32_u24_e32 v37, 0x10001, v37
	v_lshlrev_b16 v43, 8, v38
	v_and_b32_e32 v44, 0xf00, v38
	v_lshrrev_b32_e32 v38, 16, v38
	s_delay_alu instid0(VALU_DEP_3) | instskip(NEXT) | instid1(VALU_DEP_1)
	v_add_nc_u16 v43, 0xf800, v43
	v_lshrrev_b16 v43, 8, v43
	s_delay_alu instid0(VALU_DEP_1) | instskip(NEXT) | instid1(VALU_DEP_4)
	v_or_b32_e32 v43, v44, v43
	v_lshlrev_b16 v44, 8, v38
	v_and_b32_e32 v38, 0xf00, v38
	s_delay_alu instid0(VALU_DEP_3) | instskip(NEXT) | instid1(VALU_DEP_3)
	v_add_nc_u16 v43, 0xf800, v43
	v_add_nc_u16 v44, 0xf800, v44
	s_delay_alu instid0(VALU_DEP_1) | instskip(NEXT) | instid1(VALU_DEP_1)
	v_lshrrev_b16 v44, 8, v44
	v_or_b32_e32 v38, v38, v44
	s_delay_alu instid0(VALU_DEP_4) | instskip(SKIP_1) | instid1(VALU_DEP_3)
	v_lshrrev_b32_e32 v44, 8, v43
	v_bfe_i32 v43, v43, 0, 8
	v_add_nc_u16 v38, 0xf800, v38
	s_delay_alu instid0(VALU_DEP_3) | instskip(NEXT) | instid1(VALU_DEP_3)
	v_bfe_i32 v44, v44, 0, 8
	v_cvt_f16_i16_e32 v43, v43
	s_delay_alu instid0(VALU_DEP_2) | instskip(NEXT) | instid1(VALU_DEP_1)
	v_cvt_f16_i16_e32 v44, v44
	v_pack_b32_f16 v43, v43, v44
	v_lshrrev_b32_e32 v44, 8, v38
	v_bfe_i32 v38, v38, 0, 8
	s_delay_alu instid0(VALU_DEP_3) | instskip(NEXT) | instid1(VALU_DEP_3)
	v_pk_mul_f16 v43, v43, v37
	v_bfe_i32 v44, v44, 0, 8
	s_delay_alu instid0(VALU_DEP_3) | instskip(NEXT) | instid1(VALU_DEP_2)
	v_cvt_f16_i16_e32 v38, v38
	v_cvt_f16_i16_e32 v44, v44
	s_delay_alu instid0(VALU_DEP_1) | instskip(SKIP_1) | instid1(VALU_DEP_2)
	v_pack_b32_f16 v38, v38, v44
	v_mul_u32_u24_e32 v44, 0x10001, v239
	v_pk_mul_f16 v37, v38, v37
	v_mul_u32_u24_e32 v38, 0x10001, v238
	s_delay_alu instid0(VALU_DEP_3) | instskip(NEXT) | instid1(VALU_DEP_3)
	v_pk_fma_f16 v39, v43, v44, v39
	v_pk_fma_f16 v40, v37, v44, v40
	s_delay_alu instid0(VALU_DEP_3)
	v_pk_fma_f16 v42, v37, v38, v42
	v_add_co_u32 v37, vcc_lo, v169, s20
	v_pk_fma_f16 v41, v43, v38, v41
	s_wait_alu 0xfffd
	v_add_co_ci_u32_e64 v38, null, 0, v170, vcc_lo
	global_load_b32 v43, v[37:38], off
	v_add_co_u32 v37, vcc_lo, v171, s20
	s_wait_alu 0xfffd
	v_add_co_ci_u32_e64 v38, null, 0, v172, vcc_lo
	global_load_u16 v37, v[37:38], off
	s_wait_loadcnt 0x1
	v_ashrrev_i32_e32 v38, v217, v43
	s_delay_alu instid0(VALU_DEP_1) | instskip(SKIP_2) | instid1(VALU_DEP_2)
	v_and_b32_e32 v38, 0xf0f0f0f, v38
	s_wait_loadcnt 0x0
	v_mul_u32_u24_e32 v37, 0x10001, v37
	v_lshlrev_b16 v43, 8, v38
	v_and_b32_e32 v44, 0xf00, v38
	v_lshrrev_b32_e32 v38, 16, v38
	s_delay_alu instid0(VALU_DEP_3) | instskip(NEXT) | instid1(VALU_DEP_1)
	v_add_nc_u16 v43, 0xf800, v43
	v_lshrrev_b16 v43, 8, v43
	s_delay_alu instid0(VALU_DEP_1) | instskip(NEXT) | instid1(VALU_DEP_4)
	v_or_b32_e32 v43, v44, v43
	v_lshlrev_b16 v44, 8, v38
	v_and_b32_e32 v38, 0xf00, v38
	s_delay_alu instid0(VALU_DEP_3) | instskip(NEXT) | instid1(VALU_DEP_3)
	v_add_nc_u16 v43, 0xf800, v43
	v_add_nc_u16 v44, 0xf800, v44
	s_delay_alu instid0(VALU_DEP_1) | instskip(NEXT) | instid1(VALU_DEP_1)
	v_lshrrev_b16 v44, 8, v44
	v_or_b32_e32 v38, v38, v44
	s_delay_alu instid0(VALU_DEP_4) | instskip(SKIP_1) | instid1(VALU_DEP_3)
	v_lshrrev_b32_e32 v44, 8, v43
	v_bfe_i32 v43, v43, 0, 8
	v_add_nc_u16 v38, 0xf800, v38
	s_delay_alu instid0(VALU_DEP_3) | instskip(NEXT) | instid1(VALU_DEP_3)
	v_bfe_i32 v44, v44, 0, 8
	v_cvt_f16_i16_e32 v43, v43
	s_delay_alu instid0(VALU_DEP_2) | instskip(NEXT) | instid1(VALU_DEP_1)
	v_cvt_f16_i16_e32 v44, v44
	v_pack_b32_f16 v43, v43, v44
	v_lshrrev_b32_e32 v44, 8, v38
	v_bfe_i32 v38, v38, 0, 8
	s_delay_alu instid0(VALU_DEP_3) | instskip(NEXT) | instid1(VALU_DEP_3)
	v_pk_mul_f16 v43, v43, v37
	v_bfe_i32 v44, v44, 0, 8
	s_delay_alu instid0(VALU_DEP_3) | instskip(NEXT) | instid1(VALU_DEP_2)
	v_cvt_f16_i16_e32 v38, v38
	v_cvt_f16_i16_e32 v44, v44
	s_delay_alu instid0(VALU_DEP_1) | instskip(SKIP_1) | instid1(VALU_DEP_2)
	v_pack_b32_f16 v38, v38, v44
	v_mul_u32_u24_e32 v44, 0x10001, v237
	v_pk_mul_f16 v37, v38, v37
	v_mul_u32_u24_e32 v38, 0x10001, v236
	s_delay_alu instid0(VALU_DEP_3) | instskip(NEXT) | instid1(VALU_DEP_3)
	v_pk_fma_f16 v39, v43, v44, v39
	v_pk_fma_f16 v40, v37, v44, v40
	s_delay_alu instid0(VALU_DEP_3)
	v_pk_fma_f16 v42, v37, v38, v42
	v_add_co_u32 v37, vcc_lo, v165, s20
	v_pk_fma_f16 v41, v43, v38, v41
	s_wait_alu 0xfffd
	v_add_co_ci_u32_e64 v38, null, 0, v166, vcc_lo
	global_load_b32 v43, v[37:38], off
	v_add_co_u32 v37, vcc_lo, v167, s20
	s_wait_alu 0xfffd
	v_add_co_ci_u32_e64 v38, null, 0, v168, vcc_lo
	global_load_u16 v37, v[37:38], off
	s_wait_loadcnt 0x1
	v_ashrrev_i32_e32 v38, v217, v43
	s_delay_alu instid0(VALU_DEP_1) | instskip(SKIP_2) | instid1(VALU_DEP_2)
	v_and_b32_e32 v38, 0xf0f0f0f, v38
	s_wait_loadcnt 0x0
	v_mul_u32_u24_e32 v37, 0x10001, v37
	v_lshlrev_b16 v43, 8, v38
	v_and_b32_e32 v44, 0xf00, v38
	v_lshrrev_b32_e32 v38, 16, v38
	s_delay_alu instid0(VALU_DEP_3) | instskip(NEXT) | instid1(VALU_DEP_1)
	v_add_nc_u16 v43, 0xf800, v43
	v_lshrrev_b16 v43, 8, v43
	s_delay_alu instid0(VALU_DEP_1) | instskip(NEXT) | instid1(VALU_DEP_4)
	v_or_b32_e32 v43, v44, v43
	v_lshlrev_b16 v44, 8, v38
	v_and_b32_e32 v38, 0xf00, v38
	s_delay_alu instid0(VALU_DEP_3) | instskip(NEXT) | instid1(VALU_DEP_3)
	v_add_nc_u16 v43, 0xf800, v43
	v_add_nc_u16 v44, 0xf800, v44
	s_delay_alu instid0(VALU_DEP_1) | instskip(NEXT) | instid1(VALU_DEP_1)
	v_lshrrev_b16 v44, 8, v44
	v_or_b32_e32 v38, v38, v44
	s_delay_alu instid0(VALU_DEP_4) | instskip(SKIP_1) | instid1(VALU_DEP_3)
	v_lshrrev_b32_e32 v44, 8, v43
	v_bfe_i32 v43, v43, 0, 8
	v_add_nc_u16 v38, 0xf800, v38
	s_delay_alu instid0(VALU_DEP_3) | instskip(NEXT) | instid1(VALU_DEP_3)
	v_bfe_i32 v44, v44, 0, 8
	v_cvt_f16_i16_e32 v43, v43
	s_delay_alu instid0(VALU_DEP_2) | instskip(NEXT) | instid1(VALU_DEP_1)
	v_cvt_f16_i16_e32 v44, v44
	v_pack_b32_f16 v43, v43, v44
	v_lshrrev_b32_e32 v44, 8, v38
	v_bfe_i32 v38, v38, 0, 8
	s_delay_alu instid0(VALU_DEP_3) | instskip(NEXT) | instid1(VALU_DEP_3)
	v_pk_mul_f16 v43, v43, v37
	v_bfe_i32 v44, v44, 0, 8
	s_delay_alu instid0(VALU_DEP_3) | instskip(NEXT) | instid1(VALU_DEP_2)
	v_cvt_f16_i16_e32 v38, v38
	v_cvt_f16_i16_e32 v44, v44
	s_delay_alu instid0(VALU_DEP_1) | instskip(SKIP_1) | instid1(VALU_DEP_2)
	v_pack_b32_f16 v38, v38, v44
	v_mul_u32_u24_e32 v44, 0x10001, v235
	v_pk_mul_f16 v37, v38, v37
	v_mul_u32_u24_e32 v38, 0x10001, v234
	s_delay_alu instid0(VALU_DEP_3) | instskip(NEXT) | instid1(VALU_DEP_3)
	v_pk_fma_f16 v39, v43, v44, v39
	v_pk_fma_f16 v40, v37, v44, v40
	s_delay_alu instid0(VALU_DEP_3)
	v_pk_fma_f16 v42, v37, v38, v42
	v_add_co_u32 v37, vcc_lo, v161, s20
	v_pk_fma_f16 v41, v43, v38, v41
	s_wait_alu 0xfffd
	v_add_co_ci_u32_e64 v38, null, 0, v162, vcc_lo
	global_load_b32 v43, v[37:38], off
	v_add_co_u32 v37, vcc_lo, v163, s20
	s_wait_alu 0xfffd
	v_add_co_ci_u32_e64 v38, null, 0, v164, vcc_lo
	global_load_u16 v37, v[37:38], off
	s_wait_loadcnt 0x1
	v_ashrrev_i32_e32 v38, v217, v43
	s_delay_alu instid0(VALU_DEP_1) | instskip(SKIP_2) | instid1(VALU_DEP_2)
	v_and_b32_e32 v38, 0xf0f0f0f, v38
	s_wait_loadcnt 0x0
	v_mul_u32_u24_e32 v37, 0x10001, v37
	v_lshlrev_b16 v43, 8, v38
	v_and_b32_e32 v44, 0xf00, v38
	v_lshrrev_b32_e32 v38, 16, v38
	s_delay_alu instid0(VALU_DEP_3) | instskip(NEXT) | instid1(VALU_DEP_1)
	v_add_nc_u16 v43, 0xf800, v43
	v_lshrrev_b16 v43, 8, v43
	s_delay_alu instid0(VALU_DEP_1) | instskip(NEXT) | instid1(VALU_DEP_4)
	v_or_b32_e32 v43, v44, v43
	v_lshlrev_b16 v44, 8, v38
	v_and_b32_e32 v38, 0xf00, v38
	s_delay_alu instid0(VALU_DEP_3) | instskip(NEXT) | instid1(VALU_DEP_3)
	v_add_nc_u16 v43, 0xf800, v43
	v_add_nc_u16 v44, 0xf800, v44
	s_delay_alu instid0(VALU_DEP_1) | instskip(NEXT) | instid1(VALU_DEP_1)
	v_lshrrev_b16 v44, 8, v44
	v_or_b32_e32 v38, v38, v44
	s_delay_alu instid0(VALU_DEP_4) | instskip(SKIP_1) | instid1(VALU_DEP_3)
	v_lshrrev_b32_e32 v44, 8, v43
	v_bfe_i32 v43, v43, 0, 8
	v_add_nc_u16 v38, 0xf800, v38
	s_delay_alu instid0(VALU_DEP_3) | instskip(NEXT) | instid1(VALU_DEP_3)
	v_bfe_i32 v44, v44, 0, 8
	v_cvt_f16_i16_e32 v43, v43
	s_delay_alu instid0(VALU_DEP_2) | instskip(NEXT) | instid1(VALU_DEP_1)
	v_cvt_f16_i16_e32 v44, v44
	v_pack_b32_f16 v43, v43, v44
	v_lshrrev_b32_e32 v44, 8, v38
	v_bfe_i32 v38, v38, 0, 8
	s_delay_alu instid0(VALU_DEP_3) | instskip(NEXT) | instid1(VALU_DEP_3)
	v_pk_mul_f16 v43, v43, v37
	v_bfe_i32 v44, v44, 0, 8
	s_delay_alu instid0(VALU_DEP_3) | instskip(NEXT) | instid1(VALU_DEP_3)
	v_cvt_f16_i16_e32 v38, v38
	v_pk_fma_f16 v39, v43, v23, v39
	s_delay_alu instid0(VALU_DEP_3) | instskip(NEXT) | instid1(VALU_DEP_1)
	v_cvt_f16_i16_e32 v44, v44
	v_pack_b32_f16 v38, v38, v44
	s_delay_alu instid0(VALU_DEP_1) | instskip(SKIP_1) | instid1(VALU_DEP_2)
	v_pk_mul_f16 v37, v38, v37
	v_pk_fma_f16 v38, v43, v22, v41
	v_pk_fma_f16 v41, v37, v22, v42
	v_add_co_u32 v22, vcc_lo, v157, s20
	v_pk_fma_f16 v37, v37, v23, v40
	s_wait_alu 0xfffd
	v_add_co_ci_u32_e64 v23, null, 0, v158, vcc_lo
	global_load_b32 v40, v[22:23], off
	v_add_co_u32 v22, vcc_lo, v159, s20
	s_wait_alu 0xfffd
	v_add_co_ci_u32_e64 v23, null, 0, v160, vcc_lo
	global_load_u16 v22, v[22:23], off
	s_wait_loadcnt 0x1
	v_ashrrev_i32_e32 v23, v217, v40
	s_delay_alu instid0(VALU_DEP_1) | instskip(SKIP_2) | instid1(VALU_DEP_2)
	v_and_b32_e32 v23, 0xf0f0f0f, v23
	s_wait_loadcnt 0x0
	v_mul_u32_u24_e32 v22, 0x10001, v22
	v_lshlrev_b16 v40, 8, v23
	v_and_b32_e32 v42, 0xf00, v23
	v_lshrrev_b32_e32 v23, 16, v23
	s_delay_alu instid0(VALU_DEP_3) | instskip(NEXT) | instid1(VALU_DEP_1)
	v_add_nc_u16 v40, 0xf800, v40
	v_lshrrev_b16 v40, 8, v40
	s_delay_alu instid0(VALU_DEP_1) | instskip(NEXT) | instid1(VALU_DEP_4)
	v_or_b32_e32 v40, v42, v40
	v_lshlrev_b16 v42, 8, v23
	v_and_b32_e32 v23, 0xf00, v23
	s_delay_alu instid0(VALU_DEP_3) | instskip(NEXT) | instid1(VALU_DEP_3)
	v_add_nc_u16 v40, 0xf800, v40
	v_add_nc_u16 v42, 0xf800, v42
	s_delay_alu instid0(VALU_DEP_1) | instskip(NEXT) | instid1(VALU_DEP_1)
	v_lshrrev_b16 v42, 8, v42
	v_or_b32_e32 v23, v23, v42
	s_delay_alu instid0(VALU_DEP_4) | instskip(SKIP_1) | instid1(VALU_DEP_3)
	v_lshrrev_b32_e32 v42, 8, v40
	v_bfe_i32 v40, v40, 0, 8
	v_add_nc_u16 v23, 0xf800, v23
	s_delay_alu instid0(VALU_DEP_3) | instskip(NEXT) | instid1(VALU_DEP_3)
	v_bfe_i32 v42, v42, 0, 8
	v_cvt_f16_i16_e32 v40, v40
	s_delay_alu instid0(VALU_DEP_2) | instskip(NEXT) | instid1(VALU_DEP_1)
	v_cvt_f16_i16_e32 v42, v42
	v_pack_b32_f16 v40, v40, v42
	v_lshrrev_b32_e32 v42, 8, v23
	v_bfe_i32 v23, v23, 0, 8
	s_delay_alu instid0(VALU_DEP_3) | instskip(NEXT) | instid1(VALU_DEP_3)
	v_pk_mul_f16 v40, v40, v22
	v_bfe_i32 v42, v42, 0, 8
	s_delay_alu instid0(VALU_DEP_3) | instskip(NEXT) | instid1(VALU_DEP_2)
	v_cvt_f16_i16_e32 v23, v23
	v_cvt_f16_i16_e32 v42, v42
	s_delay_alu instid0(VALU_DEP_1) | instskip(NEXT) | instid1(VALU_DEP_1)
	v_pack_b32_f16 v23, v23, v42
	v_pk_mul_f16 v22, v23, v22
	v_pk_fma_f16 v23, v40, v20, v38
	v_pk_fma_f16 v38, v40, v21, v39
	s_delay_alu instid0(VALU_DEP_3)
	v_pk_fma_f16 v39, v22, v20, v41
	v_add_co_u32 v20, vcc_lo, v153, s20
	v_pk_fma_f16 v22, v22, v21, v37
	s_wait_alu 0xfffd
	v_add_co_ci_u32_e64 v21, null, 0, v154, vcc_lo
	global_load_b32 v37, v[20:21], off
	v_add_co_u32 v20, vcc_lo, v155, s20
	s_wait_alu 0xfffd
	v_add_co_ci_u32_e64 v21, null, 0, v156, vcc_lo
	global_load_u16 v20, v[20:21], off
	s_wait_loadcnt 0x1
	v_ashrrev_i32_e32 v21, v217, v37
	s_delay_alu instid0(VALU_DEP_1) | instskip(SKIP_2) | instid1(VALU_DEP_2)
	v_and_b32_e32 v21, 0xf0f0f0f, v21
	s_wait_loadcnt 0x0
	v_mul_u32_u24_e32 v20, 0x10001, v20
	v_lshlrev_b16 v37, 8, v21
	v_and_b32_e32 v40, 0xf00, v21
	v_lshrrev_b32_e32 v21, 16, v21
	s_delay_alu instid0(VALU_DEP_3) | instskip(NEXT) | instid1(VALU_DEP_1)
	v_add_nc_u16 v37, 0xf800, v37
	v_lshrrev_b16 v37, 8, v37
	s_delay_alu instid0(VALU_DEP_1) | instskip(NEXT) | instid1(VALU_DEP_4)
	v_or_b32_e32 v37, v40, v37
	v_lshlrev_b16 v40, 8, v21
	v_and_b32_e32 v21, 0xf00, v21
	s_delay_alu instid0(VALU_DEP_3) | instskip(NEXT) | instid1(VALU_DEP_3)
	v_add_nc_u16 v37, 0xf800, v37
	v_add_nc_u16 v40, 0xf800, v40
	s_delay_alu instid0(VALU_DEP_1) | instskip(NEXT) | instid1(VALU_DEP_1)
	v_lshrrev_b16 v40, 8, v40
	v_or_b32_e32 v21, v21, v40
	s_delay_alu instid0(VALU_DEP_4) | instskip(SKIP_1) | instid1(VALU_DEP_3)
	v_lshrrev_b32_e32 v40, 8, v37
	v_bfe_i32 v37, v37, 0, 8
	v_add_nc_u16 v21, 0xf800, v21
	s_delay_alu instid0(VALU_DEP_3) | instskip(NEXT) | instid1(VALU_DEP_3)
	v_bfe_i32 v40, v40, 0, 8
	v_cvt_f16_i16_e32 v37, v37
	s_delay_alu instid0(VALU_DEP_2) | instskip(NEXT) | instid1(VALU_DEP_1)
	v_cvt_f16_i16_e32 v40, v40
	v_pack_b32_f16 v37, v37, v40
	v_lshrrev_b32_e32 v40, 8, v21
	v_bfe_i32 v21, v21, 0, 8
	s_delay_alu instid0(VALU_DEP_3) | instskip(NEXT) | instid1(VALU_DEP_3)
	v_pk_mul_f16 v37, v37, v20
	v_bfe_i32 v40, v40, 0, 8
	s_delay_alu instid0(VALU_DEP_3) | instskip(NEXT) | instid1(VALU_DEP_2)
	v_cvt_f16_i16_e32 v21, v21
	v_cvt_f16_i16_e32 v40, v40
	s_delay_alu instid0(VALU_DEP_1) | instskip(NEXT) | instid1(VALU_DEP_1)
	v_pack_b32_f16 v21, v21, v40
	v_pk_mul_f16 v20, v21, v20
	v_mul_u32_u24_e32 v21, 0x10001, v27
	v_mul_u32_u24_e32 v27, 0x10001, v36
	s_delay_alu instid0(VALU_DEP_2) | instskip(NEXT) | instid1(VALU_DEP_2)
	v_pk_fma_f16 v23, v37, v21, v23
	v_pk_fma_f16 v36, v37, v27, v38
	;; [unrolled: 1-line block ×4, first 2 shown]
	v_add_co_u32 v20, vcc_lo, v149, s20
	s_wait_alu 0xfffd
	v_add_co_ci_u32_e64 v21, null, 0, v150, vcc_lo
	global_load_b32 v27, v[20:21], off
	v_add_co_u32 v20, vcc_lo, v151, s20
	s_wait_alu 0xfffd
	v_add_co_ci_u32_e64 v21, null, 0, v152, vcc_lo
	global_load_u16 v20, v[20:21], off
	s_wait_loadcnt 0x1
	v_ashrrev_i32_e32 v21, v217, v27
	s_delay_alu instid0(VALU_DEP_1) | instskip(SKIP_2) | instid1(VALU_DEP_2)
	v_and_b32_e32 v21, 0xf0f0f0f, v21
	s_wait_loadcnt 0x0
	v_mul_u32_u24_e32 v20, 0x10001, v20
	v_lshlrev_b16 v27, 8, v21
	v_and_b32_e32 v38, 0xf00, v21
	v_lshrrev_b32_e32 v21, 16, v21
	s_delay_alu instid0(VALU_DEP_3) | instskip(NEXT) | instid1(VALU_DEP_1)
	v_add_nc_u16 v27, 0xf800, v27
	v_lshrrev_b16 v27, 8, v27
	s_delay_alu instid0(VALU_DEP_1) | instskip(NEXT) | instid1(VALU_DEP_4)
	v_or_b32_e32 v27, v38, v27
	v_lshlrev_b16 v38, 8, v21
	v_and_b32_e32 v21, 0xf00, v21
	s_delay_alu instid0(VALU_DEP_3) | instskip(NEXT) | instid1(VALU_DEP_3)
	v_add_nc_u16 v27, 0xf800, v27
	v_add_nc_u16 v38, 0xf800, v38
	s_delay_alu instid0(VALU_DEP_1) | instskip(NEXT) | instid1(VALU_DEP_1)
	v_lshrrev_b16 v38, 8, v38
	v_or_b32_e32 v21, v21, v38
	s_delay_alu instid0(VALU_DEP_4) | instskip(SKIP_1) | instid1(VALU_DEP_3)
	v_lshrrev_b32_e32 v38, 8, v27
	v_bfe_i32 v27, v27, 0, 8
	v_add_nc_u16 v21, 0xf800, v21
	s_delay_alu instid0(VALU_DEP_3) | instskip(NEXT) | instid1(VALU_DEP_3)
	v_bfe_i32 v38, v38, 0, 8
	v_cvt_f16_i16_e32 v27, v27
	s_delay_alu instid0(VALU_DEP_2) | instskip(NEXT) | instid1(VALU_DEP_1)
	v_cvt_f16_i16_e32 v38, v38
	v_pack_b32_f16 v27, v27, v38
	v_lshrrev_b32_e32 v38, 8, v21
	v_bfe_i32 v21, v21, 0, 8
	s_delay_alu instid0(VALU_DEP_3) | instskip(NEXT) | instid1(VALU_DEP_3)
	v_pk_mul_f16 v27, v27, v20
	v_bfe_i32 v38, v38, 0, 8
	s_delay_alu instid0(VALU_DEP_3) | instskip(NEXT) | instid1(VALU_DEP_2)
	v_cvt_f16_i16_e32 v21, v21
	v_cvt_f16_i16_e32 v38, v38
	s_delay_alu instid0(VALU_DEP_1) | instskip(NEXT) | instid1(VALU_DEP_1)
	v_pack_b32_f16 v21, v21, v38
	v_pk_mul_f16 v20, v21, v20
	v_mul_u32_u24_e32 v21, 0x10001, v24
	v_mul_u32_u24_e32 v24, 0x10001, v35
	s_delay_alu instid0(VALU_DEP_2) | instskip(NEXT) | instid1(VALU_DEP_2)
	v_pk_fma_f16 v35, v20, v21, v37
	v_pk_fma_f16 v22, v20, v24, v22
	v_add_co_u32 v20, vcc_lo, v145, s20
	v_pk_fma_f16 v23, v27, v21, v23
	s_wait_alu 0xfffd
	v_add_co_ci_u32_e64 v21, null, 0, v146, vcc_lo
	v_pk_fma_f16 v27, v27, v24, v36
	global_load_b32 v24, v[20:21], off
	v_add_co_u32 v20, vcc_lo, v147, s20
	s_wait_alu 0xfffd
	v_add_co_ci_u32_e64 v21, null, 0, v148, vcc_lo
	global_load_u16 v20, v[20:21], off
	s_wait_loadcnt 0x1
	v_ashrrev_i32_e32 v21, v217, v24
	s_delay_alu instid0(VALU_DEP_1) | instskip(SKIP_2) | instid1(VALU_DEP_2)
	v_and_b32_e32 v21, 0xf0f0f0f, v21
	s_wait_loadcnt 0x0
	v_mul_u32_u24_e32 v20, 0x10001, v20
	v_lshlrev_b16 v24, 8, v21
	v_and_b32_e32 v36, 0xf00, v21
	v_lshrrev_b32_e32 v21, 16, v21
	s_delay_alu instid0(VALU_DEP_3) | instskip(NEXT) | instid1(VALU_DEP_1)
	v_add_nc_u16 v24, 0xf800, v24
	v_lshrrev_b16 v24, 8, v24
	s_delay_alu instid0(VALU_DEP_1) | instskip(NEXT) | instid1(VALU_DEP_4)
	v_or_b32_e32 v24, v36, v24
	v_lshlrev_b16 v36, 8, v21
	v_and_b32_e32 v21, 0xf00, v21
	s_delay_alu instid0(VALU_DEP_3) | instskip(NEXT) | instid1(VALU_DEP_3)
	v_add_nc_u16 v24, 0xf800, v24
	v_add_nc_u16 v36, 0xf800, v36
	s_delay_alu instid0(VALU_DEP_1) | instskip(NEXT) | instid1(VALU_DEP_1)
	v_lshrrev_b16 v36, 8, v36
	v_or_b32_e32 v21, v21, v36
	s_delay_alu instid0(VALU_DEP_4) | instskip(SKIP_1) | instid1(VALU_DEP_3)
	v_lshrrev_b32_e32 v36, 8, v24
	v_bfe_i32 v24, v24, 0, 8
	v_add_nc_u16 v21, 0xf800, v21
	s_delay_alu instid0(VALU_DEP_3) | instskip(NEXT) | instid1(VALU_DEP_3)
	v_bfe_i32 v36, v36, 0, 8
	v_cvt_f16_i16_e32 v24, v24
	s_delay_alu instid0(VALU_DEP_2) | instskip(NEXT) | instid1(VALU_DEP_1)
	v_cvt_f16_i16_e32 v36, v36
	v_pack_b32_f16 v24, v24, v36
	v_lshrrev_b32_e32 v36, 8, v21
	v_bfe_i32 v21, v21, 0, 8
	s_delay_alu instid0(VALU_DEP_3) | instskip(NEXT) | instid1(VALU_DEP_3)
	v_pk_mul_f16 v24, v24, v20
	v_bfe_i32 v36, v36, 0, 8
	s_delay_alu instid0(VALU_DEP_3) | instskip(NEXT) | instid1(VALU_DEP_2)
	v_cvt_f16_i16_e32 v21, v21
	v_cvt_f16_i16_e32 v36, v36
	s_delay_alu instid0(VALU_DEP_1) | instskip(NEXT) | instid1(VALU_DEP_1)
	v_pack_b32_f16 v21, v21, v36
	v_pk_mul_f16 v20, v21, v20
	v_mul_u32_u24_e32 v21, 0x10001, v73
	s_delay_alu instid0(VALU_DEP_2) | instskip(NEXT) | instid1(VALU_DEP_2)
	v_pk_fma_f16 v22, v20, v34, v22
	v_pk_fma_f16 v23, v24, v21, v23
	;; [unrolled: 1-line block ×4, first 2 shown]
	v_add_co_u32 v20, vcc_lo, v141, s20
	s_wait_alu 0xfffd
	v_add_co_ci_u32_e64 v21, null, 0, v142, vcc_lo
	global_load_b32 v34, v[20:21], off
	v_add_co_u32 v20, vcc_lo, v143, s20
	s_wait_alu 0xfffd
	v_add_co_ci_u32_e64 v21, null, 0, v144, vcc_lo
	global_load_u16 v20, v[20:21], off
	s_wait_loadcnt 0x1
	v_ashrrev_i32_e32 v21, v217, v34
	s_delay_alu instid0(VALU_DEP_1) | instskip(SKIP_2) | instid1(VALU_DEP_2)
	v_and_b32_e32 v21, 0xf0f0f0f, v21
	s_wait_loadcnt 0x0
	v_mul_u32_u24_e32 v20, 0x10001, v20
	v_lshlrev_b16 v34, 8, v21
	v_and_b32_e32 v35, 0xf00, v21
	v_lshrrev_b32_e32 v21, 16, v21
	s_delay_alu instid0(VALU_DEP_3) | instskip(NEXT) | instid1(VALU_DEP_1)
	v_add_nc_u16 v34, 0xf800, v34
	v_lshrrev_b16 v34, 8, v34
	s_delay_alu instid0(VALU_DEP_1) | instskip(NEXT) | instid1(VALU_DEP_4)
	v_or_b32_e32 v34, v35, v34
	v_lshlrev_b16 v35, 8, v21
	v_and_b32_e32 v21, 0xf00, v21
	s_delay_alu instid0(VALU_DEP_3) | instskip(NEXT) | instid1(VALU_DEP_3)
	v_add_nc_u16 v34, 0xf800, v34
	v_add_nc_u16 v35, 0xf800, v35
	s_delay_alu instid0(VALU_DEP_1) | instskip(NEXT) | instid1(VALU_DEP_1)
	v_lshrrev_b16 v35, 8, v35
	v_or_b32_e32 v21, v21, v35
	s_delay_alu instid0(VALU_DEP_4) | instskip(SKIP_1) | instid1(VALU_DEP_3)
	v_lshrrev_b32_e32 v35, 8, v34
	v_bfe_i32 v34, v34, 0, 8
	v_add_nc_u16 v21, 0xf800, v21
	s_delay_alu instid0(VALU_DEP_3) | instskip(NEXT) | instid1(VALU_DEP_3)
	v_bfe_i32 v35, v35, 0, 8
	v_cvt_f16_i16_e32 v34, v34
	s_delay_alu instid0(VALU_DEP_2) | instskip(NEXT) | instid1(VALU_DEP_1)
	v_cvt_f16_i16_e32 v35, v35
	v_pack_b32_f16 v34, v34, v35
	v_lshrrev_b32_e32 v35, 8, v21
	v_bfe_i32 v21, v21, 0, 8
	s_delay_alu instid0(VALU_DEP_3) | instskip(NEXT) | instid1(VALU_DEP_3)
	v_pk_mul_f16 v34, v34, v20
	v_bfe_i32 v35, v35, 0, 8
	s_delay_alu instid0(VALU_DEP_3) | instskip(NEXT) | instid1(VALU_DEP_3)
	v_cvt_f16_i16_e32 v21, v21
	v_pk_fma_f16 v24, v34, v33, v24
	s_delay_alu instid0(VALU_DEP_3) | instskip(NEXT) | instid1(VALU_DEP_1)
	v_cvt_f16_i16_e32 v35, v35
	v_pack_b32_f16 v21, v21, v35
	s_delay_alu instid0(VALU_DEP_1) | instskip(SKIP_1) | instid1(VALU_DEP_2)
	v_pk_mul_f16 v20, v21, v20
	v_mul_u32_u24_e32 v21, 0x10001, v62
	v_pk_fma_f16 v22, v20, v33, v22
	s_delay_alu instid0(VALU_DEP_2)
	v_pk_fma_f16 v27, v20, v21, v27
	v_add_co_u32 v20, vcc_lo, v137, s20
	v_pk_fma_f16 v23, v34, v21, v23
	s_wait_alu 0xfffd
	v_add_co_ci_u32_e64 v21, null, 0, v138, vcc_lo
	global_load_b32 v33, v[20:21], off
	v_add_co_u32 v20, vcc_lo, v139, s20
	s_wait_alu 0xfffd
	v_add_co_ci_u32_e64 v21, null, 0, v140, vcc_lo
	global_load_u16 v20, v[20:21], off
	s_wait_loadcnt 0x1
	v_ashrrev_i32_e32 v21, v217, v33
	s_delay_alu instid0(VALU_DEP_1) | instskip(SKIP_2) | instid1(VALU_DEP_2)
	v_and_b32_e32 v21, 0xf0f0f0f, v21
	s_wait_loadcnt 0x0
	v_mul_u32_u24_e32 v20, 0x10001, v20
	v_lshlrev_b16 v33, 8, v21
	v_and_b32_e32 v34, 0xf00, v21
	v_lshrrev_b32_e32 v21, 16, v21
	s_delay_alu instid0(VALU_DEP_3) | instskip(NEXT) | instid1(VALU_DEP_1)
	v_add_nc_u16 v33, 0xf800, v33
	v_lshrrev_b16 v33, 8, v33
	s_delay_alu instid0(VALU_DEP_1) | instskip(NEXT) | instid1(VALU_DEP_4)
	v_or_b32_e32 v33, v34, v33
	v_lshlrev_b16 v34, 8, v21
	v_and_b32_e32 v21, 0xf00, v21
	s_delay_alu instid0(VALU_DEP_3) | instskip(NEXT) | instid1(VALU_DEP_3)
	v_add_nc_u16 v33, 0xf800, v33
	v_add_nc_u16 v34, 0xf800, v34
	s_delay_alu instid0(VALU_DEP_1) | instskip(NEXT) | instid1(VALU_DEP_1)
	v_lshrrev_b16 v34, 8, v34
	v_or_b32_e32 v21, v21, v34
	s_delay_alu instid0(VALU_DEP_4) | instskip(SKIP_1) | instid1(VALU_DEP_3)
	v_lshrrev_b32_e32 v34, 8, v33
	v_bfe_i32 v33, v33, 0, 8
	v_add_nc_u16 v21, 0xf800, v21
	s_delay_alu instid0(VALU_DEP_3) | instskip(NEXT) | instid1(VALU_DEP_3)
	v_bfe_i32 v34, v34, 0, 8
	v_cvt_f16_i16_e32 v33, v33
	s_delay_alu instid0(VALU_DEP_2) | instskip(NEXT) | instid1(VALU_DEP_1)
	v_cvt_f16_i16_e32 v34, v34
	v_pack_b32_f16 v33, v33, v34
	v_lshrrev_b32_e32 v34, 8, v21
	v_bfe_i32 v21, v21, 0, 8
	s_delay_alu instid0(VALU_DEP_3) | instskip(NEXT) | instid1(VALU_DEP_3)
	v_pk_mul_f16 v33, v33, v20
	v_bfe_i32 v34, v34, 0, 8
	s_delay_alu instid0(VALU_DEP_3) | instskip(NEXT) | instid1(VALU_DEP_3)
	v_cvt_f16_i16_e32 v21, v21
	v_pk_fma_f16 v24, v33, v32, v24
	s_delay_alu instid0(VALU_DEP_3) | instskip(NEXT) | instid1(VALU_DEP_1)
	v_cvt_f16_i16_e32 v34, v34
	v_pack_b32_f16 v21, v21, v34
	s_delay_alu instid0(VALU_DEP_1) | instskip(SKIP_1) | instid1(VALU_DEP_2)
	v_pk_mul_f16 v20, v21, v20
	v_mul_u32_u24_e32 v21, 0x10001, v66
	v_pk_fma_f16 v22, v20, v32, v22
	s_delay_alu instid0(VALU_DEP_2)
	v_pk_fma_f16 v27, v20, v21, v27
	v_add_co_u32 v20, vcc_lo, v133, s20
	v_pk_fma_f16 v23, v33, v21, v23
	;; [unrolled: 58-line block ×5, first 2 shown]
	s_wait_alu 0xfffd
	v_add_co_ci_u32_e64 v21, null, 0, v122, vcc_lo
	global_load_b32 v29, v[20:21], off
	v_add_co_u32 v20, vcc_lo, v123, s20
	s_wait_alu 0xfffd
	v_add_co_ci_u32_e64 v21, null, 0, v124, vcc_lo
	global_load_u16 v20, v[20:21], off
	s_wait_loadcnt 0x1
	v_ashrrev_i32_e32 v21, v217, v29
	s_delay_alu instid0(VALU_DEP_1) | instskip(SKIP_2) | instid1(VALU_DEP_2)
	v_and_b32_e32 v21, 0xf0f0f0f, v21
	s_wait_loadcnt 0x0
	v_mul_u32_u24_e32 v20, 0x10001, v20
	v_lshlrev_b16 v29, 8, v21
	v_and_b32_e32 v30, 0xf00, v21
	v_lshrrev_b32_e32 v21, 16, v21
	s_delay_alu instid0(VALU_DEP_3) | instskip(NEXT) | instid1(VALU_DEP_1)
	v_add_nc_u16 v29, 0xf800, v29
	v_lshrrev_b16 v29, 8, v29
	s_delay_alu instid0(VALU_DEP_1) | instskip(NEXT) | instid1(VALU_DEP_4)
	v_or_b32_e32 v29, v30, v29
	v_lshlrev_b16 v30, 8, v21
	v_and_b32_e32 v21, 0xf00, v21
	s_delay_alu instid0(VALU_DEP_3) | instskip(NEXT) | instid1(VALU_DEP_3)
	v_add_nc_u16 v29, 0xf800, v29
	v_add_nc_u16 v30, 0xf800, v30
	s_delay_alu instid0(VALU_DEP_1) | instskip(NEXT) | instid1(VALU_DEP_1)
	v_lshrrev_b16 v30, 8, v30
	v_or_b32_e32 v21, v21, v30
	s_delay_alu instid0(VALU_DEP_4) | instskip(SKIP_1) | instid1(VALU_DEP_3)
	v_lshrrev_b32_e32 v30, 8, v29
	v_bfe_i32 v29, v29, 0, 8
	v_add_nc_u16 v21, 0xf800, v21
	s_delay_alu instid0(VALU_DEP_3) | instskip(NEXT) | instid1(VALU_DEP_3)
	v_bfe_i32 v30, v30, 0, 8
	v_cvt_f16_i16_e32 v29, v29
	s_delay_alu instid0(VALU_DEP_2) | instskip(NEXT) | instid1(VALU_DEP_1)
	v_cvt_f16_i16_e32 v30, v30
	v_pack_b32_f16 v29, v29, v30
	v_lshrrev_b32_e32 v30, 8, v21
	v_bfe_i32 v21, v21, 0, 8
	s_delay_alu instid0(VALU_DEP_3) | instskip(NEXT) | instid1(VALU_DEP_3)
	v_pk_mul_f16 v29, v29, v20
	v_bfe_i32 v30, v30, 0, 8
	s_delay_alu instid0(VALU_DEP_3) | instskip(NEXT) | instid1(VALU_DEP_2)
	v_cvt_f16_i16_e32 v21, v21
	v_cvt_f16_i16_e32 v30, v30
	s_delay_alu instid0(VALU_DEP_1) | instskip(NEXT) | instid1(VALU_DEP_1)
	v_pack_b32_f16 v21, v21, v30
	v_pk_mul_f16 v20, v21, v20
	v_mul_u32_u24_e32 v21, 0x10001, v26
	v_mul_u32_u24_e32 v26, 0x10001, v28
	s_delay_alu instid0(VALU_DEP_2) | instskip(NEXT) | instid1(VALU_DEP_2)
	v_pk_fma_f16 v27, v20, v21, v27
	v_pk_fma_f16 v22, v20, v26, v22
	v_add_co_u32 v20, vcc_lo, v117, s20
	v_pk_fma_f16 v23, v29, v21, v23
	s_wait_alu 0xfffd
	v_add_co_ci_u32_e64 v21, null, 0, v118, vcc_lo
	v_pk_fma_f16 v24, v29, v26, v24
	global_load_b32 v26, v[20:21], off
	v_add_co_u32 v20, vcc_lo, v119, s20
	s_wait_alu 0xfffd
	v_add_co_ci_u32_e64 v21, null, 0, v120, vcc_lo
	global_load_u16 v20, v[20:21], off
	s_wait_loadcnt 0x1
	v_ashrrev_i32_e32 v21, v217, v26
	s_delay_alu instid0(VALU_DEP_1) | instskip(SKIP_2) | instid1(VALU_DEP_2)
	v_and_b32_e32 v21, 0xf0f0f0f, v21
	s_wait_loadcnt 0x0
	v_mul_u32_u24_e32 v20, 0x10001, v20
	v_lshlrev_b16 v26, 8, v21
	v_and_b32_e32 v28, 0xf00, v21
	v_lshrrev_b32_e32 v21, 16, v21
	s_delay_alu instid0(VALU_DEP_3) | instskip(NEXT) | instid1(VALU_DEP_1)
	v_add_nc_u16 v26, 0xf800, v26
	v_lshrrev_b16 v26, 8, v26
	s_delay_alu instid0(VALU_DEP_1) | instskip(NEXT) | instid1(VALU_DEP_4)
	v_or_b32_e32 v26, v28, v26
	v_lshlrev_b16 v28, 8, v21
	v_and_b32_e32 v21, 0xf00, v21
	s_delay_alu instid0(VALU_DEP_3) | instskip(NEXT) | instid1(VALU_DEP_3)
	v_add_nc_u16 v26, 0xf800, v26
	v_add_nc_u16 v28, 0xf800, v28
	s_delay_alu instid0(VALU_DEP_1) | instskip(NEXT) | instid1(VALU_DEP_1)
	v_lshrrev_b16 v28, 8, v28
	v_or_b32_e32 v21, v21, v28
	s_delay_alu instid0(VALU_DEP_4) | instskip(SKIP_1) | instid1(VALU_DEP_3)
	v_lshrrev_b32_e32 v28, 8, v26
	v_bfe_i32 v26, v26, 0, 8
	v_add_nc_u16 v21, 0xf800, v21
	s_delay_alu instid0(VALU_DEP_3) | instskip(NEXT) | instid1(VALU_DEP_3)
	v_bfe_i32 v28, v28, 0, 8
	v_cvt_f16_i16_e32 v26, v26
	s_delay_alu instid0(VALU_DEP_2) | instskip(NEXT) | instid1(VALU_DEP_1)
	v_cvt_f16_i16_e32 v28, v28
	v_pack_b32_f16 v26, v26, v28
	v_lshrrev_b32_e32 v28, 8, v21
	v_bfe_i32 v21, v21, 0, 8
	s_delay_alu instid0(VALU_DEP_3) | instskip(NEXT) | instid1(VALU_DEP_3)
	v_pk_mul_f16 v26, v26, v20
	v_bfe_i32 v28, v28, 0, 8
	s_delay_alu instid0(VALU_DEP_3) | instskip(NEXT) | instid1(VALU_DEP_3)
	v_cvt_f16_i16_e32 v21, v21
	v_pk_fma_f16 v24, v26, v25, v24
	s_delay_alu instid0(VALU_DEP_3) | instskip(NEXT) | instid1(VALU_DEP_1)
	v_cvt_f16_i16_e32 v28, v28
	v_pack_b32_f16 v21, v21, v28
	s_delay_alu instid0(VALU_DEP_1) | instskip(SKIP_1) | instid1(VALU_DEP_2)
	v_pk_mul_f16 v20, v21, v20
	v_mul_u32_u24_e32 v21, 0x10001, v75
	v_pk_fma_f16 v22, v20, v25, v22
	s_delay_alu instid0(VALU_DEP_2)
	v_pk_fma_f16 v23, v26, v21, v23
	v_pk_fma_f16 v26, v20, v21, v27
	v_add_co_u32 v20, vcc_lo, v113, s20
	s_wait_alu 0xfffd
	v_add_co_ci_u32_e64 v21, null, 0, v114, vcc_lo
	global_load_b32 v25, v[20:21], off
	v_add_co_u32 v20, vcc_lo, v115, s20
	s_wait_alu 0xfffd
	v_add_co_ci_u32_e64 v21, null, 0, v116, vcc_lo
	global_load_u16 v20, v[20:21], off
	s_wait_loadcnt 0x1
	v_ashrrev_i32_e32 v21, v217, v25
	s_delay_alu instid0(VALU_DEP_1) | instskip(SKIP_2) | instid1(VALU_DEP_2)
	v_and_b32_e32 v21, 0xf0f0f0f, v21
	s_wait_loadcnt 0x0
	v_mul_u32_u24_e32 v20, 0x10001, v20
	v_lshlrev_b16 v25, 8, v21
	v_and_b32_e32 v27, 0xf00, v21
	v_lshrrev_b32_e32 v21, 16, v21
	s_delay_alu instid0(VALU_DEP_3) | instskip(NEXT) | instid1(VALU_DEP_1)
	v_add_nc_u16 v25, 0xf800, v25
	v_lshrrev_b16 v25, 8, v25
	s_delay_alu instid0(VALU_DEP_1) | instskip(NEXT) | instid1(VALU_DEP_4)
	v_or_b32_e32 v25, v27, v25
	v_lshlrev_b16 v27, 8, v21
	v_and_b32_e32 v21, 0xf00, v21
	s_delay_alu instid0(VALU_DEP_3) | instskip(NEXT) | instid1(VALU_DEP_3)
	v_add_nc_u16 v25, 0xf800, v25
	v_add_nc_u16 v27, 0xf800, v27
	s_delay_alu instid0(VALU_DEP_1) | instskip(NEXT) | instid1(VALU_DEP_1)
	v_lshrrev_b16 v27, 8, v27
	v_or_b32_e32 v21, v21, v27
	s_delay_alu instid0(VALU_DEP_4) | instskip(SKIP_1) | instid1(VALU_DEP_3)
	v_lshrrev_b32_e32 v27, 8, v25
	v_bfe_i32 v25, v25, 0, 8
	v_add_nc_u16 v21, 0xf800, v21
	s_delay_alu instid0(VALU_DEP_3) | instskip(NEXT) | instid1(VALU_DEP_3)
	v_bfe_i32 v27, v27, 0, 8
	v_cvt_f16_i16_e32 v25, v25
	s_delay_alu instid0(VALU_DEP_2) | instskip(NEXT) | instid1(VALU_DEP_1)
	v_cvt_f16_i16_e32 v27, v27
	v_pack_b32_f16 v25, v25, v27
	v_lshrrev_b32_e32 v27, 8, v21
	v_bfe_i32 v21, v21, 0, 8
	s_delay_alu instid0(VALU_DEP_3) | instskip(NEXT) | instid1(VALU_DEP_3)
	v_pk_mul_f16 v25, v25, v20
	v_bfe_i32 v27, v27, 0, 8
	s_delay_alu instid0(VALU_DEP_3) | instskip(NEXT) | instid1(VALU_DEP_2)
	v_cvt_f16_i16_e32 v21, v21
	v_cvt_f16_i16_e32 v27, v27
	s_delay_alu instid0(VALU_DEP_1) | instskip(SKIP_1) | instid1(VALU_DEP_2)
	v_pack_b32_f16 v21, v21, v27
	v_mul_u32_u24_e32 v27, 0x10001, v74
	v_pk_mul_f16 v20, v21, v20
	v_mul_u32_u24_e32 v21, 0x10001, v72
	s_delay_alu instid0(VALU_DEP_3) | instskip(NEXT) | instid1(VALU_DEP_3)
	v_pk_fma_f16 v24, v25, v27, v24
	v_pk_fma_f16 v22, v20, v27, v22
	s_delay_alu instid0(VALU_DEP_3)
	v_pk_fma_f16 v23, v25, v21, v23
	v_pk_fma_f16 v25, v20, v21, v26
	v_add_co_u32 v20, vcc_lo, v109, s20
	s_wait_alu 0xfffd
	v_add_co_ci_u32_e64 v21, null, 0, v110, vcc_lo
	global_load_b32 v26, v[20:21], off
	v_add_co_u32 v20, vcc_lo, v111, s20
	s_wait_alu 0xfffd
	v_add_co_ci_u32_e64 v21, null, 0, v112, vcc_lo
	global_load_u16 v20, v[20:21], off
	s_wait_loadcnt 0x1
	v_ashrrev_i32_e32 v21, v217, v26
	s_delay_alu instid0(VALU_DEP_1) | instskip(SKIP_2) | instid1(VALU_DEP_2)
	v_and_b32_e32 v21, 0xf0f0f0f, v21
	s_wait_loadcnt 0x0
	v_mul_u32_u24_e32 v20, 0x10001, v20
	v_lshlrev_b16 v26, 8, v21
	v_and_b32_e32 v27, 0xf00, v21
	v_lshrrev_b32_e32 v21, 16, v21
	s_delay_alu instid0(VALU_DEP_3) | instskip(NEXT) | instid1(VALU_DEP_1)
	v_add_nc_u16 v26, 0xf800, v26
	v_lshrrev_b16 v26, 8, v26
	s_delay_alu instid0(VALU_DEP_1) | instskip(NEXT) | instid1(VALU_DEP_4)
	v_or_b32_e32 v26, v27, v26
	v_lshlrev_b16 v27, 8, v21
	v_and_b32_e32 v21, 0xf00, v21
	s_delay_alu instid0(VALU_DEP_3) | instskip(NEXT) | instid1(VALU_DEP_3)
	v_add_nc_u16 v26, 0xf800, v26
	v_add_nc_u16 v27, 0xf800, v27
	s_delay_alu instid0(VALU_DEP_1) | instskip(NEXT) | instid1(VALU_DEP_1)
	v_lshrrev_b16 v27, 8, v27
	v_or_b32_e32 v21, v21, v27
	s_delay_alu instid0(VALU_DEP_4) | instskip(SKIP_1) | instid1(VALU_DEP_3)
	v_lshrrev_b32_e32 v27, 8, v26
	v_bfe_i32 v26, v26, 0, 8
	v_add_nc_u16 v21, 0xf800, v21
	s_delay_alu instid0(VALU_DEP_3) | instskip(NEXT) | instid1(VALU_DEP_3)
	v_bfe_i32 v27, v27, 0, 8
	v_cvt_f16_i16_e32 v26, v26
	s_delay_alu instid0(VALU_DEP_2) | instskip(NEXT) | instid1(VALU_DEP_1)
	v_cvt_f16_i16_e32 v27, v27
	v_pack_b32_f16 v26, v26, v27
	v_lshrrev_b32_e32 v27, 8, v21
	v_bfe_i32 v21, v21, 0, 8
	s_delay_alu instid0(VALU_DEP_3) | instskip(NEXT) | instid1(VALU_DEP_3)
	v_pk_mul_f16 v26, v26, v20
	v_bfe_i32 v27, v27, 0, 8
	s_delay_alu instid0(VALU_DEP_3) | instskip(NEXT) | instid1(VALU_DEP_2)
	v_cvt_f16_i16_e32 v21, v21
	v_cvt_f16_i16_e32 v27, v27
	s_delay_alu instid0(VALU_DEP_1) | instskip(SKIP_1) | instid1(VALU_DEP_2)
	v_pack_b32_f16 v21, v21, v27
	v_mul_u32_u24_e32 v27, 0x10001, v65
	v_pk_mul_f16 v20, v21, v20
	v_mul_u32_u24_e32 v21, 0x10001, v59
	s_delay_alu instid0(VALU_DEP_3) | instskip(NEXT) | instid1(VALU_DEP_3)
	v_pk_fma_f16 v24, v26, v27, v24
	v_pk_fma_f16 v22, v20, v27, v22
	s_delay_alu instid0(VALU_DEP_3)
	v_pk_fma_f16 v25, v20, v21, v25
	v_add_co_u32 v20, vcc_lo, v105, s20
	v_pk_fma_f16 v23, v26, v21, v23
	s_wait_alu 0xfffd
	v_add_co_ci_u32_e64 v21, null, 0, v106, vcc_lo
	global_load_b32 v26, v[20:21], off
	v_add_co_u32 v20, vcc_lo, v107, s20
	s_wait_alu 0xfffd
	v_add_co_ci_u32_e64 v21, null, 0, v108, vcc_lo
	global_load_u16 v20, v[20:21], off
	s_wait_loadcnt 0x1
	v_ashrrev_i32_e32 v21, v217, v26
	s_delay_alu instid0(VALU_DEP_1) | instskip(SKIP_2) | instid1(VALU_DEP_2)
	v_and_b32_e32 v21, 0xf0f0f0f, v21
	s_wait_loadcnt 0x0
	v_mul_u32_u24_e32 v20, 0x10001, v20
	v_lshlrev_b16 v26, 8, v21
	v_and_b32_e32 v27, 0xf00, v21
	v_lshrrev_b32_e32 v21, 16, v21
	s_delay_alu instid0(VALU_DEP_3) | instskip(NEXT) | instid1(VALU_DEP_1)
	v_add_nc_u16 v26, 0xf800, v26
	v_lshrrev_b16 v26, 8, v26
	s_delay_alu instid0(VALU_DEP_1) | instskip(NEXT) | instid1(VALU_DEP_4)
	v_or_b32_e32 v26, v27, v26
	v_lshlrev_b16 v27, 8, v21
	v_and_b32_e32 v21, 0xf00, v21
	s_delay_alu instid0(VALU_DEP_3) | instskip(NEXT) | instid1(VALU_DEP_3)
	v_add_nc_u16 v26, 0xf800, v26
	v_add_nc_u16 v27, 0xf800, v27
	s_delay_alu instid0(VALU_DEP_1) | instskip(NEXT) | instid1(VALU_DEP_1)
	v_lshrrev_b16 v27, 8, v27
	v_or_b32_e32 v21, v21, v27
	s_delay_alu instid0(VALU_DEP_4) | instskip(SKIP_1) | instid1(VALU_DEP_3)
	v_lshrrev_b32_e32 v27, 8, v26
	v_bfe_i32 v26, v26, 0, 8
	v_add_nc_u16 v21, 0xf800, v21
	s_delay_alu instid0(VALU_DEP_3) | instskip(NEXT) | instid1(VALU_DEP_3)
	v_bfe_i32 v27, v27, 0, 8
	v_cvt_f16_i16_e32 v26, v26
	s_delay_alu instid0(VALU_DEP_2) | instskip(NEXT) | instid1(VALU_DEP_1)
	v_cvt_f16_i16_e32 v27, v27
	v_pack_b32_f16 v26, v26, v27
	v_lshrrev_b32_e32 v27, 8, v21
	v_bfe_i32 v21, v21, 0, 8
	s_delay_alu instid0(VALU_DEP_3) | instskip(NEXT) | instid1(VALU_DEP_3)
	v_pk_mul_f16 v26, v26, v20
	v_bfe_i32 v27, v27, 0, 8
	s_delay_alu instid0(VALU_DEP_3) | instskip(NEXT) | instid1(VALU_DEP_2)
	v_cvt_f16_i16_e32 v21, v21
	v_cvt_f16_i16_e32 v27, v27
	s_delay_alu instid0(VALU_DEP_1) | instskip(SKIP_1) | instid1(VALU_DEP_2)
	v_pack_b32_f16 v21, v21, v27
	v_mul_u32_u24_e32 v27, 0x10001, v58
	v_pk_mul_f16 v20, v21, v20
	v_mul_u32_u24_e32 v21, 0x10001, v61
	s_delay_alu instid0(VALU_DEP_3) | instskip(NEXT) | instid1(VALU_DEP_3)
	v_pk_fma_f16 v24, v26, v27, v24
	v_pk_fma_f16 v22, v20, v27, v22
	s_delay_alu instid0(VALU_DEP_3)
	v_pk_fma_f16 v25, v20, v21, v25
	v_add_co_u32 v20, vcc_lo, v101, s20
	v_pk_fma_f16 v23, v26, v21, v23
	s_wait_alu 0xfffd
	v_add_co_ci_u32_e64 v21, null, 0, v102, vcc_lo
	global_load_b32 v26, v[20:21], off
	v_add_co_u32 v20, vcc_lo, v103, s20
	s_wait_alu 0xfffd
	v_add_co_ci_u32_e64 v21, null, 0, v104, vcc_lo
	global_load_u16 v20, v[20:21], off
	s_wait_loadcnt 0x1
	v_ashrrev_i32_e32 v21, v217, v26
	s_delay_alu instid0(VALU_DEP_1) | instskip(SKIP_2) | instid1(VALU_DEP_2)
	v_and_b32_e32 v21, 0xf0f0f0f, v21
	s_wait_loadcnt 0x0
	v_mul_u32_u24_e32 v20, 0x10001, v20
	v_lshlrev_b16 v26, 8, v21
	v_and_b32_e32 v27, 0xf00, v21
	v_lshrrev_b32_e32 v21, 16, v21
	s_delay_alu instid0(VALU_DEP_3) | instskip(NEXT) | instid1(VALU_DEP_1)
	v_add_nc_u16 v26, 0xf800, v26
	v_lshrrev_b16 v26, 8, v26
	s_delay_alu instid0(VALU_DEP_1) | instskip(NEXT) | instid1(VALU_DEP_4)
	v_or_b32_e32 v26, v27, v26
	v_lshlrev_b16 v27, 8, v21
	v_and_b32_e32 v21, 0xf00, v21
	s_delay_alu instid0(VALU_DEP_3) | instskip(NEXT) | instid1(VALU_DEP_3)
	v_add_nc_u16 v26, 0xf800, v26
	v_add_nc_u16 v27, 0xf800, v27
	s_delay_alu instid0(VALU_DEP_1) | instskip(NEXT) | instid1(VALU_DEP_1)
	v_lshrrev_b16 v27, 8, v27
	v_or_b32_e32 v21, v21, v27
	s_delay_alu instid0(VALU_DEP_4) | instskip(SKIP_1) | instid1(VALU_DEP_3)
	v_lshrrev_b32_e32 v27, 8, v26
	v_bfe_i32 v26, v26, 0, 8
	v_add_nc_u16 v21, 0xf800, v21
	s_delay_alu instid0(VALU_DEP_3) | instskip(NEXT) | instid1(VALU_DEP_3)
	v_bfe_i32 v27, v27, 0, 8
	v_cvt_f16_i16_e32 v26, v26
	s_delay_alu instid0(VALU_DEP_2) | instskip(NEXT) | instid1(VALU_DEP_1)
	v_cvt_f16_i16_e32 v27, v27
	v_pack_b32_f16 v26, v26, v27
	v_lshrrev_b32_e32 v27, 8, v21
	v_bfe_i32 v21, v21, 0, 8
	s_delay_alu instid0(VALU_DEP_3) | instskip(NEXT) | instid1(VALU_DEP_3)
	v_pk_mul_f16 v26, v26, v20
	v_bfe_i32 v27, v27, 0, 8
	s_delay_alu instid0(VALU_DEP_3) | instskip(NEXT) | instid1(VALU_DEP_2)
	v_cvt_f16_i16_e32 v21, v21
	v_cvt_f16_i16_e32 v27, v27
	s_delay_alu instid0(VALU_DEP_1) | instskip(SKIP_1) | instid1(VALU_DEP_2)
	v_pack_b32_f16 v21, v21, v27
	v_mul_u32_u24_e32 v27, 0x10001, v63
	v_pk_mul_f16 v20, v21, v20
	v_mul_u32_u24_e32 v21, 0x10001, v255
	s_delay_alu instid0(VALU_DEP_3) | instskip(NEXT) | instid1(VALU_DEP_3)
	v_pk_fma_f16 v24, v26, v27, v24
	v_pk_fma_f16 v22, v20, v27, v22
	s_delay_alu instid0(VALU_DEP_3)
	v_pk_fma_f16 v25, v20, v21, v25
	v_add_co_u32 v20, vcc_lo, v97, s20
	v_pk_fma_f16 v23, v26, v21, v23
	s_wait_alu 0xfffd
	v_add_co_ci_u32_e64 v21, null, 0, v98, vcc_lo
	global_load_b32 v26, v[20:21], off
	v_add_co_u32 v20, vcc_lo, v99, s20
	s_wait_alu 0xfffd
	v_add_co_ci_u32_e64 v21, null, 0, v100, vcc_lo
	global_load_u16 v20, v[20:21], off
	s_wait_loadcnt 0x1
	v_ashrrev_i32_e32 v21, v217, v26
	s_delay_alu instid0(VALU_DEP_1) | instskip(SKIP_2) | instid1(VALU_DEP_2)
	v_and_b32_e32 v21, 0xf0f0f0f, v21
	s_wait_loadcnt 0x0
	v_mul_u32_u24_e32 v20, 0x10001, v20
	v_lshlrev_b16 v26, 8, v21
	v_and_b32_e32 v27, 0xf00, v21
	v_lshrrev_b32_e32 v21, 16, v21
	s_delay_alu instid0(VALU_DEP_3) | instskip(NEXT) | instid1(VALU_DEP_1)
	v_add_nc_u16 v26, 0xf800, v26
	v_lshrrev_b16 v26, 8, v26
	s_delay_alu instid0(VALU_DEP_1) | instskip(NEXT) | instid1(VALU_DEP_4)
	v_or_b32_e32 v26, v27, v26
	v_lshlrev_b16 v27, 8, v21
	v_and_b32_e32 v21, 0xf00, v21
	s_delay_alu instid0(VALU_DEP_3) | instskip(NEXT) | instid1(VALU_DEP_3)
	v_add_nc_u16 v26, 0xf800, v26
	v_add_nc_u16 v27, 0xf800, v27
	s_delay_alu instid0(VALU_DEP_1) | instskip(NEXT) | instid1(VALU_DEP_1)
	v_lshrrev_b16 v27, 8, v27
	v_or_b32_e32 v21, v21, v27
	s_delay_alu instid0(VALU_DEP_4) | instskip(SKIP_1) | instid1(VALU_DEP_3)
	v_lshrrev_b32_e32 v27, 8, v26
	v_bfe_i32 v26, v26, 0, 8
	v_add_nc_u16 v21, 0xf800, v21
	s_delay_alu instid0(VALU_DEP_3) | instskip(NEXT) | instid1(VALU_DEP_3)
	v_bfe_i32 v27, v27, 0, 8
	v_cvt_f16_i16_e32 v26, v26
	s_delay_alu instid0(VALU_DEP_2) | instskip(NEXT) | instid1(VALU_DEP_1)
	v_cvt_f16_i16_e32 v27, v27
	v_pack_b32_f16 v26, v26, v27
	v_lshrrev_b32_e32 v27, 8, v21
	v_bfe_i32 v21, v21, 0, 8
	s_delay_alu instid0(VALU_DEP_3) | instskip(NEXT) | instid1(VALU_DEP_3)
	v_pk_mul_f16 v26, v26, v20
	v_bfe_i32 v27, v27, 0, 8
	s_delay_alu instid0(VALU_DEP_3) | instskip(NEXT) | instid1(VALU_DEP_2)
	v_cvt_f16_i16_e32 v21, v21
	v_cvt_f16_i16_e32 v27, v27
	s_delay_alu instid0(VALU_DEP_1) | instskip(NEXT) | instid1(VALU_DEP_1)
	v_pack_b32_f16 v21, v21, v27
	v_pk_mul_f16 v20, v21, v20
	v_pk_fma_f16 v21, v26, v18, v23
	v_pk_fma_f16 v23, v26, v19, v24
	v_mul_u32_u24_e32 v26, 0x10001, v16
	s_delay_alu instid0(VALU_DEP_4)
	v_pk_fma_f16 v24, v20, v18, v25
	v_add_co_u32 v18, vcc_lo, v93, s20
	v_pk_fma_f16 v20, v20, v19, v22
	s_wait_alu 0xfffd
	v_add_co_ci_u32_e64 v19, null, 0, v94, vcc_lo
	global_load_b32 v22, v[18:19], off
	v_add_co_u32 v18, vcc_lo, v95, s20
	s_wait_alu 0xfffd
	v_add_co_ci_u32_e64 v19, null, 0, v96, vcc_lo
	v_add_co_u32 v77, vcc_lo, v77, s27
	s_wait_alu 0xfffd
	v_add_co_ci_u32_e64 v78, null, 0, v78, vcc_lo
	global_load_u16 v18, v[18:19], off
	v_add_co_u32 v67, vcc_lo, v67, s6
	s_wait_alu 0xfffd
	v_add_co_ci_u32_e64 v68, null, s7, v68, vcc_lo
	v_add_co_u32 v79, vcc_lo, v79, s6
	s_wait_alu 0xfffd
	v_add_co_ci_u32_e64 v80, null, s7, v80, vcc_lo
	;; [unrolled: 3-line block ×70, first 2 shown]
	s_wait_loadcnt 0x1
	v_ashrrev_i32_e32 v19, v217, v22
	s_delay_alu instid0(VALU_DEP_1) | instskip(NEXT) | instid1(VALU_DEP_1)
	v_and_b32_e32 v19, 0xf0f0f0f, v19
	v_lshlrev_b16 v22, 8, v19
	v_and_b32_e32 v25, 0xf00, v19
	s_delay_alu instid0(VALU_DEP_2) | instskip(NEXT) | instid1(VALU_DEP_1)
	v_add_nc_u16 v22, 0xf800, v22
	v_lshrrev_b16 v22, 8, v22
	s_delay_alu instid0(VALU_DEP_1) | instskip(NEXT) | instid1(VALU_DEP_1)
	v_or_b32_e32 v22, v25, v22
	v_add_nc_u16 v22, 0xf800, v22
	s_delay_alu instid0(VALU_DEP_1) | instskip(SKIP_1) | instid1(VALU_DEP_2)
	v_lshrrev_b32_e32 v25, 8, v22
	v_bfe_i32 v22, v22, 0, 8
	v_bfe_i32 v25, v25, 0, 8
	s_delay_alu instid0(VALU_DEP_2) | instskip(NEXT) | instid1(VALU_DEP_2)
	v_cvt_f16_i16_e32 v22, v22
	v_cvt_f16_i16_e32 v25, v25
	s_delay_alu instid0(VALU_DEP_1) | instskip(SKIP_2) | instid1(VALU_DEP_1)
	v_pack_b32_f16 v22, v22, v25
	s_wait_loadcnt 0x0
	v_mul_u32_u24_e32 v25, 0x10001, v18
	v_pk_mul_f16 v18, v22, v25
	v_mul_u32_u24_e32 v22, 0x10001, v17
	v_lshrrev_b32_e32 v17, 16, v19
	s_delay_alu instid0(VALU_DEP_3) | instskip(NEXT) | instid1(VALU_DEP_3)
	v_pk_fma_f16 v16, v18, v26, v21
	v_pk_fma_f16 v18, v18, v22, v23
	s_delay_alu instid0(VALU_DEP_3) | instskip(SKIP_1) | instid1(VALU_DEP_2)
	v_lshlrev_b16 v19, 8, v17
	v_and_b32_e32 v17, 0xf00, v17
	v_add_nc_u16 v19, 0xf800, v19
	s_delay_alu instid0(VALU_DEP_1) | instskip(NEXT) | instid1(VALU_DEP_1)
	v_lshrrev_b16 v19, 8, v19
	v_or_b32_e32 v17, v17, v19
	s_delay_alu instid0(VALU_DEP_1) | instskip(NEXT) | instid1(VALU_DEP_1)
	v_add_nc_u16 v17, 0xf800, v17
	v_lshrrev_b32_e32 v19, 8, v17
	v_bfe_i32 v17, v17, 0, 8
	s_delay_alu instid0(VALU_DEP_2) | instskip(NEXT) | instid1(VALU_DEP_2)
	v_bfe_i32 v19, v19, 0, 8
	v_cvt_f16_i16_e32 v17, v17
	s_delay_alu instid0(VALU_DEP_2) | instskip(NEXT) | instid1(VALU_DEP_1)
	v_cvt_f16_i16_e32 v19, v19
	v_pack_b32_f16 v17, v17, v19
	s_delay_alu instid0(VALU_DEP_1) | instskip(NEXT) | instid1(VALU_DEP_1)
	v_pk_mul_f16 v19, v17, v25
	v_pk_fma_f16 v17, v19, v26, v24
	v_pk_fma_f16 v19, v19, v22, v20
	s_cbranch_scc1 .LBB22_44
; %bb.42:                               ;   in Loop: Header=BB22_17 Depth=1
	s_clause 0xb
	scratch_load_b32 v219, off, off offset:20
	scratch_load_b64 v[220:221], off, off offset:24
	scratch_load_b64 v[222:223], off, off offset:32
	;; [unrolled: 1-line block ×11, first 2 shown]
	v_dual_mov_b32 v20, v56 :: v_dual_mov_b32 v21, v57
	s_branch .LBB22_17
.LBB22_43:
	v_mov_b32_e32 v70, 0
	s_delay_alu instid0(VALU_DEP_1) | instskip(NEXT) | instid1(VALU_DEP_1)
	v_dual_mov_b32 v56, 0xfeffffff :: v_dual_mov_b32 v69, v70
	v_mov_b32_e32 v57, v56
	s_branch .LBB22_45
.LBB22_44:
	scratch_load_b32 v213, off, off offset:132 ; 4-byte Folded Reload
	v_mbcnt_lo_u32_b32 v122, -1, 0
	s_wait_loadcnt 0x0
	ds_store_b128 v213, v[16:19]
	s_clause 0x4
	scratch_load_b32 v217, off, off offset:112
	scratch_load_b32 v30, off, off offset:116
	;; [unrolled: 1-line block ×5, first 2 shown]
.LBB22_45:
	s_cmp_eq_u64 s[12:13], 0
	s_cselect_b32 s1, -1, 0
	s_cmp_lg_u32 s14, 0
	s_cselect_b32 s4, -1, 0
	s_wait_alu 0xfffe
	s_or_b32 s1, s4, s1
	s_wait_alu 0xfffe
	s_nor_b32 s0, s1, s0
	s_wait_alu 0xfffe
	s_and_saveexec_b32 s1, s0
	s_cbranch_execz .LBB22_47
; %bb.46:
	s_ashr_i32 s29, s28, 31
	s_wait_loadcnt 0x3
	v_cmp_eq_u32_e32 vcc_lo, 1, v30
	s_wait_alu 0xfffe
	s_lshl_b64 s[4:5], s[28:29], 2
	s_wait_alu 0xfffe
	s_add_nc_u64 s[4:5], s[12:13], s[4:5]
	s_wait_alu 0xfffd
	v_cndmask_b32_e32 v0, v56, v57, vcc_lo
	s_load_b32 s0, s[4:5], 0x0
	s_delay_alu instid0(VALU_DEP_1) | instskip(SKIP_2) | instid1(VALU_DEP_1)
	v_max_num_f32_e32 v1, v0, v0
	s_wait_kmcnt 0x0
	v_max_num_f32_e64 v2, s0, s0
	v_max_num_f32_e32 v2, v2, v1
	s_delay_alu instid0(VALU_DEP_1) | instskip(NEXT) | instid1(VALU_DEP_1)
	v_sub_f32_e32 v4, s0, v2
	v_mul_f32_e32 v1, 0x3fb8aa3b, v4
	v_sub_f32_e32 v3, v0, v2
	s_delay_alu instid0(VALU_DEP_2) | instskip(NEXT) | instid1(VALU_DEP_2)
	v_rndne_f32_e32 v8, v1
	v_mul_f32_e32 v0, 0x3fb8aa3b, v3
	v_fma_f32 v7, 0x3fb8aa3b, v4, -v1
	v_cmp_ngt_f32_e64 s0, 0xc2ce8ed0, v3
	s_delay_alu instid0(VALU_DEP_4) | instskip(NEXT) | instid1(VALU_DEP_4)
	v_sub_f32_e32 v1, v1, v8
	v_fma_f32 v5, 0x3fb8aa3b, v3, -v0
	v_rndne_f32_e32 v6, v0
	v_fmac_f32_e32 v7, 0x32a5705f, v4
	s_delay_alu instid0(VALU_DEP_2) | instskip(NEXT) | instid1(VALU_DEP_2)
	v_dual_fmac_f32 v5, 0x32a5705f, v3 :: v_dual_sub_f32 v0, v0, v6
	v_add_f32_e32 v1, v1, v7
	s_delay_alu instid0(VALU_DEP_2) | instskip(NEXT) | instid1(VALU_DEP_2)
	v_dual_cndmask_b32 v57, v57, v2 :: v_dual_add_f32 v0, v0, v5
	v_exp_f32_e32 v1, v1
	v_cvt_i32_f32_e32 v5, v6
	v_cvt_i32_f32_e32 v6, v8
	s_delay_alu instid0(VALU_DEP_3)
	v_exp_f32_e32 v0, v0
	s_delay_alu instid0(TRANS32_DEP_2) | instid1(VALU_DEP_1)
	v_ldexp_f32 v6, v1, v6
	s_delay_alu instid0(TRANS32_DEP_1) | instskip(SKIP_2) | instid1(VALU_DEP_2)
	v_ldexp_f32 v0, v0, v5
	v_lshl_add_u32 v5, v30, 3, v213
	s_wait_alu 0xf1ff
	v_cndmask_b32_e64 v7, 0, v0, s0
	v_cmp_ngt_f32_e64 s0, 0xc2ce8ed0, v4
	ds_load_b64 v[0:1], v5
	s_wait_alu 0xf1ff
	v_cndmask_b32_e64 v6, 0, v6, s0
	v_cmp_nlt_f32_e64 s0, 0x42b17218, v3
	s_wait_alu 0xf1ff
	s_delay_alu instid0(VALU_DEP_1) | instskip(SKIP_2) | instid1(VALU_DEP_1)
	v_cndmask_b32_e64 v3, 0x7f800000, v7, s0
	v_cmp_nlt_f32_e64 s0, 0x42b17218, v4
	s_wait_alu 0xf1ff
	v_cndmask_b32_e64 v4, 0x7f800000, v6, s0
	s_delay_alu instid0(VALU_DEP_3) | instskip(SKIP_1) | instid1(VALU_DEP_2)
	v_cvt_f16_f32_e32 v6, v3
	v_cmp_eq_u32_e64 s0, 0, v217
	v_dual_cndmask_b32 v7, v70, v69 :: v_dual_and_b32 v6, 0xffff, v6
	s_wait_alu 0xf1ff
	s_delay_alu instid0(VALU_DEP_2) | instskip(SKIP_1) | instid1(VALU_DEP_2)
	v_cndmask_b32_e64 v4, 0, v4, s0
	v_cmp_eq_u32_e64 s0, 0, v30
	v_fmac_f32_e32 v4, v7, v3
	v_mul_u32_u24_e32 v3, 0x10001, v6
	s_wait_alu 0xf1ff
	s_delay_alu instid0(VALU_DEP_3) | instskip(NEXT) | instid1(VALU_DEP_3)
	v_cndmask_b32_e64 v56, v56, v2, s0
	v_cndmask_b32_e32 v69, v69, v4, vcc_lo
	s_wait_dscnt 0x0
	v_pk_mul_f16 v0, v0, v3
	v_pk_mul_f16 v1, v1, v3
	v_cndmask_b32_e64 v70, v70, v4, s0
	ds_store_b64 v5, v[0:1]
.LBB22_47:
	s_wait_alu 0xfffe
	s_or_b32 exec_lo, exec_lo, s1
	s_wait_loadcnt 0x0
	v_add_nc_u32_e32 v2, 0x500, v32
	v_add_nc_u32_e32 v7, 0x400, v32
	s_mov_b32 s0, exec_lo
	v_cmpx_eq_u32_e32 0, v30
	s_cbranch_execz .LBB22_49
; %bb.48:
	v_dual_mov_b32 v0, 0xfeffffff :: v_dual_mov_b32 v1, 0
	ds_store_2addr_b32 v7, v0, v0 offset1:32
	ds_store_2addr_b32 v2, v1, v1 offset1:32
.LBB22_49:
	s_wait_alu 0xfffe
	s_or_b32 exec_lo, exec_lo, s0
	v_cmp_eq_u32_e64 s0, 0, v217
	s_wait_storecnt_dscnt 0x0
	s_barrier_signal -1
	s_barrier_wait -1
	global_inv scope:SCOPE_SE
	s_and_saveexec_b32 s1, s0
; %bb.50:
	v_lshlrev_b32_e32 v0, 2, v30
	s_delay_alu instid0(VALU_DEP_1)
	v_add_nc_u32_e32 v0, 0x400, v0
	ds_store_2addr_b32 v0, v56, v57 offset1:32
; %bb.51:
	s_wait_alu 0xfffe
	s_or_b32 exec_lo, exec_lo, s1
	s_cmp_lt_i32 s30, s24
	s_wait_loadcnt_dscnt 0x0
	s_barrier_signal -1
	s_barrier_wait -1
	global_inv scope:SCOPE_SE
	s_cbranch_scc1 .LBB22_53
; %bb.52:
	s_load_b32 s4, s[2:3], 0xd4
	s_cbranch_execz .LBB22_54
	s_branch .LBB22_61
.LBB22_53:
                                        ; implicit-def: $sgpr4
.LBB22_54:
	ds_load_b32 v0, v7
	v_xor_b32_e32 v1, 16, v122
	v_xor_b32_e32 v4, 8, v122
	;; [unrolled: 1-line block ×5, first 2 shown]
	v_cmp_gt_i32_e32 vcc_lo, 32, v1
	v_lshlrev_b32_e32 v14, 3, v217
	s_wait_kmcnt 0x0
	s_load_b32 s4, s[2:3], 0xd4
	v_cndmask_b32_e32 v1, v122, v1, vcc_lo
	v_cmp_gt_i32_e32 vcc_lo, 32, v4
	s_wait_alu 0xfffd
	s_delay_alu instid0(VALU_DEP_2)
	v_dual_cndmask_b32 v4, v122, v4 :: v_dual_lshlrev_b32 v3, 2, v1
	v_cmp_gt_i32_e32 vcc_lo, 32, v5
	s_wait_dscnt 0x0
	ds_bpermute_b32 v1, v3, v0
	s_wait_alu 0xfffd
	v_dual_max_num_f32 v0, v0, v0 :: v_dual_cndmask_b32 v5, v122, v5
	v_cmp_gt_i32_e32 vcc_lo, 32, v6
	v_lshlrev_b32_e32 v4, 2, v4
	s_wait_alu 0xfffd
	v_cndmask_b32_e32 v6, v122, v6, vcc_lo
	v_cmp_gt_i32_e32 vcc_lo, 32, v8
	s_delay_alu instid0(VALU_DEP_2) | instskip(SKIP_3) | instid1(VALU_DEP_1)
	v_lshlrev_b32_e32 v6, 2, v6
	s_wait_alu 0xfffd
	v_dual_cndmask_b32 v8, v122, v8 :: v_dual_lshlrev_b32 v5, 2, v5
	s_wait_dscnt 0x0
	v_dual_max_num_f32 v1, v1, v1 :: v_dual_lshlrev_b32 v8, 2, v8
	s_delay_alu instid0(VALU_DEP_1) | instskip(SKIP_3) | instid1(VALU_DEP_1)
	v_max_num_f32_e32 v0, v0, v1
	ds_bpermute_b32 v1, v4, v0
	s_wait_dscnt 0x0
	v_max_num_f32_e32 v1, v1, v1
	v_max_num_f32_e32 v0, v0, v1
	ds_bpermute_b32 v1, v5, v0
	s_wait_dscnt 0x0
	v_max_num_f32_e32 v1, v1, v1
	s_delay_alu instid0(VALU_DEP_1) | instskip(SKIP_3) | instid1(VALU_DEP_1)
	v_max_num_f32_e32 v0, v0, v1
	ds_bpermute_b32 v1, v6, v0
	s_wait_dscnt 0x0
	v_max_num_f32_e32 v1, v1, v1
	v_max_num_f32_e32 v0, v0, v1
	ds_bpermute_b32 v1, v8, v0
	s_wait_dscnt 0x0
	v_max_num_f32_e32 v1, v1, v1
	s_delay_alu instid0(VALU_DEP_1) | instskip(NEXT) | instid1(VALU_DEP_1)
	v_max_num_f32_e32 v0, v0, v1
	v_sub_f32_e32 v1, v56, v0
	s_delay_alu instid0(VALU_DEP_1) | instskip(SKIP_1) | instid1(VALU_DEP_2)
	v_mul_f32_e32 v9, 0x3fb8aa3b, v1
	v_cmp_ngt_f32_e32 vcc_lo, 0xc2ce8ed0, v1
	v_fma_f32 v10, 0x3fb8aa3b, v1, -v9
	v_rndne_f32_e32 v11, v9
	s_delay_alu instid0(VALU_DEP_2) | instskip(NEXT) | instid1(VALU_DEP_2)
	v_fmamk_f32 v10, v1, 0x32a5705f, v10
	v_sub_f32_e32 v9, v9, v11
	s_delay_alu instid0(VALU_DEP_1) | instskip(SKIP_1) | instid1(VALU_DEP_2)
	v_add_f32_e32 v9, v9, v10
	v_cvt_i32_f32_e32 v10, v11
	v_exp_f32_e32 v9, v9
	s_delay_alu instid0(TRANS32_DEP_1) | instskip(SKIP_1) | instid1(VALU_DEP_1)
	v_ldexp_f32 v9, v9, v10
	s_wait_alu 0xfffd
	v_cndmask_b32_e32 v9, 0, v9, vcc_lo
	v_cmp_nlt_f32_e32 vcc_lo, 0x42b17218, v1
	s_wait_alu 0xfffd
	s_delay_alu instid0(VALU_DEP_2) | instskip(NEXT) | instid1(VALU_DEP_1)
	v_cndmask_b32_e32 v11, 0x7f800000, v9, vcc_lo
	v_mul_f32_e32 v1, v70, v11
	ds_bpermute_b32 v1, v3, v1
	s_wait_dscnt 0x0
	v_fmac_f32_e32 v1, v70, v11
	ds_bpermute_b32 v9, v4, v1
	s_wait_dscnt 0x0
	v_add_f32_e32 v1, v1, v9
	ds_bpermute_b32 v9, v5, v1
	s_wait_dscnt 0x0
	v_add_f32_e32 v1, v1, v9
	ds_load_b64 v[9:10], v213
	ds_bpermute_b32 v12, v6, v1
	s_wait_dscnt 0x0
	v_add_f32_e32 v1, v1, v12
	v_cvt_f16_f32_e32 v12, v11
	ds_bpermute_b32 v11, v8, v1
	v_and_b32_e32 v12, 0xffff, v12
	s_delay_alu instid0(VALU_DEP_1) | instskip(NEXT) | instid1(VALU_DEP_1)
	v_mul_u32_u24_e32 v13, 0x10001, v12
	v_pk_mul_f16 v12, v9, v13
	v_pk_mul_f16 v13, v10, v13
	v_add_nc_u32_e32 v10, v31, v14
	v_lshl_add_u32 v9, v30, 2, 0x500
	ds_store_b64 v213, v[12:13]
	ds_store_b64 v10, v[12:13]
	s_and_saveexec_b32 s1, s0
	s_cbranch_execz .LBB22_56
; %bb.55:
	s_wait_dscnt 0x2
	v_add_f32_e32 v1, v1, v11
	ds_store_b32 v9, v1
.LBB22_56:
	s_wait_alu 0xfffe
	s_or_b32 exec_lo, exec_lo, s1
	s_wait_loadcnt_dscnt 0x0
	s_barrier_signal -1
	s_barrier_wait -1
	global_inv scope:SCOPE_SE
	scratch_load_b32 v14, off, off          ; 4-byte Folded Reload
	ds_load_b32 v1, v2
	s_wait_kmcnt 0x0
	s_cmp_eq_u32 s4, 1
	s_mul_i32 s2, s26, s24
	s_cselect_b32 s1, -1, 0
	s_add_co_i32 s2, s30, s2
	s_wait_loadcnt 0x0
	ds_load_u16 v11, v14
	ds_load_u16 v12, v14 offset:256
	ds_load_u16 v13, v14 offset:512
	;; [unrolled: 1-line block ×3, first 2 shown]
	s_wait_dscnt 0x4
	ds_bpermute_b32 v15, v3, v1
	s_mul_i32 s2, s2, s25
	s_delay_alu instid0(SALU_CYCLE_1) | instskip(NEXT) | instid1(SALU_CYCLE_1)
	s_add_co_i32 s2, s2, s28
	s_mul_i32 s3, s4, s2
	s_delay_alu instid0(SALU_CYCLE_1)
	s_add_co_i32 s3, s3, s14
	s_wait_dscnt 0x4
	v_cvt_f32_f16_e32 v11, v11
	s_wait_dscnt 0x3
	v_cvt_f32_f16_e32 v12, v12
	;; [unrolled: 2-line block ×3, first 2 shown]
	s_wait_dscnt 0x0
	v_add_f32_e32 v1, v1, v15
	v_add_f32_e32 v11, 0, v11
	ds_bpermute_b32 v15, v4, v1
	s_wait_dscnt 0x0
	v_add_f32_e32 v1, v1, v15
	ds_bpermute_b32 v15, v5, v1
	s_wait_dscnt 0x0
	v_add_f32_e32 v1, v1, v15
	ds_bpermute_b32 v15, v6, v1
	s_wait_dscnt 0x0
	v_add_f32_e32 v1, v1, v15
	ds_bpermute_b32 v15, v8, v1
	v_add_f32_e32 v11, v11, v12
	v_cvt_f32_f16_e32 v12, v14
	s_wait_dscnt 0x0
	s_delay_alu instid0(VALU_DEP_2) | instskip(NEXT) | instid1(VALU_DEP_1)
	v_dual_add_f32 v70, v1, v15 :: v_dual_add_f32 v11, v11, v13
	v_add_f32_e32 v13, v11, v12
	s_delay_alu instid0(VALU_DEP_1) | instskip(SKIP_1) | instid1(VALU_DEP_2)
	v_div_scale_f32 v1, null, v70, v70, v13
	v_div_scale_f32 v14, vcc_lo, v13, v70, v13
	v_rcp_f32_e32 v11, v1
	s_delay_alu instid0(TRANS32_DEP_1) | instskip(NEXT) | instid1(VALU_DEP_1)
	v_fma_f32 v12, -v1, v11, 1.0
	v_fmac_f32_e32 v11, v12, v11
	s_delay_alu instid0(VALU_DEP_1) | instskip(NEXT) | instid1(VALU_DEP_1)
	v_mul_f32_e32 v12, v14, v11
	v_fma_f32 v15, -v1, v12, v14
	s_delay_alu instid0(VALU_DEP_1) | instskip(NEXT) | instid1(VALU_DEP_1)
	v_fmac_f32_e32 v12, v15, v11
	v_fma_f32 v1, -v1, v12, v14
	s_wait_alu 0xfffd
	s_delay_alu instid0(VALU_DEP_1) | instskip(SKIP_3) | instid1(VALU_DEP_3)
	v_div_fmas_f32 v1, v1, v11, v12
	v_mov_b32_e32 v12, 0
	v_lshl_or_b32 v11, s3, 7, v20
	s_or_b32 s3, s30, 1
	v_div_fixup_f32 v1, v1, v70, v13
	s_wait_alu 0xfffe
	s_cmp_ge_i32 s3, s24
	v_lshlrev_b64_e32 v[11:12], 2, v[11:12]
	s_delay_alu instid0(VALU_DEP_2) | instskip(SKIP_1) | instid1(VALU_DEP_3)
	v_cndmask_b32_e64 v13, v13, v1, s1
	v_mov_b32_e32 v1, v57
	v_add_co_u32 v11, vcc_lo, s16, v11
	s_wait_alu 0xfffd
	s_delay_alu instid0(VALU_DEP_4)
	v_add_co_ci_u32_e64 v12, null, s17, v12, vcc_lo
	global_store_b32 v[11:12], v13, off
	s_wait_storecnt 0x0
	s_barrier_signal -1
	s_barrier_wait -1
	global_inv scope:SCOPE_SE
	s_cbranch_scc1 .LBB22_60
; %bb.57:
	ds_load_b32 v1, v7 offset:128
	s_wait_dscnt 0x0
	ds_bpermute_b32 v7, v3, v1
	v_max_num_f32_e32 v1, v1, v1
	s_wait_dscnt 0x0
	v_max_num_f32_e32 v7, v7, v7
	s_delay_alu instid0(VALU_DEP_1) | instskip(SKIP_3) | instid1(VALU_DEP_1)
	v_max_num_f32_e32 v1, v1, v7
	ds_bpermute_b32 v7, v4, v1
	s_wait_dscnt 0x0
	v_max_num_f32_e32 v7, v7, v7
	v_max_num_f32_e32 v1, v1, v7
	ds_bpermute_b32 v7, v5, v1
	s_wait_dscnt 0x0
	v_max_num_f32_e32 v7, v7, v7
	s_delay_alu instid0(VALU_DEP_1) | instskip(SKIP_3) | instid1(VALU_DEP_1)
	v_max_num_f32_e32 v1, v1, v7
	ds_bpermute_b32 v7, v6, v1
	s_wait_dscnt 0x0
	v_max_num_f32_e32 v7, v7, v7
	v_max_num_f32_e32 v1, v1, v7
	ds_bpermute_b32 v7, v8, v1
	s_wait_dscnt 0x0
	v_max_num_f32_e32 v7, v7, v7
	s_delay_alu instid0(VALU_DEP_1) | instskip(NEXT) | instid1(VALU_DEP_1)
	v_max_num_f32_e32 v1, v1, v7
	v_sub_f32_e32 v7, v57, v1
	s_delay_alu instid0(VALU_DEP_1) | instskip(SKIP_1) | instid1(VALU_DEP_2)
	v_mul_f32_e32 v11, 0x3fb8aa3b, v7
	v_cmp_ngt_f32_e32 vcc_lo, 0xc2ce8ed0, v7
	v_fma_f32 v12, 0x3fb8aa3b, v7, -v11
	v_rndne_f32_e32 v13, v11
	s_delay_alu instid0(VALU_DEP_2) | instskip(NEXT) | instid1(VALU_DEP_2)
	v_fmamk_f32 v12, v7, 0x32a5705f, v12
	v_sub_f32_e32 v11, v11, v13
	s_delay_alu instid0(VALU_DEP_1) | instskip(SKIP_1) | instid1(VALU_DEP_2)
	v_add_f32_e32 v11, v11, v12
	v_cvt_i32_f32_e32 v12, v13
	v_exp_f32_e32 v11, v11
	s_delay_alu instid0(TRANS32_DEP_1) | instskip(SKIP_1) | instid1(VALU_DEP_1)
	v_ldexp_f32 v11, v11, v12
	s_wait_alu 0xfffd
	v_cndmask_b32_e32 v11, 0, v11, vcc_lo
	v_cmp_nlt_f32_e32 vcc_lo, 0x42b17218, v7
	s_wait_alu 0xfffd
	s_delay_alu instid0(VALU_DEP_2) | instskip(NEXT) | instid1(VALU_DEP_1)
	v_cndmask_b32_e32 v11, 0x7f800000, v11, vcc_lo
	v_mul_f32_e32 v7, v69, v11
	ds_bpermute_b32 v7, v3, v7
	s_wait_dscnt 0x0
	v_fmac_f32_e32 v7, v69, v11
	ds_bpermute_b32 v12, v4, v7
	s_wait_dscnt 0x0
	v_add_f32_e32 v7, v7, v12
	ds_bpermute_b32 v12, v5, v7
	s_wait_dscnt 0x0
	v_add_f32_e32 v7, v7, v12
	ds_load_b64 v[12:13], v213 offset:8
	ds_bpermute_b32 v14, v6, v7
	s_wait_dscnt 0x0
	v_add_f32_e32 v7, v7, v14
	v_cvt_f16_f32_e32 v14, v11
	ds_bpermute_b32 v11, v8, v7
	v_and_b32_e32 v14, 0xffff, v14
	s_delay_alu instid0(VALU_DEP_1) | instskip(NEXT) | instid1(VALU_DEP_1)
	v_mul_u32_u24_e32 v14, 0x10001, v14
	v_pk_mul_f16 v12, v12, v14
	v_pk_mul_f16 v13, v13, v14
	ds_store_b64 v213, v[12:13] offset:8
	ds_store_b64 v10, v[12:13]
	s_and_saveexec_b32 s3, s0
	s_cbranch_execz .LBB22_59
; %bb.58:
	s_wait_dscnt 0x2
	v_add_f32_e32 v7, v7, v11
	ds_store_b32 v9, v7 offset:128
.LBB22_59:
	s_wait_alu 0xfffe
	s_or_b32 exec_lo, exec_lo, s3
	s_wait_loadcnt_dscnt 0x0
	s_barrier_signal -1
	s_barrier_wait -1
	global_inv scope:SCOPE_SE
	scratch_load_b32 v11, off, off th:TH_LOAD_LU ; 4-byte Folded Reload
	ds_load_b32 v2, v2 offset:128
	s_add_co_i32 s2, s2, s25
	s_wait_loadcnt 0x0
	ds_load_u16 v7, v11
	ds_load_u16 v9, v11 offset:256
	ds_load_u16 v10, v11 offset:512
	;; [unrolled: 1-line block ×3, first 2 shown]
	s_wait_dscnt 0x4
	ds_bpermute_b32 v3, v3, v2
	s_wait_alu 0xfffe
	s_mul_i32 s0, s4, s2
	s_wait_alu 0xfffe
	s_add_co_i32 s0, s0, s14
	s_wait_dscnt 0x0
	v_add_f32_e32 v2, v2, v3
	ds_bpermute_b32 v3, v4, v2
	s_wait_dscnt 0x0
	v_add_f32_e32 v2, v2, v3
	ds_bpermute_b32 v3, v5, v2
	v_cvt_f32_f16_e32 v5, v9
	s_wait_dscnt 0x0
	v_add_f32_e32 v2, v2, v3
	ds_bpermute_b32 v3, v6, v2
	v_cvt_f32_f16_e32 v6, v10
	s_wait_dscnt 0x0
	v_add_f32_e32 v2, v2, v3
	v_cvt_f32_f16_e32 v3, v7
	ds_bpermute_b32 v4, v8, v2
	v_add_f32_e32 v3, 0, v3
	s_delay_alu instid0(VALU_DEP_1) | instskip(SKIP_1) | instid1(VALU_DEP_2)
	v_add_f32_e32 v3, v3, v5
	v_cvt_f32_f16_e32 v5, v11
	v_add_f32_e32 v3, v3, v6
	s_delay_alu instid0(VALU_DEP_1) | instskip(SKIP_2) | instid1(VALU_DEP_1)
	v_add_f32_e32 v5, v3, v5
	s_wait_dscnt 0x0
	v_add_f32_e32 v69, v2, v4
	v_div_scale_f32 v3, null, v69, v69, v5
	v_div_scale_f32 v6, vcc_lo, v5, v69, v5
	s_delay_alu instid0(VALU_DEP_2) | instskip(NEXT) | instid1(TRANS32_DEP_1)
	v_rcp_f32_e32 v4, v3
	v_fma_f32 v2, -v3, v4, 1.0
	s_delay_alu instid0(VALU_DEP_1) | instskip(NEXT) | instid1(VALU_DEP_1)
	v_fmac_f32_e32 v4, v2, v4
	v_mul_f32_e32 v7, v6, v4
	s_delay_alu instid0(VALU_DEP_1) | instskip(NEXT) | instid1(VALU_DEP_1)
	v_fma_f32 v2, -v3, v7, v6
	v_fmac_f32_e32 v7, v2, v4
	s_wait_alu 0xfffe
	v_lshl_or_b32 v2, s0, 7, v20
	s_delay_alu instid0(VALU_DEP_2) | instskip(SKIP_2) | instid1(VALU_DEP_2)
	v_fma_f32 v6, -v3, v7, v6
	v_mov_b32_e32 v3, 0
	s_wait_alu 0xfffd
	v_div_fmas_f32 v4, v6, v4, v7
	s_delay_alu instid0(VALU_DEP_2) | instskip(NEXT) | instid1(VALU_DEP_2)
	v_lshlrev_b64_e32 v[2:3], 2, v[2:3]
	v_div_fixup_f32 v4, v4, v69, v5
	s_delay_alu instid0(VALU_DEP_2) | instskip(SKIP_1) | instid1(VALU_DEP_3)
	v_add_co_u32 v2, vcc_lo, s16, v2
	s_wait_alu 0xfffd
	v_add_co_ci_u32_e64 v3, null, s17, v3, vcc_lo
	s_delay_alu instid0(VALU_DEP_3)
	v_cndmask_b32_e64 v4, v5, v4, s1
	global_store_b32 v[2:3], v4, off
.LBB22_60:
	v_dual_mov_b32 v57, v1 :: v_dual_mov_b32 v56, v0
.LBB22_61:
	v_or_b32_e32 v0, s30, v217
	v_cmp_gt_u32_e32 vcc_lo, 2, v20
	s_wait_kmcnt 0x0
	s_cmp_lg_u32 s4, 1
	s_cselect_b32 s1, -1, 0
	v_cmp_gt_i32_e64 s0, s24, v0
	s_wait_alu 0xfffe
	s_and_b32 s1, s1, vcc_lo
	s_wait_alu 0xfffe
	s_and_b32 s0, s1, s0
	s_wait_alu 0xfffe
	s_and_saveexec_b32 s1, s0
	s_cbranch_execz .LBB22_63
; %bb.62:
	v_mad_co_u64_u32 v[0:1], null, s26, s24, v[0:1]
	v_cmp_eq_u32_e32 vcc_lo, 1, v20
	s_wait_alu 0xfffd
	v_cndmask_b32_e32 v3, v70, v69, vcc_lo
	s_delay_alu instid0(VALU_DEP_3) | instskip(SKIP_1) | instid1(VALU_DEP_2)
	v_mad_co_u64_u32 v[0:1], null, v0, s25, s[28:29]
	v_cndmask_b32_e32 v2, v56, v57, vcc_lo
	v_mad_co_u64_u32 v[0:1], null, s4, v0, s[14:15]
	v_mov_b32_e32 v1, 0
	s_delay_alu instid0(VALU_DEP_1) | instskip(NEXT) | instid1(VALU_DEP_1)
	v_lshlrev_b64_e32 v[0:1], 3, v[0:1]
	v_add_co_u32 v0, vcc_lo, s18, v0
	s_wait_alu 0xfffd
	s_delay_alu instid0(VALU_DEP_2)
	v_add_co_ci_u32_e64 v1, null, s19, v1, vcc_lo
	global_store_b64 v[0:1], v[2:3], off
.LBB22_63:
	s_nop 0
	s_sendmsg sendmsg(MSG_DEALLOC_VGPRS)
	s_endpgm
	.section	.rodata,"a",@progbits
	.p2align	6, 0x0
	.amdhsa_kernel _ZL18flash_attn_ext_vecILi128ELi2EL9ggml_type3ELS0_2ELb1EEvPKcS2_S2_S2_S2_PKiPfP15HIP_vector_typeIfLj2EEffffjfiS6_IjLj3EEiiiiiiiiiiiliiliiiiil
		.amdhsa_group_segment_fixed_size 3584
		.amdhsa_private_segment_fixed_size 140
		.amdhsa_kernarg_size 464
		.amdhsa_user_sgpr_count 4
		.amdhsa_user_sgpr_dispatch_ptr 1
		.amdhsa_user_sgpr_queue_ptr 0
		.amdhsa_user_sgpr_kernarg_segment_ptr 1
		.amdhsa_user_sgpr_dispatch_id 0
		.amdhsa_user_sgpr_private_segment_size 0
		.amdhsa_wavefront_size32 1
		.amdhsa_uses_dynamic_stack 0
		.amdhsa_enable_private_segment 1
		.amdhsa_system_sgpr_workgroup_id_x 1
		.amdhsa_system_sgpr_workgroup_id_y 1
		.amdhsa_system_sgpr_workgroup_id_z 1
		.amdhsa_system_sgpr_workgroup_info 0
		.amdhsa_system_vgpr_workitem_id 2
		.amdhsa_next_free_vgpr 256
		.amdhsa_next_free_sgpr 56
		.amdhsa_reserve_vcc 1
		.amdhsa_float_round_mode_32 0
		.amdhsa_float_round_mode_16_64 0
		.amdhsa_float_denorm_mode_32 3
		.amdhsa_float_denorm_mode_16_64 3
		.amdhsa_fp16_overflow 0
		.amdhsa_workgroup_processor_mode 1
		.amdhsa_memory_ordered 1
		.amdhsa_forward_progress 1
		.amdhsa_inst_pref_size 242
		.amdhsa_round_robin_scheduling 0
		.amdhsa_exception_fp_ieee_invalid_op 0
		.amdhsa_exception_fp_denorm_src 0
		.amdhsa_exception_fp_ieee_div_zero 0
		.amdhsa_exception_fp_ieee_overflow 0
		.amdhsa_exception_fp_ieee_underflow 0
		.amdhsa_exception_fp_ieee_inexact 0
		.amdhsa_exception_int_div_zero 0
	.end_amdhsa_kernel
	.section	.text._ZL18flash_attn_ext_vecILi128ELi2EL9ggml_type3ELS0_2ELb1EEvPKcS2_S2_S2_S2_PKiPfP15HIP_vector_typeIfLj2EEffffjfiS6_IjLj3EEiiiiiiiiiiiliiliiiiil,"axG",@progbits,_ZL18flash_attn_ext_vecILi128ELi2EL9ggml_type3ELS0_2ELb1EEvPKcS2_S2_S2_S2_PKiPfP15HIP_vector_typeIfLj2EEffffjfiS6_IjLj3EEiiiiiiiiiiiliiliiiiil,comdat
.Lfunc_end22:
	.size	_ZL18flash_attn_ext_vecILi128ELi2EL9ggml_type3ELS0_2ELb1EEvPKcS2_S2_S2_S2_PKiPfP15HIP_vector_typeIfLj2EEffffjfiS6_IjLj3EEiiiiiiiiiiiliiliiiiil, .Lfunc_end22-_ZL18flash_attn_ext_vecILi128ELi2EL9ggml_type3ELS0_2ELb1EEvPKcS2_S2_S2_S2_PKiPfP15HIP_vector_typeIfLj2EEffffjfiS6_IjLj3EEiiiiiiiiiiiliiliiiiil
                                        ; -- End function
	.set _ZL18flash_attn_ext_vecILi128ELi2EL9ggml_type3ELS0_2ELb1EEvPKcS2_S2_S2_S2_PKiPfP15HIP_vector_typeIfLj2EEffffjfiS6_IjLj3EEiiiiiiiiiiiliiliiiiil.num_vgpr, 256
	.set _ZL18flash_attn_ext_vecILi128ELi2EL9ggml_type3ELS0_2ELb1EEvPKcS2_S2_S2_S2_PKiPfP15HIP_vector_typeIfLj2EEffffjfiS6_IjLj3EEiiiiiiiiiiiliiliiiiil.num_agpr, 0
	.set _ZL18flash_attn_ext_vecILi128ELi2EL9ggml_type3ELS0_2ELb1EEvPKcS2_S2_S2_S2_PKiPfP15HIP_vector_typeIfLj2EEffffjfiS6_IjLj3EEiiiiiiiiiiiliiliiiiil.numbered_sgpr, 56
	.set _ZL18flash_attn_ext_vecILi128ELi2EL9ggml_type3ELS0_2ELb1EEvPKcS2_S2_S2_S2_PKiPfP15HIP_vector_typeIfLj2EEffffjfiS6_IjLj3EEiiiiiiiiiiiliiliiiiil.num_named_barrier, 0
	.set _ZL18flash_attn_ext_vecILi128ELi2EL9ggml_type3ELS0_2ELb1EEvPKcS2_S2_S2_S2_PKiPfP15HIP_vector_typeIfLj2EEffffjfiS6_IjLj3EEiiiiiiiiiiiliiliiiiil.private_seg_size, 140
	.set _ZL18flash_attn_ext_vecILi128ELi2EL9ggml_type3ELS0_2ELb1EEvPKcS2_S2_S2_S2_PKiPfP15HIP_vector_typeIfLj2EEffffjfiS6_IjLj3EEiiiiiiiiiiiliiliiiiil.uses_vcc, 1
	.set _ZL18flash_attn_ext_vecILi128ELi2EL9ggml_type3ELS0_2ELb1EEvPKcS2_S2_S2_S2_PKiPfP15HIP_vector_typeIfLj2EEffffjfiS6_IjLj3EEiiiiiiiiiiiliiliiiiil.uses_flat_scratch, 1
	.set _ZL18flash_attn_ext_vecILi128ELi2EL9ggml_type3ELS0_2ELb1EEvPKcS2_S2_S2_S2_PKiPfP15HIP_vector_typeIfLj2EEffffjfiS6_IjLj3EEiiiiiiiiiiiliiliiiiil.has_dyn_sized_stack, 0
	.set _ZL18flash_attn_ext_vecILi128ELi2EL9ggml_type3ELS0_2ELb1EEvPKcS2_S2_S2_S2_PKiPfP15HIP_vector_typeIfLj2EEffffjfiS6_IjLj3EEiiiiiiiiiiiliiliiiiil.has_recursion, 0
	.set _ZL18flash_attn_ext_vecILi128ELi2EL9ggml_type3ELS0_2ELb1EEvPKcS2_S2_S2_S2_PKiPfP15HIP_vector_typeIfLj2EEffffjfiS6_IjLj3EEiiiiiiiiiiiliiliiiiil.has_indirect_call, 0
	.section	.AMDGPU.csdata,"",@progbits
; Kernel info:
; codeLenInByte = 30932
; TotalNumSgprs: 58
; NumVgprs: 256
; ScratchSize: 140
; MemoryBound: 0
; FloatMode: 240
; IeeeMode: 1
; LDSByteSize: 3584 bytes/workgroup (compile time only)
; SGPRBlocks: 0
; VGPRBlocks: 31
; NumSGPRsForWavesPerEU: 58
; NumVGPRsForWavesPerEU: 256
; Occupancy: 5
; WaveLimiterHint : 0
; COMPUTE_PGM_RSRC2:SCRATCH_EN: 1
; COMPUTE_PGM_RSRC2:USER_SGPR: 4
; COMPUTE_PGM_RSRC2:TRAP_HANDLER: 0
; COMPUTE_PGM_RSRC2:TGID_X_EN: 1
; COMPUTE_PGM_RSRC2:TGID_Y_EN: 1
; COMPUTE_PGM_RSRC2:TGID_Z_EN: 1
; COMPUTE_PGM_RSRC2:TIDIG_COMP_CNT: 2
	.section	.text._ZL18flash_attn_ext_vecILi256ELi1EL9ggml_type3ELS0_2ELb0EEvPKcS2_S2_S2_S2_PKiPfP15HIP_vector_typeIfLj2EEffffjfiS6_IjLj3EEiiiiiiiiiiiliiliiiiil,"axG",@progbits,_ZL18flash_attn_ext_vecILi256ELi1EL9ggml_type3ELS0_2ELb0EEvPKcS2_S2_S2_S2_PKiPfP15HIP_vector_typeIfLj2EEffffjfiS6_IjLj3EEiiiiiiiiiiiliiliiiiil,comdat
	.globl	_ZL18flash_attn_ext_vecILi256ELi1EL9ggml_type3ELS0_2ELb0EEvPKcS2_S2_S2_S2_PKiPfP15HIP_vector_typeIfLj2EEffffjfiS6_IjLj3EEiiiiiiiiiiiliiliiiiil ; -- Begin function _ZL18flash_attn_ext_vecILi256ELi1EL9ggml_type3ELS0_2ELb0EEvPKcS2_S2_S2_S2_PKiPfP15HIP_vector_typeIfLj2EEffffjfiS6_IjLj3EEiiiiiiiiiiiliiliiiiil
	.p2align	8
	.type	_ZL18flash_attn_ext_vecILi256ELi1EL9ggml_type3ELS0_2ELb0EEvPKcS2_S2_S2_S2_PKiPfP15HIP_vector_typeIfLj2EEffffjfiS6_IjLj3EEiiiiiiiiiiiliiliiiiil,@function
_ZL18flash_attn_ext_vecILi256ELi1EL9ggml_type3ELS0_2ELb0EEvPKcS2_S2_S2_S2_PKiPfP15HIP_vector_typeIfLj2EEffffjfiS6_IjLj3EEiiiiiiiiiiiliiliiiiil: ; @_ZL18flash_attn_ext_vecILi256ELi1EL9ggml_type3ELS0_2ELb0EEvPKcS2_S2_S2_S2_PKiPfP15HIP_vector_typeIfLj2EEffffjfiS6_IjLj3EEiiiiiiiiiiiliiliiiiil
; %bb.0:
	s_clause 0x2
	s_load_b64 s[88:89], s[0:1], 0x64
	s_load_b64 s[94:95], s[0:1], 0x80
	;; [unrolled: 1-line block ×3, first 2 shown]
	s_lshr_b32 s4, ttmp7, 16
	s_mov_b32 s15, 0
	s_wait_kmcnt 0x0
	s_cvt_f32_u32 s2, s89
	s_sub_co_i32 s3, 0, s89
	s_delay_alu instid0(SALU_CYCLE_2) | instskip(NEXT) | instid1(TRANS32_DEP_1)
	v_rcp_iflag_f32_e32 v1, s2
	v_readfirstlane_b32 s2, v1
	s_mul_f32 s2, s2, 0x4f7ffffe
	s_wait_alu 0xfffe
	s_delay_alu instid0(SALU_CYCLE_2) | instskip(SKIP_1) | instid1(SALU_CYCLE_2)
	s_cvt_u32_f32 s2, s2
	s_wait_alu 0xfffe
	s_mul_i32 s3, s3, s2
	s_wait_alu 0xfffe
	s_mul_hi_u32 s3, s2, s3
	s_wait_alu 0xfffe
	s_add_co_i32 s2, s2, s3
	s_wait_alu 0xfffe
	s_mul_hi_u32 s2, s4, s2
	s_wait_alu 0xfffe
	s_mul_i32 s3, s2, s89
	s_add_co_i32 s5, s2, 1
	s_wait_alu 0xfffe
	s_sub_co_i32 s3, s4, s3
	s_wait_alu 0xfffe
	s_sub_co_i32 s8, s3, s89
	s_cmp_ge_u32 s3, s89
	s_cselect_b32 s2, s5, s2
	s_cselect_b32 s3, s8, s3
	s_wait_alu 0xfffe
	s_add_co_i32 s5, s2, 1
	s_cmp_ge_u32 s3, s89
	s_cselect_b32 s90, s5, s2
	s_abs_i32 s2, s95
	s_abs_i32 s9, s89
	s_wait_alu 0xfffe
	s_cvt_f32_u32 s3, s2
	s_sub_co_i32 s5, 0, s2
	s_xor_b32 s8, s89, s95
	s_wait_alu 0xfffe
	v_rcp_iflag_f32_e32 v1, s3
	s_ashr_i32 s8, s8, 31
	s_delay_alu instid0(TRANS32_DEP_1) | instskip(SKIP_2) | instid1(SALU_CYCLE_2)
	v_readfirstlane_b32 s3, v1
	s_mul_f32 s3, s3, 0x4f7ffffe
	s_wait_alu 0xfffe
	s_cvt_u32_f32 s3, s3
	s_wait_alu 0xfffe
	s_delay_alu instid0(SALU_CYCLE_2) | instskip(NEXT) | instid1(SALU_CYCLE_1)
	s_mul_i32 s5, s5, s3
	s_mul_hi_u32 s5, s3, s5
	s_delay_alu instid0(SALU_CYCLE_1)
	s_add_co_i32 s3, s3, s5
	s_mul_i32 s5, s90, s89
	s_wait_alu 0xfffe
	s_mul_hi_u32 s3, s9, s3
	s_sub_co_i32 s92, s4, s5
	s_wait_alu 0xfffe
	s_mul_i32 s10, s3, s2
	s_add_co_i32 s5, s3, 1
	s_sub_co_i32 s4, s9, s10
	s_delay_alu instid0(SALU_CYCLE_1)
	s_sub_co_i32 s9, s4, s2
	s_cmp_ge_u32 s4, s2
	s_cselect_b32 s3, s5, s3
	s_cselect_b32 s4, s9, s4
	s_wait_alu 0xfffe
	s_add_co_i32 s5, s3, 1
	s_cmp_ge_u32 s4, s2
	s_cselect_b32 s2, s5, s3
	s_abs_i32 s20, s6
	s_wait_alu 0xfffe
	s_xor_b32 s2, s2, s8
	s_sub_co_i32 s5, 0, s20
	s_wait_alu 0xfffe
	s_sub_co_i32 s22, s2, s8
	s_cvt_f32_u32 s2, s20
	s_abs_i32 s21, s22
	s_load_b128 s[8:11], s[0:1], 0x40
	s_cvt_f32_u32 s3, s21
	v_rcp_iflag_f32_e32 v1, s2
	s_load_b32 s2, s[0:1], 0x50
	s_sub_co_i32 s6, 0, s21
	v_rcp_iflag_f32_e32 v2, s3
	s_abs_i32 s14, s92
	s_abs_i32 s12, s90
	s_delay_alu instid0(TRANS32_DEP_2) | instskip(SKIP_1) | instid1(TRANS32_DEP_1)
	v_readfirstlane_b32 s3, v1
	v_mov_b32_e32 v1, 1.0
	v_readfirstlane_b32 s4, v2
	s_mul_f32 s3, s3, 0x4f7ffffe
	scratch_store_b32 off, v1, off offset:468 ; 4-byte Folded Spill
	s_mul_f32 s4, s4, 0x4f7ffffe
	s_wait_alu 0xfffe
	s_cvt_u32_f32 s3, s3
	s_delay_alu instid0(SALU_CYCLE_1) | instskip(SKIP_1) | instid1(SALU_CYCLE_1)
	s_cvt_u32_f32 s4, s4
	s_wait_alu 0xfffe
	s_mul_i32 s5, s5, s3
	s_delay_alu instid0(SALU_CYCLE_1) | instskip(SKIP_3) | instid1(SALU_CYCLE_1)
	s_mul_hi_u32 s5, s3, s5
	s_mul_i32 s6, s6, s4
	s_add_co_i32 s16, s3, s5
	s_mul_hi_u32 s6, s4, s6
	s_add_co_i32 s18, s4, s6
	s_wait_kmcnt 0x0
	s_cmp_le_f32 s9, 0
	s_cbranch_scc1 .LBB23_2
; %bb.1:
	v_sub_co_u32 v1, s2, s92, s2
	s_and_b32 s4, s2, exec_lo
	s_cselect_b32 s4, s10, s11
	s_add_co_i32 s5, s92, 1
	v_readfirstlane_b32 s3, v1
	s_lshl_b32 s3, s3, 1
	s_wait_alu 0xfffe
	s_or_b32 s3, s3, 1
	s_and_b32 s2, s2, exec_lo
	s_wait_alu 0xfffe
	s_cselect_b32 s2, s5, s3
	s_cmp_neq_f32 s4, 1.0
	s_wait_alu 0xfffe
	s_cvt_f32_i32 s2, s2
	s_wait_alu 0xfffe
	s_delay_alu instid0(SALU_CYCLE_2)
	s_cselect_b32 s3, s2, 1.0
	s_wait_alu 0xfffe
	s_cmp_neq_f32 s3, 0
	s_cselect_b32 s2, s4, 1.0
	s_wait_alu 0xfffe
	v_frexp_mant_f32_e64 v1, |s2|
	s_delay_alu instid0(VALU_DEP_1) | instskip(SKIP_3) | instid1(SALU_CYCLE_1)
	v_readfirstlane_b32 s4, v1
	v_cvt_f64_f32_e64 v[1:2], |s2|
	s_cmp_lt_f32 s4, 0x3f2aaaab
	s_cselect_b32 s5, -1, 0
	s_and_b32 s6, s5, exec_lo
	s_cselect_b32 s6, 2.0, 1.0
	s_delay_alu instid0(SALU_CYCLE_1) | instskip(NEXT) | instid1(SALU_CYCLE_3)
	s_mul_f32 s4, s4, s6
	s_add_f32 s6, s4, 1.0
	s_add_f32 s10, s4, -1.0
	s_delay_alu instid0(SALU_CYCLE_2) | instskip(SKIP_1) | instid1(SALU_CYCLE_3)
	v_s_rcp_f32 s9, s6
	s_add_f32 s17, s6, -1.0
	s_sub_f32 s4, s4, s17
	s_delay_alu instid0(TRANS32_DEP_1) | instskip(NEXT) | instid1(SALU_CYCLE_3)
	s_mul_f32 s11, s10, s9
	s_mul_f32 s13, s6, s11
	s_delay_alu instid0(SALU_CYCLE_3) | instskip(NEXT) | instid1(VALU_DEP_1)
	s_xor_b32 s19, s13, 0x80000000
	v_frexp_exp_i32_f64_e32 v1, v[1:2]
	s_fmac_f32 s19, s11, s6
	s_delay_alu instid0(SALU_CYCLE_3) | instskip(NEXT) | instid1(SALU_CYCLE_3)
	s_fmac_f32 s19, s11, s4
	s_add_f32 s4, s13, s19
	s_delay_alu instid0(SALU_CYCLE_3) | instskip(SKIP_2) | instid1(SALU_CYCLE_1)
	s_sub_f32 s6, s10, s4
	s_sub_f32 s13, s4, s13
	s_wait_alu 0xfffe
	s_sub_f32 s10, s10, s6
	s_delay_alu instid0(SALU_CYCLE_1) | instskip(NEXT) | instid1(SALU_CYCLE_2)
	s_sub_f32 s13, s13, s19
	s_sub_f32 s4, s10, s4
	s_delay_alu instid0(SALU_CYCLE_3) | instskip(SKIP_1) | instid1(SALU_CYCLE_2)
	s_add_f32 s4, s13, s4
	s_mov_b32 s13, 0x3e76c4e1
	s_add_f32 s4, s6, s4
	s_delay_alu instid0(SALU_CYCLE_3) | instskip(NEXT) | instid1(SALU_CYCLE_3)
	s_mul_f32 s4, s9, s4
	s_add_f32 s6, s11, s4
	s_wait_alu 0xfffe
	s_delay_alu instid0(SALU_CYCLE_2) | instskip(SKIP_1) | instid1(SALU_CYCLE_2)
	s_sub_f32 s9, s6, s11
	s_mul_f32 s10, s6, s6
	s_sub_f32 s4, s4, s9
	s_delay_alu instid0(SALU_CYCLE_2) | instskip(NEXT) | instid1(SALU_CYCLE_1)
	s_xor_b32 s9, s10, 0x80000000
	s_fmac_f32 s9, s6, s6
	s_delay_alu instid0(SALU_CYCLE_1) | instskip(NEXT) | instid1(SALU_CYCLE_3)
	s_add_f32 s11, s4, s4
	s_fmac_f32 s9, s6, s11
	s_delay_alu instid0(SALU_CYCLE_3) | instskip(NEXT) | instid1(SALU_CYCLE_3)
	s_add_f32 s11, s10, s9
	s_fmaak_f32 s13, s11, s13, 0x3e91f4c4
	s_sub_f32 s10, s11, s10
	s_delay_alu instid0(SALU_CYCLE_2) | instskip(NEXT) | instid1(SALU_CYCLE_2)
	s_fmaak_f32 s13, s11, s13, 0x3ecccdef
	s_sub_f32 s9, s9, s10
	s_mul_f32 s10, s6, s11
	s_delay_alu instid0(SALU_CYCLE_1) | instskip(NEXT) | instid1(SALU_CYCLE_2)
	s_mul_f32 s17, s11, s13
	s_xor_b32 s23, s10, 0x80000000
	s_delay_alu instid0(SALU_CYCLE_2) | instskip(SKIP_2) | instid1(SALU_CYCLE_2)
	s_xor_b32 s19, s17, 0x80000000
	s_fmac_f32 s23, s11, s6
	s_fmac_f32 s19, s11, s13
	;; [unrolled: 1-line block ×3, first 2 shown]
	s_delay_alu instid0(SALU_CYCLE_2) | instskip(NEXT) | instid1(SALU_CYCLE_2)
	s_fmac_f32 s19, s9, s13
	s_fmac_f32 s23, s9, s6
	s_delay_alu instid0(SALU_CYCLE_2) | instskip(NEXT) | instid1(SALU_CYCLE_3)
	s_add_f32 s13, s17, s19
	s_sub_f32 s17, s13, s17
	s_add_f32 s24, s13, 0x3f2aaaaa
	s_delay_alu instid0(SALU_CYCLE_2) | instskip(NEXT) | instid1(SALU_CYCLE_2)
	s_sub_f32 s17, s19, s17
	s_add_f32 s19, s24, 0xbf2aaaaa
	s_delay_alu instid0(SALU_CYCLE_2) | instskip(NEXT) | instid1(SALU_CYCLE_2)
	s_add_f32 s11, s17, 0x31739010
	s_sub_f32 s13, s13, s19
	s_delay_alu instid0(SALU_CYCLE_3) | instskip(SKIP_1) | instid1(SALU_CYCLE_2)
	s_add_f32 s9, s11, s13
	s_add_f32 s11, s10, s23
	;; [unrolled: 1-line block ×3, first 2 shown]
	s_delay_alu instid0(SALU_CYCLE_2) | instskip(NEXT) | instid1(SALU_CYCLE_2)
	s_sub_f32 s10, s11, s10
	s_mul_f32 s17, s11, s13
	s_sub_f32 s19, s24, s13
	s_delay_alu instid0(SALU_CYCLE_1) | instskip(NEXT) | instid1(SALU_CYCLE_1)
	s_sub_f32 s10, s23, s10
	s_xor_b32 s24, s17, 0x80000000
	s_delay_alu instid0(SALU_CYCLE_1)
	s_add_f32 s9, s9, s19
	s_fmac_f32 s24, s11, s13
	v_readfirstlane_b32 s19, v1
	v_ldexp_f32 v1, s6, 1
	s_cmp_lg_u32 s5, 0
	s_fmac_f32 s24, s11, s9
	s_sub_co_ci_u32 s5, s19, 0
	s_delay_alu instid0(VALU_DEP_1) | instskip(NEXT) | instid1(SALU_CYCLE_1)
	v_readfirstlane_b32 s6, v1
	s_fmac_f32 s24, s10, s13
	s_cvt_f32_i32 s5, s5
	v_ldexp_f32 v1, s4, 1
	s_delay_alu instid0(SALU_CYCLE_1) | instskip(NEXT) | instid1(SALU_CYCLE_1)
	s_add_f32 s9, s17, s24
	s_mul_f32 s4, s5, 0x3f317218
	s_delay_alu instid0(VALU_DEP_1) | instskip(NEXT) | instid1(SALU_CYCLE_1)
	v_readfirstlane_b32 s13, v1
	s_add_f32 s10, s6, s9
	s_sub_f32 s11, s9, s17
	s_wait_alu 0xfffe
	s_xor_b32 s17, s4, 0x80000000
	s_sub_f32 s6, s10, s6
	s_sub_f32 s11, s24, s11
	s_fmamk_f32 s17, s5, 0x3f317218, s17
	s_wait_alu 0xfffe
	s_sub_f32 s6, s9, s6
	s_add_f32 s9, s13, s11
	s_fmamk_f32 s5, s5, 0xb102e308, s17
	s_wait_alu 0xfffe
	s_delay_alu instid0(SALU_CYCLE_1) | instskip(NEXT) | instid1(SALU_CYCLE_1)
	s_add_f32 s6, s9, s6
	s_add_f32 s9, s4, s5
	s_wait_alu 0xfffe
	s_delay_alu instid0(SALU_CYCLE_1) | instskip(NEXT) | instid1(SALU_CYCLE_1)
	s_add_f32 s11, s10, s6
	s_sub_f32 s4, s9, s4
	s_delay_alu instid0(SALU_CYCLE_2)
	s_add_f32 s13, s9, s11
	s_sub_f32 s10, s11, s10
	s_wait_alu 0xfffe
	s_sub_f32 s4, s5, s4
	s_sub_f32 s17, s13, s9
	s_sub_f32 s5, s6, s10
	s_delay_alu instid0(SALU_CYCLE_2) | instskip(SKIP_4) | instid1(SALU_CYCLE_3)
	s_sub_f32 s19, s13, s17
	s_sub_f32 s6, s11, s17
	s_wait_alu 0xfffe
	s_add_f32 s10, s4, s5
	s_sub_f32 s9, s9, s19
	s_add_f32 s6, s6, s9
	s_delay_alu instid0(SALU_CYCLE_1) | instskip(SKIP_1) | instid1(SALU_CYCLE_1)
	s_sub_f32 s9, s10, s4
	s_wait_alu 0xfffe
	s_add_f32 s6, s10, s6
	s_delay_alu instid0(SALU_CYCLE_1) | instskip(SKIP_4) | instid1(SALU_CYCLE_2)
	s_sub_f32 s10, s10, s9
	s_sub_f32 s5, s5, s9
	s_wait_alu 0xfffe
	s_add_f32 s11, s13, s6
	s_sub_f32 s4, s4, s10
	s_sub_f32 s9, s11, s13
	s_wait_alu 0xfffe
	s_delay_alu instid0(SALU_CYCLE_1) | instskip(NEXT) | instid1(SALU_CYCLE_1)
	s_add_f32 s4, s5, s4
	s_sub_f32 s5, s6, s9
	s_wait_alu 0xfffe
	s_delay_alu instid0(SALU_CYCLE_2) | instskip(SKIP_1) | instid1(SALU_CYCLE_2)
	s_add_f32 s4, s4, s5
	s_wait_alu 0xfffe
	s_add_f32 s5, s11, s4
	s_wait_alu 0xfffe
	s_delay_alu instid0(SALU_CYCLE_2) | instskip(SKIP_2) | instid1(SALU_CYCLE_1)
	s_mul_f32 s6, s3, s5
	s_sub_f32 s9, s5, s11
	s_wait_alu 0xfffe
	s_xor_b32 s10, s6, 0x80000000
	s_delay_alu instid0(SALU_CYCLE_1) | instskip(SKIP_2) | instid1(SALU_CYCLE_2)
	s_sub_f32 s4, s4, s9
	s_fmac_f32 s10, s3, s5
	s_wait_alu 0xfffe
	s_fmac_f32 s10, s3, s4
	v_cmp_class_f32_e64 s4, s6, 0x204
	s_delay_alu instid0(SALU_CYCLE_2) | instskip(SKIP_2) | instid1(SALU_CYCLE_1)
	s_add_f32 s5, s6, s10
	s_and_b32 s4, s4, exec_lo
	s_wait_alu 0xfffe
	s_sub_f32 s4, s5, s6
	s_cselect_b32 s5, s6, s5
	s_wait_alu 0xfffe
	s_and_b32 s6, s5, 0x7fffffff
	s_sub_f32 s4, s10, s4
	s_wait_alu 0xfffe
	s_cmp_neq_f32 s6, 0x7f800000
	s_delay_alu instid0(SALU_CYCLE_1)
	s_cselect_b32 s4, s4, 0
	s_cmp_eq_f32 s5, 0x42b17218
	s_cselect_b32 s6, 0x37000000, 0
	s_wait_alu 0xfffe
	s_sub_f32 s5, s5, s6
	s_add_f32 s4, s6, s4
	s_wait_alu 0xfffe
	s_delay_alu instid0(SALU_CYCLE_1) | instskip(NEXT) | instid1(SALU_CYCLE_3)
	s_mul_f32 s9, s5, 0x3fb8aa3b
	s_xor_b32 s10, s9, 0x80000000
	s_rndne_f32 s11, s9
	s_fmamk_f32 s10, s5, 0x3fb8aa3b, s10
	s_cmp_nlt_f32 s5, 0xc2ce8ed0
	s_delay_alu instid0(SALU_CYCLE_1) | instskip(NEXT) | instid1(SALU_CYCLE_1)
	s_sub_f32 s9, s9, s11
	s_fmamk_f32 s10, s5, 0x32a5705f, s10
	s_cselect_b32 vcc_lo, -1, 0
	s_cmp_ngt_f32 s5, 0x42b17218
	s_trunc_f32 s5, s3
	s_add_f32 s9, s9, s10
	s_cvt_i32_f32 s10, s11
	s_delay_alu instid0(SALU_CYCLE_2)
	v_s_exp_f32 s9, s9
	s_wait_alu 0xf1ff
	s_delay_alu instid0(TRANS32_DEP_1) | instid1(SALU_CYCLE_1)
	v_ldexp_f32 v1, s9, s10
	s_mul_f32 s9, s3, 0.5
	s_delay_alu instid0(VALU_DEP_1)
	v_cndmask_b32_e32 v1, 0, v1, vcc_lo
	s_cselect_b32 vcc_lo, -1, 0
	s_wait_alu 0xfffe
	s_cmp_eq_f32 s5, s3
	s_trunc_f32 s10, s9
	v_cndmask_b32_e32 v1, 0x7f800000, v1, vcc_lo
	s_cselect_b32 s11, -1, 0
	s_wait_alu 0xfffe
	s_cmp_neq_f32 s10, s9
	s_delay_alu instid0(VALU_DEP_1)
	v_fma_f32 v2, s4, v1, v1
	v_cmp_class_f32_e64 vcc_lo, v1, 0x204
	s_cselect_b32 s6, -1, 0
	s_wait_alu 0xfffe
	s_and_b32 s4, s11, s6
	s_wait_alu 0xfffd
	v_cndmask_b32_e32 v1, v2, v1, vcc_lo
	s_wait_alu 0xfffe
	s_and_b32 s6, s4, exec_lo
	s_cselect_b32 s6, s2, 1.0
	s_cmp_eq_f32 s5, s3
	v_cmp_class_f32_e64 s5, s2, 0x204
	s_wait_alu 0xfffe
	v_bfi_b32 v1, 0x7fffffff, v1, s6
	s_cselect_b32 vcc_lo, -1, 0
	s_cmp_lt_f32 s2, 0
	s_wait_alu 0xfffe
	s_delay_alu instid0(VALU_DEP_1) | instskip(SKIP_3) | instid1(VALU_DEP_1)
	v_cndmask_b32_e32 v2, 0x7fc00000, v1, vcc_lo
	s_cselect_b32 vcc_lo, -1, 0
	s_cmp_eq_f32 s2, 0
	s_wait_alu 0xfffe
	v_cndmask_b32_e32 v1, v1, v2, vcc_lo
	s_cselect_b32 s6, -1, 0
	s_wait_alu 0xfffe
	s_or_b32 vcc_lo, s6, s5
	s_cmp_lt_f32 s3, 0
	s_cselect_b32 s3, -1, 0
	s_wait_alu 0xfffe
	s_xor_b32 s3, s3, s6
	s_wait_alu 0xfffe
	s_and_b32 s3, s3, exec_lo
	s_cselect_b32 s3, 0, 0x7f800000
	s_and_b32 s4, s4, exec_lo
	s_cselect_b32 s4, s2, 0
	s_cmp_o_f32 s2, s2
	s_wait_alu 0xfffe
	v_mov_b32_e32 v2, s4
	s_delay_alu instid0(VALU_DEP_1) | instskip(NEXT) | instid1(VALU_DEP_1)
	v_bfi_b32 v2, 0x7fffffff, s3, v2
	v_cndmask_b32_e32 v1, v1, v2, vcc_lo
	s_cselect_b32 vcc_lo, -1, 0
	s_wait_alu 0xfffe
	s_delay_alu instid0(VALU_DEP_1)
	v_cndmask_b32_e32 v1, 0x7fc00000, v1, vcc_lo
	scratch_store_b32 off, v1, off offset:468 ; 4-byte Folded Spill
.LBB23_2:
	s_load_b512 s[68:83], s[0:1], 0x0
	v_bfe_u32 v32, v0, 10, 10
	v_and_b32_e32 v33, 0x3ff, v0
	v_mbcnt_lo_u32_b32 v118, -1, 0
	s_mov_b32 s19, s15
	s_mov_b32 s13, s15
	v_cmp_eq_u32_e64 s2, 0, v32
	s_mov_b32 s17, s15
	s_and_saveexec_b32 s9, s2
	s_cbranch_execz .LBB23_11
; %bb.3:
	s_load_b96 s[4:6], s[0:1], 0x70
	v_lshlrev_b32_e32 v13, 4, v33
	v_xor_b32_e32 v4, 4, v118
	v_xor_b32_e32 v6, 2, v118
	;; [unrolled: 1-line block ×3, first 2 shown]
	s_delay_alu instid0(VALU_DEP_3)
	v_cmp_gt_i32_e32 vcc_lo, 32, v4
	s_wait_kmcnt 0x0
	s_mul_i32 s3, s90, s6
	s_mul_i32 s4, s4, ttmp9
	s_mul_i32 s5, s92, s5
	s_wait_alu 0xfffe
	s_add_co_i32 s3, s3, s4
	s_mov_b32 s6, exec_lo
	s_wait_alu 0xfffe
	s_add_co_i32 s4, s3, s5
	s_wait_alu 0xfffe
	s_ashr_i32 s5, s4, 31
	s_wait_alu 0xfffe
	s_add_nc_u64 s[4:5], s[68:69], s[4:5]
	global_load_b128 v[0:3], v13, s[4:5]
	s_wait_loadcnt 0x0
	v_mul_f32_e32 v9, s8, v1
	s_wait_alu 0xfffd
	v_cndmask_b32_e32 v1, v118, v4, vcc_lo
	v_cmp_gt_i32_e32 vcc_lo, 32, v6
	v_mul_f32_e32 v10, s8, v3
	s_wait_alu 0xfffd
	v_cndmask_b32_e32 v6, v118, v6, vcc_lo
	v_cmp_gt_i32_e32 vcc_lo, 32, v8
	v_mul_f32_e32 v11, s8, v2
	s_delay_alu instid0(VALU_DEP_3)
	v_dual_mul_f32 v7, s8, v0 :: v_dual_lshlrev_b32 v6, 2, v6
	v_lshlrev_b32_e32 v4, 2, v1
	s_wait_alu 0xfffd
	v_cndmask_b32_e32 v8, v118, v8, vcc_lo
	v_fma_f32 v0, s8, v0, v9
	v_max_num_f32_e64 v5, |v7|, |v9|
	s_delay_alu instid0(VALU_DEP_2) | instskip(NEXT) | instid1(VALU_DEP_2)
	v_fmac_f32_e32 v0, s8, v2
	v_max3_num_f32 v1, v5, |v11|, |v10|
	s_delay_alu instid0(VALU_DEP_2) | instskip(SKIP_4) | instid1(VALU_DEP_1)
	v_fmac_f32_e32 v0, s8, v3
	ds_bpermute_b32 v5, v4, v1
	ds_bpermute_b32 v3, v4, v0
	s_wait_dscnt 0x0
	v_dual_max_num_f32 v5, v5, v5 :: v_dual_add_f32 v0, v0, v3
	v_max_num_f32_e32 v1, v1, v5
	ds_bpermute_b32 v5, v6, v1
	s_wait_dscnt 0x0
	v_dual_max_num_f32 v12, v5, v5 :: v_dual_lshlrev_b32 v5, 2, v8
	s_delay_alu instid0(VALU_DEP_1)
	v_max_num_f32_e32 v1, v1, v12
	ds_bpermute_b32 v8, v5, v1
	s_wait_dscnt 0x0
	v_max_num_f32_e32 v2, v8, v8
	ds_bpermute_b32 v8, v6, v0
	v_max_num_f32_e32 v1, v1, v2
	s_delay_alu instid0(VALU_DEP_1) | instskip(NEXT) | instid1(VALU_DEP_1)
	v_div_scale_f32 v2, null, 0x42fe0000, 0x42fe0000, v1
	v_rcp_f32_e32 v12, v2
	s_delay_alu instid0(TRANS32_DEP_1) | instskip(NEXT) | instid1(VALU_DEP_1)
	v_fma_f32 v3, -v2, v12, 1.0
	v_fmac_f32_e32 v12, v3, v12
	v_div_scale_f32 v14, vcc_lo, v1, 0x42fe0000, v1
	s_wait_dscnt 0x0
	v_add_f32_e32 v3, v0, v8
	s_delay_alu instid0(VALU_DEP_2) | instskip(SKIP_2) | instid1(VALU_DEP_1)
	v_mul_f32_e32 v15, v14, v12
	ds_bpermute_b32 v8, v5, v3
	v_fma_f32 v16, -v2, v15, v14
	v_fmac_f32_e32 v15, v16, v12
	s_delay_alu instid0(VALU_DEP_1) | instskip(SKIP_1) | instid1(VALU_DEP_1)
	v_fma_f32 v0, -v2, v15, v14
	s_wait_alu 0xfffd
	v_div_fmas_f32 v0, v0, v12, v15
	v_mov_b32_e32 v12, 0
	s_delay_alu instid0(VALU_DEP_2)
	v_div_fixup_f32 v2, v0, 0x42fe0000, v1
	s_wait_alu 0xfffe
	v_add_co_u32 v0, s3, s4, v13
	s_wait_alu 0xf1ff
	v_add_co_ci_u32_e64 v1, null, s5, 0, s3
	v_cmpx_neq_f32_e32 0, v2
	s_cbranch_execz .LBB23_5
; %bb.4:
	v_div_scale_f32 v12, null, v2, v2, v7
	v_div_scale_f32 v13, null, v2, v2, v9
	;; [unrolled: 1-line block ×3, first 2 shown]
	s_delay_alu instid0(VALU_DEP_3) | instskip(SKIP_1) | instid1(VALU_DEP_3)
	v_rcp_f32_e32 v14, v12
	v_div_scale_f32 v16, null, v2, v2, v10
	v_rcp_f32_e32 v17, v13
	s_delay_alu instid0(VALU_DEP_2) | instskip(SKIP_1) | instid1(VALU_DEP_2)
	v_rcp_f32_e32 v18, v15
	v_div_scale_f32 v22, vcc_lo, v7, v2, v7
	v_rcp_f32_e32 v19, v16
	v_fma_f32 v20, -v12, v14, 1.0
	s_delay_alu instid0(TRANS32_DEP_3) | instskip(NEXT) | instid1(TRANS32_DEP_2)
	v_fma_f32 v21, -v13, v17, 1.0
	v_fma_f32 v23, -v15, v18, 1.0
	s_delay_alu instid0(VALU_DEP_3) | instskip(SKIP_1) | instid1(TRANS32_DEP_1)
	v_fmac_f32_e32 v14, v20, v14
	v_div_scale_f32 v20, s3, v9, v2, v9
	v_fma_f32 v24, -v16, v19, 1.0
	s_delay_alu instid0(VALU_DEP_4) | instskip(SKIP_1) | instid1(VALU_DEP_3)
	v_dual_fmac_f32 v17, v21, v17 :: v_dual_fmac_f32 v18, v23, v18
	v_div_scale_f32 v21, s4, v11, v2, v11
	v_dual_fmac_f32 v19, v24, v19 :: v_dual_mul_f32 v24, v22, v14
	s_delay_alu instid0(VALU_DEP_3) | instskip(SKIP_1) | instid1(VALU_DEP_4)
	v_mul_f32_e32 v25, v20, v17
	v_div_scale_f32 v23, s5, v10, v2, v10
	v_mul_f32_e32 v26, v21, v18
	s_delay_alu instid0(VALU_DEP_4) | instskip(NEXT) | instid1(VALU_DEP_4)
	v_fma_f32 v28, -v12, v24, v22
	v_fma_f32 v29, -v13, v25, v20
	s_delay_alu instid0(VALU_DEP_4) | instskip(NEXT) | instid1(VALU_DEP_4)
	v_mul_f32_e32 v27, v23, v19
	v_fma_f32 v30, -v15, v26, v21
	s_delay_alu instid0(VALU_DEP_3) | instskip(NEXT) | instid1(VALU_DEP_3)
	v_dual_fmac_f32 v24, v28, v14 :: v_dual_fmac_f32 v25, v29, v17
	v_fma_f32 v31, -v16, v27, v23
	s_delay_alu instid0(VALU_DEP_3) | instskip(NEXT) | instid1(VALU_DEP_3)
	v_fmac_f32_e32 v26, v30, v18
	v_fma_f32 v12, -v12, v24, v22
	s_delay_alu instid0(VALU_DEP_4) | instskip(NEXT) | instid1(VALU_DEP_4)
	v_fma_f32 v13, -v13, v25, v20
	v_fmac_f32_e32 v27, v31, v19
	s_delay_alu instid0(VALU_DEP_4)
	v_fma_f32 v15, -v15, v26, v21
	s_wait_alu 0xfffd
	v_div_fmas_f32 v12, v12, v14, v24
	s_mov_b32 vcc_lo, s3
	s_wait_alu 0xfffe
	v_div_fmas_f32 v13, v13, v17, v25
	s_mov_b32 vcc_lo, s4
	v_div_fixup_f32 v7, v12, v2, v7
	s_wait_alu 0xfffe
	v_div_fmas_f32 v14, v15, v18, v26
	v_fma_f32 v15, -v16, v27, v23
	s_mov_b32 vcc_lo, s5
	v_div_fixup_f32 v9, v13, v2, v9
	v_trunc_f32_e32 v17, v7
	v_div_fixup_f32 v11, v14, v2, v11
	s_wait_alu 0xfffe
	v_div_fmas_f32 v14, v15, v19, v27
	s_delay_alu instid0(VALU_DEP_2) | instskip(NEXT) | instid1(VALU_DEP_2)
	v_trunc_f32_e32 v13, v11
	v_div_fixup_f32 v10, v14, v2, v10
	v_trunc_f32_e32 v14, v9
	s_delay_alu instid0(VALU_DEP_3) | instskip(NEXT) | instid1(VALU_DEP_3)
	v_sub_f32_e32 v15, v11, v13
	v_trunc_f32_e32 v12, v10
	s_delay_alu instid0(VALU_DEP_3) | instskip(NEXT) | instid1(VALU_DEP_3)
	v_sub_f32_e32 v16, v9, v14
	v_cmp_ge_f32_e64 s3, |v15|, 0.5
	s_delay_alu instid0(VALU_DEP_3) | instskip(SKIP_1) | instid1(VALU_DEP_2)
	v_sub_f32_e32 v18, v10, v12
	s_wait_alu 0xf1ff
	v_cndmask_b32_e64 v15, 0, 1.0, s3
	v_cmp_ge_f32_e64 s3, |v16|, 0.5
	s_delay_alu instid0(VALU_DEP_2) | instskip(SKIP_1) | instid1(VALU_DEP_2)
	v_bfi_b32 v11, 0x7fffffff, v15, v11
	s_wait_alu 0xf1ff
	v_cndmask_b32_e64 v16, 0, 1.0, s3
	v_sub_f32_e32 v15, v7, v17
	v_cmp_ge_f32_e64 s3, |v18|, 0.5
	s_delay_alu instid0(VALU_DEP_3) | instskip(SKIP_1) | instid1(VALU_DEP_2)
	v_bfi_b32 v9, 0x7fffffff, v16, v9
	s_wait_alu 0xf1ff
	v_cndmask_b32_e64 v18, 0, 1.0, s3
	v_cmp_ge_f32_e64 s3, |v15|, 0.5
	s_delay_alu instid0(VALU_DEP_3) | instskip(NEXT) | instid1(VALU_DEP_3)
	v_add_f32_e32 v9, v14, v9
	v_bfi_b32 v10, 0x7fffffff, v18, v10
	v_add_f32_e32 v11, v13, v11
	s_wait_alu 0xf1ff
	v_cndmask_b32_e64 v13, 0, 1.0, s3
	v_cvt_i32_f32_e32 v9, v9
	v_add_f32_e32 v10, v12, v10
	v_cvt_i32_f32_e32 v11, v11
	s_delay_alu instid0(VALU_DEP_4) | instskip(NEXT) | instid1(VALU_DEP_4)
	v_bfi_b32 v7, 0x7fffffff, v13, v7
	v_and_b32_e32 v9, 0xff, v9
	s_delay_alu instid0(VALU_DEP_4) | instskip(NEXT) | instid1(VALU_DEP_4)
	v_cvt_i32_f32_e32 v10, v10
	v_and_b32_e32 v11, 0xff, v11
	s_delay_alu instid0(VALU_DEP_4) | instskip(NEXT) | instid1(VALU_DEP_4)
	v_add_f32_e32 v7, v17, v7
	v_lshlrev_b32_e32 v9, 8, v9
	s_delay_alu instid0(VALU_DEP_3) | instskip(NEXT) | instid1(VALU_DEP_3)
	v_lshlrev_b32_e32 v11, 16, v11
	v_cvt_i32_f32_e32 v7, v7
	s_delay_alu instid0(VALU_DEP_2) | instskip(NEXT) | instid1(VALU_DEP_2)
	v_lshl_or_b32 v10, v10, 24, v11
	v_and_b32_e32 v7, 0xff, v7
	s_delay_alu instid0(VALU_DEP_1)
	v_or3_b32 v12, v10, v9, v7
.LBB23_5:
	s_or_b32 exec_lo, exec_lo, s6
	v_and_b32_e32 v9, 7, v33
	v_lshlrev_b32_e32 v7, 2, v33
	s_delay_alu instid0(VALU_DEP_2)
	v_cmp_eq_u32_e64 s3, 0, v9
	ds_store_b32 v7, v12
	s_and_saveexec_b32 s4, s3
	s_cbranch_execz .LBB23_7
; %bb.6:
	s_wait_dscnt 0x1
	v_add_f32_e32 v3, v3, v8
	ds_store_b64 v33, v[2:3] offset:256
.LBB23_7:
	s_wait_alu 0xfffe
	s_or_b32 exec_lo, exec_lo, s4
	global_load_b128 v[11:14], v[0:1], off offset:512
	s_wait_loadcnt_dscnt 0x1
	v_dual_mul_f32 v3, s8, v11 :: v_dual_mul_f32 v8, s8, v12
	v_dual_mul_f32 v10, s8, v13 :: v_dual_mul_f32 v9, s8, v14
	s_delay_alu instid0(VALU_DEP_2) | instskip(SKIP_1) | instid1(VALU_DEP_2)
	v_max_num_f32_e64 v0, |v3|, |v8|
	v_fma_f32 v2, s8, v11, v8
	v_max3_num_f32 v0, v0, |v10|, |v9|
	s_delay_alu instid0(VALU_DEP_2)
	v_fmac_f32_e32 v2, s8, v13
	ds_bpermute_b32 v1, v4, v0
	v_fmac_f32_e32 v2, s8, v14
	s_mov_b32 s8, exec_lo
	ds_bpermute_b32 v4, v4, v2
	s_wait_dscnt 0x1
	v_max_num_f32_e32 v1, v1, v1
	s_delay_alu instid0(VALU_DEP_1) | instskip(SKIP_3) | instid1(VALU_DEP_1)
	v_max_num_f32_e32 v0, v0, v1
	ds_bpermute_b32 v1, v6, v0
	s_wait_dscnt 0x0
	v_max_num_f32_e32 v1, v1, v1
	v_max_num_f32_e32 v0, v0, v1
	ds_bpermute_b32 v1, v5, v0
	s_wait_dscnt 0x0
	v_max_num_f32_e32 v1, v1, v1
	s_delay_alu instid0(VALU_DEP_1) | instskip(NEXT) | instid1(VALU_DEP_1)
	v_dual_max_num_f32 v0, v0, v1 :: v_dual_add_f32 v1, v2, v4
	v_div_scale_f32 v11, null, 0x42fe0000, 0x42fe0000, v0
	ds_bpermute_b32 v4, v6, v1
	v_div_scale_f32 v6, vcc_lo, v0, 0x42fe0000, v0
	v_rcp_f32_e32 v12, v11
	s_delay_alu instid0(TRANS32_DEP_1) | instskip(NEXT) | instid1(VALU_DEP_1)
	v_fma_f32 v2, -v11, v12, 1.0
	v_fmac_f32_e32 v12, v2, v12
	s_wait_dscnt 0x0
	v_add_f32_e32 v1, v1, v4
	s_delay_alu instid0(VALU_DEP_2) | instskip(NEXT) | instid1(VALU_DEP_1)
	v_mul_f32_e32 v13, v6, v12
	v_fma_f32 v2, -v11, v13, v6
	s_delay_alu instid0(VALU_DEP_1) | instskip(SKIP_3) | instid1(VALU_DEP_1)
	v_fmac_f32_e32 v13, v2, v12
	ds_bpermute_b32 v2, v5, v1
	v_fma_f32 v4, -v11, v13, v6
	s_wait_alu 0xfffd
	v_div_fmas_f32 v4, v4, v12, v13
	s_delay_alu instid0(VALU_DEP_1) | instskip(SKIP_1) | instid1(VALU_DEP_2)
	v_div_fixup_f32 v0, v4, 0x42fe0000, v0
	v_mov_b32_e32 v4, 0
	v_cmpx_neq_f32_e32 0, v0
	s_cbranch_execz .LBB23_9
; %bb.8:
	v_div_scale_f32 v4, null, v0, v0, v3
	v_div_scale_f32 v5, null, v0, v0, v8
	;; [unrolled: 1-line block ×3, first 2 shown]
	s_delay_alu instid0(VALU_DEP_3) | instskip(SKIP_1) | instid1(VALU_DEP_3)
	v_rcp_f32_e32 v6, v4
	v_div_scale_f32 v12, null, v0, v0, v9
	v_rcp_f32_e32 v13, v5
	s_delay_alu instid0(VALU_DEP_2) | instskip(SKIP_1) | instid1(VALU_DEP_2)
	v_rcp_f32_e32 v14, v11
	v_div_scale_f32 v18, vcc_lo, v3, v0, v3
	v_rcp_f32_e32 v15, v12
	v_fma_f32 v16, -v4, v6, 1.0
	s_delay_alu instid0(TRANS32_DEP_3) | instskip(NEXT) | instid1(TRANS32_DEP_2)
	v_fma_f32 v17, -v5, v13, 1.0
	v_fma_f32 v19, -v11, v14, 1.0
	s_delay_alu instid0(VALU_DEP_3) | instskip(SKIP_1) | instid1(TRANS32_DEP_1)
	v_fmac_f32_e32 v6, v16, v6
	v_div_scale_f32 v16, s4, v8, v0, v8
	v_fma_f32 v20, -v12, v15, 1.0
	s_delay_alu instid0(VALU_DEP_4) | instskip(SKIP_1) | instid1(VALU_DEP_3)
	v_dual_fmac_f32 v13, v17, v13 :: v_dual_fmac_f32 v14, v19, v14
	v_div_scale_f32 v17, s5, v10, v0, v10
	v_dual_fmac_f32 v15, v20, v15 :: v_dual_mul_f32 v20, v18, v6
	s_delay_alu instid0(VALU_DEP_3) | instskip(SKIP_1) | instid1(VALU_DEP_4)
	v_mul_f32_e32 v21, v16, v13
	v_div_scale_f32 v19, s6, v9, v0, v9
	v_mul_f32_e32 v22, v17, v14
	s_delay_alu instid0(VALU_DEP_4) | instskip(NEXT) | instid1(VALU_DEP_4)
	v_fma_f32 v24, -v4, v20, v18
	v_fma_f32 v25, -v5, v21, v16
	s_delay_alu instid0(VALU_DEP_4) | instskip(NEXT) | instid1(VALU_DEP_4)
	v_mul_f32_e32 v23, v19, v15
	v_fma_f32 v26, -v11, v22, v17
	s_delay_alu instid0(VALU_DEP_3) | instskip(NEXT) | instid1(VALU_DEP_3)
	v_dual_fmac_f32 v20, v24, v6 :: v_dual_fmac_f32 v21, v25, v13
	v_fma_f32 v27, -v12, v23, v19
	s_delay_alu instid0(VALU_DEP_3) | instskip(NEXT) | instid1(VALU_DEP_3)
	v_fmac_f32_e32 v22, v26, v14
	v_fma_f32 v4, -v4, v20, v18
	s_delay_alu instid0(VALU_DEP_4) | instskip(NEXT) | instid1(VALU_DEP_4)
	v_fma_f32 v5, -v5, v21, v16
	v_fmac_f32_e32 v23, v27, v15
	s_delay_alu instid0(VALU_DEP_4)
	v_fma_f32 v11, -v11, v22, v17
	s_wait_alu 0xfffd
	v_div_fmas_f32 v4, v4, v6, v20
	s_mov_b32 vcc_lo, s4
	s_wait_alu 0xfffe
	v_div_fmas_f32 v5, v5, v13, v21
	s_mov_b32 vcc_lo, s5
	v_div_fixup_f32 v3, v4, v0, v3
	s_wait_alu 0xfffe
	v_div_fmas_f32 v6, v11, v14, v22
	v_fma_f32 v11, -v12, v23, v19
	s_mov_b32 vcc_lo, s6
	v_div_fixup_f32 v5, v5, v0, v8
	v_trunc_f32_e32 v13, v3
	v_div_fixup_f32 v6, v6, v0, v10
	s_wait_alu 0xfffe
	v_div_fmas_f32 v10, v11, v15, v23
	s_delay_alu instid0(VALU_DEP_2) | instskip(NEXT) | instid1(VALU_DEP_2)
	v_trunc_f32_e32 v8, v6
	v_div_fixup_f32 v9, v10, v0, v9
	v_trunc_f32_e32 v10, v5
	s_delay_alu instid0(VALU_DEP_3) | instskip(NEXT) | instid1(VALU_DEP_3)
	v_sub_f32_e32 v11, v6, v8
	v_trunc_f32_e32 v4, v9
	s_delay_alu instid0(VALU_DEP_3) | instskip(NEXT) | instid1(VALU_DEP_3)
	v_sub_f32_e32 v12, v5, v10
	v_cmp_ge_f32_e64 s4, |v11|, 0.5
	s_delay_alu instid0(VALU_DEP_3) | instskip(SKIP_1) | instid1(VALU_DEP_2)
	v_sub_f32_e32 v14, v9, v4
	s_wait_alu 0xf1ff
	v_cndmask_b32_e64 v11, 0, 1.0, s4
	v_cmp_ge_f32_e64 s4, |v12|, 0.5
	s_delay_alu instid0(VALU_DEP_2) | instskip(SKIP_1) | instid1(VALU_DEP_2)
	v_bfi_b32 v6, 0x7fffffff, v11, v6
	s_wait_alu 0xf1ff
	v_cndmask_b32_e64 v12, 0, 1.0, s4
	v_sub_f32_e32 v11, v3, v13
	v_cmp_ge_f32_e64 s4, |v14|, 0.5
	s_delay_alu instid0(VALU_DEP_3) | instskip(SKIP_2) | instid1(VALU_DEP_3)
	v_bfi_b32 v5, 0x7fffffff, v12, v5
	v_add_f32_e32 v6, v8, v6
	s_wait_alu 0xf1ff
	v_cndmask_b32_e64 v14, 0, 1.0, s4
	v_cmp_ge_f32_e64 s4, |v11|, 0.5
	v_add_f32_e32 v5, v10, v5
	v_cvt_i32_f32_e32 v6, v6
	s_delay_alu instid0(VALU_DEP_4) | instskip(SKIP_4) | instid1(VALU_DEP_3)
	v_bfi_b32 v9, 0x7fffffff, v14, v9
	s_wait_alu 0xf1ff
	v_cndmask_b32_e64 v8, 0, 1.0, s4
	v_cvt_i32_f32_e32 v5, v5
	v_and_b32_e32 v6, 0xff, v6
	v_bfi_b32 v3, 0x7fffffff, v8, v3
	v_add_f32_e32 v4, v4, v9
	s_delay_alu instid0(VALU_DEP_4) | instskip(NEXT) | instid1(VALU_DEP_3)
	v_and_b32_e32 v5, 0xff, v5
	v_dual_add_f32 v3, v13, v3 :: v_dual_lshlrev_b32 v6, 16, v6
	s_delay_alu instid0(VALU_DEP_3) | instskip(NEXT) | instid1(VALU_DEP_3)
	v_cvt_i32_f32_e32 v4, v4
	v_lshlrev_b32_e32 v5, 8, v5
	s_delay_alu instid0(VALU_DEP_3) | instskip(NEXT) | instid1(VALU_DEP_3)
	v_cvt_i32_f32_e32 v3, v3
	v_lshl_or_b32 v4, v4, 24, v6
	s_delay_alu instid0(VALU_DEP_2) | instskip(NEXT) | instid1(VALU_DEP_1)
	v_and_b32_e32 v3, 0xff, v3
	v_or3_b32 v4, v4, v5, v3
.LBB23_9:
	s_wait_alu 0xfffe
	s_or_b32 exec_lo, exec_lo, s8
	ds_store_b32 v7, v4 offset:128
	s_and_b32 exec_lo, exec_lo, s3
	s_cbranch_execz .LBB23_11
; %bb.10:
	s_wait_dscnt 0x1
	v_add_f32_e32 v1, v1, v2
	ds_store_b64 v33, v[0:1] offset:288
.LBB23_11:
	s_wait_alu 0xfffe
	s_or_b32 exec_lo, exec_lo, s9
	s_wait_dscnt 0x1
	v_dual_mov_b32 v11, 0 :: v_dual_and_b32 v2, 1, v33
	s_wait_storecnt_dscnt 0x0
	s_barrier_signal -1
	s_barrier_wait -1
	s_delay_alu instid0(VALU_DEP_1)
	v_lshlrev_b32_e32 v0, 2, v2
	global_inv scope:SCOPE_SE
	s_ashr_i32 s93, s92, 31
	s_ashr_i32 s3, s22, 31
	;; [unrolled: 1-line block ×3, first 2 shown]
	ds_load_2addr_b32 v[3:4], v0 offset1:2
	s_mul_u64 s[4:5], s[14:15], s[18:19]
	s_mul_u64 s[8:9], s[12:13], s[16:17]
	s_wait_kmcnt 0x0
	s_cmp_eq_u64 s[78:79], 0
	s_wait_dscnt 0x0
	scratch_store_b64 off, v[3:4], off offset:40 ; 8-byte Folded Spill
	ds_load_2addr_b32 v[3:4], v0 offset0:4 offset1:6
	s_wait_dscnt 0x0
	scratch_store_b64 off, v[3:4], off offset:48 ; 8-byte Folded Spill
	ds_load_2addr_b32 v[3:4], v0 offset0:8 offset1:10
	;; [unrolled: 3-line block ×3, first 2 shown]
	s_wait_dscnt 0x0
	scratch_store_b64 off, v[3:4], off offset:64 ; 8-byte Folded Spill
	ds_load_b128 v[3:6], v11 offset:256
	s_wait_dscnt 0x0
	scratch_store_b128 off, v[3:6], off offset:72 ; 16-byte Folded Spill
	ds_load_b128 v[3:6], v11 offset:272
	s_wait_dscnt 0x0
	scratch_store_b128 off, v[3:6], off offset:88 ; 16-byte Folded Spill
	;; [unrolled: 3-line block ×4, first 2 shown]
	ds_load_2addr_b32 v[119:120], v0 offset0:16 offset1:18
	ds_load_2addr_b32 v[3:4], v0 offset0:20 offset1:22
	s_wait_dscnt 0x0
	scratch_store_b64 off, v[3:4], off offset:136 ; 8-byte Folded Spill
	ds_load_2addr_b32 v[3:4], v0 offset0:24 offset1:26
	s_wait_dscnt 0x0
	scratch_store_b64 off, v[3:4], off offset:144 ; 8-byte Folded Spill
	;; [unrolled: 3-line block ×11, first 2 shown]
	s_wait_loadcnt 0x0
	s_wait_storecnt 0x0
	s_barrier_signal -1
	s_barrier_wait -1
	global_inv scope:SCOPE_SE
	s_cbranch_scc1 .LBB23_13
; %bb.12:
	s_load_b32 s4, s[0:1], 0xd0
	s_mov_b32 s11, 0
	s_wait_kmcnt 0x0
	s_mul_i32 s4, s4, s90
	s_wait_alu 0xfffe
	s_add_co_i32 s10, s4, ttmp9
	s_wait_alu 0xfffe
	s_lshl_b64 s[10:11], s[10:11], 2
	s_wait_alu 0xfffe
	s_add_nc_u64 s[10:11], s[78:79], s[10:11]
	s_load_b32 s94, s[10:11], 0x0
.LBB23_13:
	v_lshlrev_b32_e32 v1, 5, v32
	s_and_b32 s95, ttmp7, 0xffff
	v_lshlrev_b32_e32 v14, 2, v33
	s_lshl_b32 s98, s95, 7
	s_mov_b32 s67, 0
	v_add_nc_u32_e32 v15, v1, v33
	s_wait_kmcnt 0x0
	s_cmp_ge_i32 s98, s94
	s_delay_alu instid0(VALU_DEP_1)
	v_lshlrev_b32_e32 v3, 1, v15
	scratch_store_b32 off, v3, off offset:472 ; 4-byte Folded Spill
	s_cbranch_scc1 .LBB23_21
; %bb.14:
	s_clause 0x1
	scratch_store_b32 off, v15, off offset:516
	scratch_store_b32 off, v32, off offset:508
	s_clause 0x1
	s_load_b64 s[78:79], s[0:1], 0x8c
	s_load_b128 s[84:87], s[0:1], 0x98
	s_mul_i32 s4, s5, s21
	s_xor_b32 s3, s93, s3
	s_wait_alu 0xfffe
	s_sub_co_i32 s4, s14, s4
	s_add_co_i32 s6, s5, 1
	s_wait_alu 0xfffe
	s_sub_co_i32 s8, s4, s21
	s_cmp_ge_u32 s4, s21
	v_dual_mov_b32 v148, v33 :: v_dual_and_b32 v3, 0x7e, v33
	s_cselect_b32 s6, s6, s5
	s_wait_alu 0xfffe
	s_cselect_b32 s4, s8, s4
	s_add_co_i32 s8, s6, 1
	s_wait_alu 0xfffe
	s_cmp_ge_u32 s4, s21
	s_load_b64 s[4:5], s[0:1], 0xc8
	s_cselect_b32 s6, s8, s6
	s_mul_i32 s8, s9, s20
	s_wait_alu 0xfffe
	s_xor_b32 s6, s6, s3
	s_sub_co_i32 s8, s12, s8
	s_wait_alu 0xfffe
	s_sub_co_i32 s3, s6, s3
	s_sub_co_i32 s9, s8, s20
	s_wait_kmcnt 0x0
	s_wait_alu 0xfffe
	s_mul_i32 s68, s3, s79
	s_mul_i32 s96, s3, s87
	s_ashr_i32 s69, s68, 31
	s_ashr_i32 s97, s96, 31
	s_cmp_ge_u32 s8, s20
	s_mul_i32 s6, s7, ttmp9
	s_cselect_b32 s3, s9, s8
	s_clause 0x1
	s_load_b32 s87, s[0:1], 0xd4
	s_load_b64 s[8:9], s[0:1], 0xa8
	s_sub_co_i32 s7, s3, s20
	s_cmp_ge_u32 s3, s20
	v_add_nc_u32_e32 v7, v1, v3
	s_wait_alu 0xfffe
	s_cselect_b32 s3, s7, s3
	v_add_nc_u32_e32 v3, 0x80, v14
	s_wait_alu 0xfffe
	s_xor_b32 s3, s3, s91
	s_ashr_i32 s7, s6, 31
	s_wait_alu 0xfffe
	s_sub_co_i32 s10, s3, s91
	v_cmp_eq_u32_e64 s3, 0, v2
	v_bfe_u32 v2, v33, 3, 27
	s_wait_alu 0xfffe
	s_ashr_i32 s11, s10, 31
	s_cmp_lg_u64 s[74:75], 0
	v_lshrrev_b32_e32 v4, 5, v3
	v_and_b32_e32 v11, 12, v3
	v_mul_hi_u32_u24_e32 v3, 18, v2
	v_mul_u32_u24_e32 v2, 18, v2
	s_wait_alu 0xfffe
	s_mul_u64 s[4:5], s[4:5], s[10:11]
	s_cselect_b32 s79, -1, 0
	s_lshl_b32 s10, s98, 1
	s_mov_b32 s11, s67
	v_lshlrev_b32_e32 v5, 1, v7
	s_wait_alu 0xfffe
	s_add_nc_u64 s[4:5], s[4:5], s[10:11]
	s_add_nc_u64 s[6:7], s[74:75], s[6:7]
	v_mul_lo_u32 v6, v1, s86
	s_wait_alu 0xfffe
	s_add_nc_u64 s[4:5], s[6:7], s[4:5]
	s_wait_kmcnt 0x0
	v_mad_co_u64_u32 v[2:3], null, s8, s90, v[2:3]
	s_wait_alu 0xfffe
	v_add_co_u32 v15, s4, s4, v5
	s_wait_alu 0xf1ff
	v_add_co_ci_u32_e64 v16, null, s5, 0, s4
	s_mul_i32 s4, s9, s90
	s_mul_i32 s5, s8, s91
	v_mul_hi_u32_u24_e32 v5, 18, v4
	v_mul_u32_u24_e32 v4, 18, v4
	s_wait_alu 0xfffe
	s_add_co_i32 s5, s5, s4
	v_ashrrev_i32_e32 v9, 31, v6
	v_add_co_u32 v56, vcc_lo, v15, 2
	s_wait_alu 0xfffe
	v_add_nc_u32_e32 v15, s5, v3
	v_mad_co_u64_u32 v[3:4], null, s8, s90, v[4:5]
	s_wait_alu 0xfffd
	v_add_co_ci_u32_e64 v57, null, 0, v16, vcc_lo
	v_add_co_u32 v5, vcc_lo, v2, v6
	s_wait_alu 0xfffd
	v_add_co_ci_u32_e64 v24, null, v15, v9, vcc_lo
	v_add_co_u32 v16, vcc_lo, v2, v11
	s_wait_alu 0xfffd
	v_add_co_ci_u32_e64 v17, null, 0, v15, vcc_lo
	v_add_nc_u32_e32 v4, s5, v4
	s_delay_alu instid0(VALU_DEP_3) | instskip(SKIP_1) | instid1(VALU_DEP_3)
	v_add_co_u32 v25, vcc_lo, v16, v6
	s_wait_alu 0xfffd
	v_add_co_ci_u32_e64 v26, null, v17, v9, vcc_lo
	v_add_co_u32 v11, vcc_lo, v3, v11
	s_wait_alu 0xfffd
	v_add_co_ci_u32_e64 v18, null, 0, v4, vcc_lo
	v_add_co_u32 v27, vcc_lo, v3, v6
	v_add_nc_u32_e32 v8, s86, v6
	s_wait_alu 0xfffd
	v_add_co_ci_u32_e64 v28, null, v4, v9, vcc_lo
	v_add_co_u32 v6, vcc_lo, v11, v6
	s_wait_alu 0xfffd
	v_add_co_ci_u32_e64 v9, null, v18, v9, vcc_lo
	v_add_co_u32 v2, vcc_lo, v2, s96
	v_ashrrev_i32_e32 v12, 31, v8
	s_wait_alu 0xfffd
	v_add_co_ci_u32_e64 v15, null, s97, v15, vcc_lo
	v_add_co_u32 v16, vcc_lo, v16, s96
	s_wait_alu 0xfffd
	v_add_co_ci_u32_e64 v29, null, s97, v17, vcc_lo
	v_add_co_u32 v30, vcc_lo, v2, v8
	;; [unrolled: 3-line block ×4, first 2 shown]
	v_add_nc_u32_e32 v10, s86, v8
	s_wait_alu 0xfffd
	v_add_co_ci_u32_e64 v4, null, s97, v4, vcc_lo
	v_add_co_u32 v11, vcc_lo, v11, s96
	s_wait_alu 0xfffd
	v_add_co_ci_u32_e64 v34, null, s97, v18, vcc_lo
	v_add_nc_u32_e32 v17, 31, v1
	v_add_co_u32 v35, vcc_lo, v3, v8
	v_ashrrev_i32_e32 v13, 31, v10
	s_wait_alu 0xfffd
	v_add_co_ci_u32_e64 v36, null, v4, v12, vcc_lo
	v_add_co_u32 v8, vcc_lo, v11, v8
	s_wait_alu 0xfffd
	v_add_co_ci_u32_e64 v12, null, v34, v12, vcc_lo
	v_mul_lo_u32 v17, s86, v17
	v_add_co_u32 v37, vcc_lo, v2, v10
	s_wait_alu 0xfffd
	v_add_co_ci_u32_e64 v38, null, v15, v13, vcc_lo
	v_add_co_u32 v39, vcc_lo, v16, v10
	v_add_nc_u32_e32 v18, 30, v1
	s_wait_alu 0xfffd
	v_add_co_ci_u32_e64 v40, null, v29, v13, vcc_lo
	v_add_co_u32 v41, vcc_lo, v3, v10
	scratch_store_b32 off, v14, off offset:520 ; 4-byte Folded Spill
	v_add_nc_u32_e32 v14, s86, v10
	s_wait_alu 0xfffd
	v_add_co_ci_u32_e64 v42, null, v4, v13, vcc_lo
	v_add_co_u32 v10, vcc_lo, v11, v10
	s_wait_alu 0xfffd
	v_add_co_ci_u32_e64 v43, null, v34, v13, vcc_lo
	v_mul_lo_u32 v13, s86, v18
	v_ashrrev_i32_e32 v18, 31, v17
	v_add_co_u32 v44, vcc_lo, v3, v17
	v_add_co_u32 v45, s4, v16, v17
	v_add_co_u32 v126, s5, v2, v17
	v_add_co_u32 v47, s6, v11, v17
	v_add_nc_u32_e32 v17, 29, v1
	s_wait_alu 0xf1ff
	v_add_co_ci_u32_e64 v48, null, v34, v18, s6
	s_wait_alu 0xfffd
	v_add_co_ci_u32_e64 v49, null, v4, v18, vcc_lo
	v_mul_lo_u32 v17, s86, v17
	v_add_co_ci_u32_e64 v50, null, v29, v18, s4
	v_add_co_ci_u32_e64 v51, null, v15, v18, s5
	v_ashrrev_i32_e32 v18, 31, v13
	v_add_co_u32 v52, vcc_lo, v3, v13
	v_add_co_u32 v53, s4, v16, v13
	v_add_co_u32 v133, s5, v2, v13
	v_add_co_u32 v55, s6, v11, v13
	v_add_nc_u32_e32 v13, 28, v1
	s_wait_alu 0xf1ff
	v_add_co_ci_u32_e64 v58, null, v34, v18, s6
	s_wait_alu 0xfffd
	v_add_co_ci_u32_e64 v59, null, v4, v18, vcc_lo
	v_add_co_ci_u32_e64 v60, null, v29, v18, s4
	v_add_co_ci_u32_e64 v61, null, v15, v18, s5
	v_mul_lo_u32 v13, s86, v13
	v_ashrrev_i32_e32 v18, 31, v17
	v_add_co_u32 v62, vcc_lo, v3, v17
	v_add_co_u32 v63, s4, v16, v17
	v_add_co_u32 v141, s5, v2, v17
	v_add_co_u32 v65, s6, v11, v17
	v_add_nc_u32_e32 v17, 27, v1
	s_wait_alu 0xf1ff
	v_add_co_ci_u32_e64 v66, null, v34, v18, s6
	s_wait_alu 0xfffd
	v_add_co_ci_u32_e64 v67, null, v4, v18, vcc_lo
	v_mul_lo_u32 v17, s86, v17
	v_add_co_ci_u32_e64 v68, null, v29, v18, s4
	v_add_co_ci_u32_e64 v69, null, v15, v18, s5
	v_ashrrev_i32_e32 v18, 31, v13
	v_add_co_u32 v121, vcc_lo, v3, v13
	v_add_co_u32 v72, s4, v16, v13
	v_add_co_u32 v150, s5, v2, v13
	v_add_co_u32 v74, s6, v11, v13
	v_add_nc_u32_e32 v13, 26, v1
	s_wait_alu 0xf1ff
	v_add_co_ci_u32_e64 v75, null, v34, v18, s6
	s_wait_alu 0xfffd
	v_add_co_ci_u32_e64 v76, null, v4, v18, vcc_lo
	v_add_co_ci_u32_e64 v77, null, v29, v18, s4
	v_add_co_ci_u32_e64 v123, null, v15, v18, s5
	;; [unrolled: 26-line block ×5, first 2 shown]
	v_mul_lo_u32 v13, s86, v13
	v_ashrrev_i32_e32 v18, 31, v17
	v_add_co_u32 v200, vcc_lo, v3, v17
	v_add_co_u32 v203, s4, v16, v17
	v_add_co_u32 v214, s5, v2, v17
	v_add_co_u32 v184, s6, v11, v17
	v_add_nc_u32_e32 v17, 19, v1
	s_wait_alu 0xf1ff
	v_add_co_ci_u32_e64 v185, null, v34, v18, s6
	s_wait_alu 0xfffd
	v_add_co_ci_u32_e64 v230, null, v4, v18, vcc_lo
	v_mul_lo_u32 v17, s86, v17
	v_add_co_ci_u32_e64 v206, null, v29, v18, s4
	v_add_co_ci_u32_e64 v226, null, v15, v18, s5
	v_ashrrev_i32_e32 v18, 31, v13
	v_add_co_u32 v238, vcc_lo, v3, v13
	v_add_co_u32 v218, s4, v16, v13
	v_add_co_u32 v205, s5, v2, v13
	;; [unrolled: 1-line block ×3, first 2 shown]
	s_wait_alu 0xf1ff
	v_add_co_ci_u32_e64 v193, null, v34, v18, s6
	s_wait_alu 0xfffd
	v_add_co_ci_u32_e64 v207, null, v4, v18, vcc_lo
	v_add_co_ci_u32_e64 v234, null, v29, v18, s4
	v_add_co_ci_u32_e64 v235, null, v15, v18, s5
	v_ashrrev_i32_e32 v13, 31, v17
	v_add_co_u32 v219, vcc_lo, v3, v17
	v_add_co_u32 v231, s4, v16, v17
	v_add_co_u32 v224, s5, v2, v17
	;; [unrolled: 1-line block ×3, first 2 shown]
	v_add_nc_u32_e32 v17, s86, v14
	s_wait_alu 0xf1ff
	v_add_co_ci_u32_e64 v201, null, v34, v13, s6
	s_wait_alu 0xfffd
	v_add_co_ci_u32_e64 v227, null, v4, v13, vcc_lo
	v_add_nc_u32_e32 v18, s86, v17
	v_add_co_ci_u32_e64 v250, null, v29, v13, s4
	v_add_co_ci_u32_e64 v225, null, v15, v13, s5
	s_delay_alu instid0(VALU_DEP_3) | instskip(SKIP_3) | instid1(VALU_DEP_4)
	v_add_nc_u32_e32 v13, s86, v18
	v_lshlrev_b32_e32 v1, 1, v1
	v_ashrrev_i32_e32 v112, 31, v18
	v_add_co_u32 v151, s55, v2, v18
	v_add_nc_u32_e32 v19, s86, v13
	v_ashrrev_i32_e32 v111, 31, v13
	v_add_co_u32 v143, s59, v2, v17
	v_add_co_u32 v149, s63, v2, v14
	s_delay_alu instid0(VALU_DEP_4) | instskip(SKIP_3) | instid1(VALU_DEP_4)
	v_add_nc_u32_e32 v20, s86, v19
	v_ashrrev_i32_e32 v110, 31, v19
	v_add_co_u32 v142, s45, v3, v19
	v_add_co_u32 v153, s46, v16, v19
	v_add_nc_u32_e32 v21, s86, v20
	v_ashrrev_i32_e32 v109, 31, v20
	v_add_co_u32 v138, s41, v3, v20
	v_add_co_u32 v139, s43, v2, v20
	s_delay_alu instid0(VALU_DEP_4) | instskip(SKIP_3) | instid1(VALU_DEP_4)
	v_add_nc_u32_e32 v22, s86, v21
	v_ashrrev_i32_e32 v108, 31, v21
	v_add_co_u32 v154, s37, v3, v21
	v_add_co_u32 v140, s39, v2, v21
	v_add_nc_u32_e32 v23, s86, v22
	v_ashrrev_i32_e32 v107, 31, v22
	v_ashrrev_i32_e32 v113, 31, v17
	;; [unrolled: 1-line block ×3, first 2 shown]
	v_add_co_u32 v147, s57, v3, v17
	v_add_nc_u32_e32 v71, s86, v23
	v_ashrrev_i32_e32 v106, 31, v23
	v_add_co_u32 v145, s65, v3, v14
	v_add_co_u32 v156, s58, v16, v17
	s_delay_alu instid0(VALU_DEP_4)
	v_add_nc_u32_e32 v99, s86, v71
	v_add_co_u32 v144, s61, v16, v14
	s_clause 0x1
	scratch_store_b32 off, v1, off offset:504
	scratch_store_b64 off, v[119:120], off offset:476
	v_add_nc_u32_e32 v100, s86, v99
	s_delay_alu instid0(VALU_DEP_1) | instskip(SKIP_1) | instid1(VALU_DEP_2)
	v_add_nc_u32_e32 v101, s86, v100
	v_add_co_u32 v253, s15, v11, v100
	v_add_nc_u32_e32 v102, s86, v101
	v_add_co_u32 v252, s12, v3, v101
	v_add_co_u32 v248, s14, v2, v101
	s_delay_alu instid0(VALU_DEP_3)
	v_add_co_u32 v46, s10, v2, v102
	v_add_nc_u32_e32 v103, s86, v102
	v_add_co_u32 v239, s7, v11, v102
	scratch_store_b32 off, v46, off offset:612 ; 4-byte Folded Spill
	v_add_co_u32 v46, s11, v11, v101
	v_ashrrev_i32_e32 v104, 31, v103
	v_add_nc_u32_e32 v105, s86, v103
	v_add_co_u32 v243, vcc_lo, v11, v103
	scratch_store_b32 off, v46, off offset:628 ; 4-byte Folded Spill
	v_add_co_u32 v46, s13, v16, v101
	v_add_co_u32 v236, s4, v3, v103
	;; [unrolled: 1-line block ×3, first 2 shown]
	scratch_store_b32 off, v46, off offset:616 ; 4-byte Folded Spill
	v_add_co_u32 v46, s16, v3, v100
	v_add_co_u32 v240, s6, v2, v103
	v_ashrrev_i32_e32 v103, 31, v102
	scratch_store_b32 off, v46, off offset:584 ; 4-byte Folded Spill
	v_add_co_u32 v46, s17, v16, v100
	v_add_co_u32 v245, s8, v3, v102
	;; [unrolled: 1-line block ×3, first 2 shown]
	scratch_store_b32 off, v46, off offset:596 ; 4-byte Folded Spill
	v_add_co_u32 v46, s18, v2, v100
	v_ashrrev_i32_e32 v102, 31, v101
	v_ashrrev_i32_e32 v101, 31, v100
	;; [unrolled: 1-line block ×3, first 2 shown]
	scratch_store_b32 off, v46, off offset:568 ; 4-byte Folded Spill
	v_add_co_u32 v46, s19, v11, v99
	v_ashrrev_i32_e32 v114, 31, v105
	s_wait_alu 0xf1ff
	v_add_co_ci_u32_e64 v246, null, v4, v103, s8
	scratch_store_b32 off, v46, off offset:588 ; 4-byte Folded Spill
	v_add_co_u32 v46, s20, v3, v99
	v_add_co_ci_u32_e64 v242, null, v4, v102, s12
	v_add_co_ci_u32_e64 v251, null, v4, v101, s16
	scratch_store_b32 off, v46, off offset:560 ; 4-byte Folded Spill
	v_add_co_u32 v46, s21, v16, v99
	v_add_co_ci_u32_e64 v232, null, v15, v103, s10
	v_add_co_ci_u32_e64 v254, null, v15, v102, s14
	scratch_store_b32 off, v46, off offset:572 ; 4-byte Folded Spill
	v_add_co_u32 v46, s22, v2, v99
	v_ashrrev_i32_e32 v99, 31, v71
	v_add_co_ci_u32_e64 v116, null, v15, v101, s18
	scratch_store_b32 off, v46, off offset:552 ; 4-byte Folded Spill
	v_add_co_u32 v46, s23, v11, v71
	s_delay_alu instid0(VALU_DEP_1) | instskip(SKIP_3) | instid1(VALU_DEP_1)
	v_add_co_ci_u32_e64 v89, null, v34, v99, s23
	v_add_co_ci_u32_e64 v97, null, v15, v100, s22
	scratch_store_b32 off, v46, off offset:564 ; 4-byte Folded Spill
	v_add_co_u32 v46, s24, v3, v71
	v_add_co_ci_u32_e64 v81, null, v4, v99, s24
	s_wait_alu 0xfffd
	v_add_co_ci_u32_e64 v217, null, v34, v104, vcc_lo
	scratch_store_b32 off, v46, off offset:544 ; 4-byte Folded Spill
	v_add_co_u32 v46, s25, v16, v71
	s_wait_alu 0xf1ff
	v_add_co_ci_u32_e64 v73, null, v29, v99, s25
	v_add_co_ci_u32_e64 v255, null, v34, v103, s7
	scratch_store_b32 off, v46, off offset:556 ; 4-byte Folded Spill
	v_add_co_u32 v46, s26, v2, v71
	s_delay_alu instid0(VALU_DEP_1)
	v_add_co_ci_u32_e64 v95, null, v15, v99, s26
	v_add_co_u32 v71, s62, v2, v105
	scratch_store_b32 off, v46, off offset:536 ; 4-byte Folded Spill
	v_add_co_u32 v46, s27, v11, v23
	s_wait_alu 0xf1ff
	v_add_co_ci_u32_e64 v54, null, v34, v106, s27
	v_add_co_ci_u32_e64 v216, null, v15, v114, s62
	scratch_store_b32 off, v46, off offset:548 ; 4-byte Folded Spill
	v_add_co_u32 v46, s28, v3, v23
	s_delay_alu instid0(VALU_DEP_1)
	v_add_co_ci_u32_e64 v87, null, v4, v106, s28
	v_add_co_ci_u32_e64 v229, null, v29, v103, s9
	scratch_store_b32 off, v46, off offset:528 ; 4-byte Folded Spill
	v_add_co_u32 v46, s29, v16, v23
	v_add_co_u32 v23, s30, v2, v23
	s_wait_alu 0xf1ff
	v_add_co_ci_u32_e64 v94, null, v29, v106, s29
	v_add_co_ci_u32_e64 v233, null, v34, v102, s11
	scratch_store_b32 off, v23, off offset:512 ; 4-byte Folded Spill
	v_add_co_u32 v23, s31, v11, v22
	s_delay_alu instid0(VALU_DEP_1) | instskip(SKIP_3) | instid1(VALU_DEP_1)
	v_add_co_ci_u32_e64 v79, null, v34, v107, s31
	v_add_co_ci_u32_e64 v103, null, v34, v101, s15
	scratch_store_b32 off, v23, off offset:532 ; 4-byte Folded Spill
	v_add_co_u32 v23, s33, v3, v22
	v_add_co_ci_u32_e64 v86, null, v4, v107, s33
	v_add_co_ci_u32_e64 v249, null, v34, v100, s19
	scratch_store_b32 off, v23, off offset:460 ; 4-byte Folded Spill
	v_add_co_u32 v23, s34, v16, v22
	v_add_co_u32 v22, s35, v2, v22
	v_add_co_ci_u32_e64 v70, null, v29, v107, s34
	v_add_co_ci_u32_e64 v221, null, v29, v104, s5
	scratch_store_b32 off, v22, off offset:452 ; 4-byte Folded Spill
	v_add_co_u32 v22, s36, v11, v21
	s_delay_alu instid0(VALU_DEP_1)
	v_add_co_ci_u32_e64 v78, null, v34, v108, s36
	v_add_co_ci_u32_e64 v237, null, v29, v102, s13
	scratch_store_b32 off, v22, off offset:464 ; 4-byte Folded Spill
	v_add_co_u32 v22, s38, v16, v21
	v_add_co_u32 v21, s40, v11, v20
	v_add_co_ci_u32_e64 v96, null, v29, v108, s38
	v_add_co_ci_u32_e64 v88, null, v34, v109, s40
	scratch_store_b32 off, v21, off offset:448 ; 4-byte Folded Spill
	v_add_co_u32 v21, s42, v16, v20
	v_add_co_u32 v20, s44, v11, v19
	;; [unrolled: 1-line block ×3, first 2 shown]
	scratch_store_b32 off, v46, off offset:540 ; 4-byte Folded Spill
	v_add_co_ci_u32_e64 v99, null, v15, v110, s47
	scratch_store_b32 off, v19, off offset:428 ; 4-byte Folded Spill
	v_add_co_u32 v19, s48, v11, v13
	scratch_store_b32 off, v99, off offset:644 ; 4-byte Folded Spill
	v_add_co_ci_u32_e64 v46, null, v15, v106, s30
	scratch_store_b32 off, v19, off offset:436 ; 4-byte Folded Spill
	v_add_co_u32 v19, s49, v3, v13
	s_delay_alu instid0(VALU_DEP_1)
	v_add_co_ci_u32_e64 v99, null, v4, v111, s49
	v_add_co_ci_u32_e64 v106, null, v34, v111, s48
	scratch_store_b32 off, v19, off offset:420 ; 4-byte Folded Spill
	v_add_co_u32 v19, s50, v16, v13
	scratch_store_b32 off, v99, off offset:636 ; 4-byte Folded Spill
	v_add_co_ci_u32_e64 v99, null, v29, v111, s50
	v_add_co_u32 v13, s51, v2, v13
	v_add_co_u32 v2, s64, v11, v14
	scratch_store_b32 off, v99, off offset:640 ; 4-byte Folded Spill
	s_wait_alu 0xf1ff
	v_add_co_ci_u32_e64 v99, null, v15, v111, s51
	s_clause 0x1
	scratch_store_b32 off, v21, off offset:444
	scratch_store_b32 off, v13, off offset:384
	v_add_co_u32 v13, s52, v11, v18
	scratch_store_b32 off, v99, off offset:624 ; 4-byte Folded Spill
	v_add_co_ci_u32_e64 v99, null, v34, v112, s52
	s_clause 0x1
	scratch_store_b32 off, v23, off offset:524
	scratch_store_b32 off, v13, off offset:424
	v_add_co_u32 v13, s53, v3, v18
	scratch_store_b32 off, v99, off offset:632 ; 4-byte Folded Spill
	s_wait_alu 0xf1ff
	v_add_co_ci_u32_e64 v99, null, v4, v112, s53
	s_clause 0x3
	scratch_store_b32 off, v19, off offset:432
	scratch_store_b32 off, v13, off offset:348
	;; [unrolled: 1-line block ×4, first 2 shown]
	v_add_co_u32 v13, s54, v16, v18
	s_delay_alu instid0(VALU_DEP_1)
	v_add_co_ci_u32_e64 v99, null, v29, v112, s54
	v_add_co_u32 v2, s66, v11, v105
	s_clause 0x1
	scratch_store_b32 off, v13, off offset:416
	scratch_store_b32 off, v99, off offset:620
	v_add_co_ci_u32_e64 v99, null, v15, v112, s55
	scratch_store_b32 off, v22, off offset:456 ; 4-byte Folded Spill
	v_add_co_u32 v13, s56, v11, v17
	scratch_store_b32 off, v99, off offset:600 ; 4-byte Folded Spill
	v_add_co_ci_u32_e64 v99, null, v34, v113, s56
	v_add_co_ci_u32_e64 v11, null, v34, v114, s66
	v_add_co_u32 v3, s66, v3, v105
	scratch_store_b32 off, v13, off offset:380 ; 4-byte Folded Spill
	v_add_co_u32 v23, s60, v16, v105
	s_wait_alu 0xf1ff
	v_add_co_ci_u32_e64 v14, null, v4, v114, s66
	v_add_co_ci_u32_e64 v105, null, v4, v104, s4
	;; [unrolled: 1-line block ×7, first 2 shown]
	scratch_store_b32 off, v99, off offset:604 ; 4-byte Folded Spill
	v_add_co_ci_u32_e64 v99, null, v4, v113, s57
	scratch_store_b32 off, v20, off offset:440 ; 4-byte Folded Spill
	v_add_co_ci_u32_e64 v111, null, v4, v115, s65
	v_and_b32_e32 v4, 30, v118
	v_add_co_ci_u32_e64 v211, null, v29, v114, s60
	v_add_co_ci_u32_e64 v114, null, v15, v104, s6
	;; [unrolled: 1-line block ×7, first 2 shown]
	scratch_store_b32 off, v99, off offset:580 ; 4-byte Folded Spill
	v_add_co_ci_u32_e64 v99, null, v29, v113, s58
	v_add_co_ci_u32_e64 v113, null, v15, v113, s59
	;; [unrolled: 1-line block ×3, first 2 shown]
	v_add_nc_u32_e32 v4, 2, v4
	v_xor_b32_e32 v15, 1, v118
	v_add_co_ci_u32_e64 v34, null, v34, v115, s64
	v_add_co_ci_u32_e64 v104, null, v29, v101, s17
	s_delay_alu instid0(VALU_DEP_3)
	v_cmp_lt_i32_e32 vcc_lo, v15, v4
	v_add_co_ci_u32_e64 v21, null, v29, v100, s21
	v_add_co_ci_u32_e64 v112, null, v29, v115, s61
	s_wait_alu 0xfffd
	v_cndmask_b32_e32 v4, v118, v15, vcc_lo
	v_xor_b32_e32 v15, 4, v118
	v_xor_b32_e32 v29, 8, v118
	s_mul_u64 s[10:11], s[84:85], s[90:91]
	s_add_nc_u64 s[12:13], s[70:71], s[68:69]
	v_lshlrev_b32_e32 v4, 2, v4
	scratch_store_b32 off, v34, off offset:576 ; 4-byte Folded Spill
	v_xor_b32_e32 v34, 16, v118
	s_wait_alu 0xfffe
	v_add_co_u32 v0, s4, s10, v0
	scratch_store_b32 off, v4, off offset:484 ; 4-byte Folded Spill
	v_xor_b32_e32 v4, 2, v118
	s_add_nc_u64 s[14:15], s[72:73], s[96:97]
	s_lshl_b32 s66, s87, 7
	s_mul_i32 s6, s86, s98
	s_mul_i32 s7, s78, s98
	v_cmp_gt_i32_e32 vcc_lo, 32, v4
	s_wait_alu 0xfffe
	s_mul_i32 s8, s66, s78
	s_mul_i32 s9, s66, s86
	s_wait_alu 0xfffd
	v_cndmask_b32_e32 v4, v118, v4, vcc_lo
	v_cmp_gt_i32_e32 vcc_lo, 32, v15
	v_mul_lo_u32 v7, v7, s78
	s_wait_alu 0xfffd
	s_delay_alu instid0(VALU_DEP_3)
	v_dual_cndmask_b32 v15, v118, v15 :: v_dual_lshlrev_b32 v4, 2, v4
	v_cmp_gt_i32_e32 vcc_lo, 32, v29
	scratch_store_b32 off, v4, off offset:488 ; 4-byte Folded Spill
	s_wait_alu 0xfffd
	v_dual_cndmask_b32 v29, v118, v29 :: v_dual_lshlrev_b32 v4, 2, v15
	v_cmp_gt_i32_e32 vcc_lo, 32, v34
	v_add_nc_u32_e32 v1, s78, v7
	v_add_co_ci_u32_e64 v15, null, s11, 0, s4
	scratch_store_b32 off, v4, off offset:492 ; 4-byte Folded Spill
	s_wait_alu 0xfffd
	v_cndmask_b32_e32 v34, v118, v34, vcc_lo
	v_lshlrev_b32_e32 v4, 2, v29
	v_add_co_u32 v29, vcc_lo, v0, v1
	s_lshl_b64 s[4:5], s[66:67], 1
	scratch_store_b32 off, v4, off offset:496 ; 4-byte Folded Spill
	v_lshlrev_b32_e32 v4, 2, v34
	scratch_store_b32 off, v4, off offset:500 ; 4-byte Folded Spill
	v_ashrrev_i32_e32 v4, 31, v1
	s_wait_alu 0xfffd
	s_delay_alu instid0(VALU_DEP_1)
	v_add_co_ci_u32_e64 v34, null, v15, v4, vcc_lo
	v_add_co_u32 v29, vcc_lo, s12, v29
	scratch_store_b32 off, v29, off offset:24 ; 4-byte Folded Spill
	s_wait_alu 0xfffd
	v_add_co_ci_u32_e64 v29, null, s13, v34, vcc_lo
	v_add_co_u32 v25, vcc_lo, s14, v25
	s_wait_alu 0xfffd
	v_add_co_ci_u32_e64 v26, null, s15, v26, vcc_lo
	v_add_co_u32 v5, vcc_lo, s14, v5
	s_add_nc_u64 s[12:13], s[12:13], s[10:11]
	s_add_nc_u64 s[10:11], s[10:11], s[68:69]
	scratch_store_b32 off, v5, off offset:328 ; 4-byte Folded Spill
	s_wait_alu 0xfffd
	v_add_co_ci_u32_e64 v5, null, s15, v24, vcc_lo
	scratch_store_b32 off, v29, off offset:28 ; 4-byte Folded Spill
	s_wait_alu 0xfffe
	s_add_nc_u64 s[10:11], s[70:71], s[10:11]
	scratch_store_b32 off, v5, off          ; 4-byte Folded Spill
	v_add_co_u32 v5, vcc_lo, v25, 2
	scratch_store_b32 off, v5, off offset:4 ; 4-byte Folded Spill
	s_wait_alu 0xfffd
	v_add_co_ci_u32_e64 v5, null, 0, v26, vcc_lo
	s_clause 0x1
	scratch_store_b32 off, v99, off offset:592
	scratch_store_b32 off, v5, off offset:8
	v_add_co_u32 v5, vcc_lo, s14, v6
	s_wait_alu 0xfffd
	v_add_co_ci_u32_e64 v6, null, s15, v9, vcc_lo
	v_add_co_u32 v9, vcc_lo, s14, v27
	scratch_store_b32 off, v9, off offset:12 ; 4-byte Folded Spill
	s_wait_alu 0xfffd
	v_add_co_ci_u32_e64 v9, null, s15, v28, vcc_lo
	v_add_co_u32 v5, vcc_lo, v5, 2
	s_clause 0x1
	scratch_store_b32 off, v9, off offset:16
	scratch_store_b32 off, v5, off offset:20
	s_wait_alu 0xfffd
	v_add_co_ci_u32_e64 v5, null, 0, v6, vcc_lo
	scratch_store_b32 off, v5, off offset:332 ; 4-byte Folded Spill
	v_add_co_u32 v5, vcc_lo, s72, v30
	scratch_store_b32 off, v5, off offset:336 ; 4-byte Folded Spill
	s_wait_alu 0xfffd
	v_add_co_ci_u32_e64 v5, null, s73, v31, vcc_lo
	v_add_co_u32 v1, vcc_lo, s12, v1
	s_clause 0x1
	scratch_store_b32 off, v5, off offset:340
	scratch_store_b32 off, v1, off offset:32
	s_wait_alu 0xfffd
	v_add_co_ci_u32_e64 v1, null, s13, v4, vcc_lo
	v_add_co_u32 v0, vcc_lo, v0, s68
	v_ashrrev_i32_e32 v4, 31, v7
	scratch_store_b32 off, v1, off offset:36 ; 4-byte Folded Spill
	s_wait_alu 0xfffd
	v_add_co_ci_u32_e64 v1, null, s69, v15, vcc_lo
	v_add_co_u32 v0, vcc_lo, v0, v7
	s_wait_alu 0xfffd
	s_delay_alu instid0(VALU_DEP_2)
	v_add_co_ci_u32_e64 v1, null, v1, v4, vcc_lo
	v_add_co_u32 v5, vcc_lo, s72, v32
	s_wait_alu 0xfffd
	v_add_co_ci_u32_e64 v6, null, s73, v33, vcc_lo
	v_add_co_u32 v99, vcc_lo, s70, v0
	s_wait_alu 0xfffd
	v_add_co_ci_u32_e64 v100, null, s71, v1, vcc_lo
	v_add_co_u32 v0, vcc_lo, v5, 2
	scratch_store_b32 off, v0, off offset:352 ; 4-byte Folded Spill
	s_wait_alu 0xfffd
	v_add_co_ci_u32_e64 v0, null, 0, v6, vcc_lo
	scratch_store_b32 off, v0, off offset:356 ; 4-byte Folded Spill
	v_add_co_u32 v0, vcc_lo, s72, v8
	s_wait_alu 0xfffd
	v_add_co_ci_u32_e64 v1, null, s73, v12, vcc_lo
	v_add_co_u32 v5, vcc_lo, s72, v35
	scratch_store_b32 off, v5, off offset:360 ; 4-byte Folded Spill
	s_wait_alu 0xfffd
	v_add_co_ci_u32_e64 v5, null, s73, v36, vcc_lo
	v_add_co_u32 v0, vcc_lo, v0, 2
	s_clause 0x1
	scratch_store_b32 off, v5, off offset:364
	scratch_store_b32 off, v0, off offset:368
	s_wait_alu 0xfffd
	v_add_co_ci_u32_e64 v0, null, 0, v1, vcc_lo
	scratch_store_b32 off, v0, off offset:372 ; 4-byte Folded Spill
	v_add_co_u32 v0, vcc_lo, s72, v39
	s_wait_alu 0xfffd
	v_add_co_ci_u32_e64 v1, null, s73, v40, vcc_lo
	v_add_co_u32 v5, vcc_lo, s72, v37
	scratch_store_b32 off, v5, off offset:376 ; 4-byte Folded Spill
	s_wait_alu 0xfffd
	v_add_co_ci_u32_e64 v5, null, s73, v38, vcc_lo
	v_add_co_u32 v0, vcc_lo, v0, 2
	s_clause 0x1
	scratch_store_b32 off, v5, off offset:224
	scratch_store_b32 off, v0, off offset:228
	s_wait_alu 0xfffd
	v_add_co_ci_u32_e64 v0, null, 0, v1, vcc_lo
	scratch_store_b32 off, v0, off offset:232 ; 4-byte Folded Spill
	v_add_co_u32 v0, vcc_lo, s72, v41
	scratch_store_b32 off, v0, off offset:236 ; 4-byte Folded Spill
	s_wait_alu 0xfffd
	v_add_co_ci_u32_e64 v0, null, s73, v42, vcc_lo
	scratch_store_b32 off, v0, off offset:240 ; 4-byte Folded Spill
	v_add_co_u32 v0, vcc_lo, s72, v10
	s_wait_alu 0xfffd
	v_add_co_ci_u32_e64 v1, null, s73, v43, vcc_lo
	s_delay_alu instid0(VALU_DEP_2) | instskip(SKIP_1) | instid1(VALU_DEP_2)
	v_add_co_u32 v124, vcc_lo, v0, 2
	s_wait_alu 0xfffd
	v_add_co_ci_u32_e64 v125, null, 0, v1, vcc_lo
	s_wait_alu 0xfffe
	v_add_co_u32 v0, vcc_lo, s10, v7
	s_wait_alu 0xfffd
	v_add_co_ci_u32_e64 v1, null, s11, v4, vcc_lo
	v_add_co_u32 v4, vcc_lo, s72, v47
	s_wait_alu 0xfffd
	v_add_co_ci_u32_e64 v5, null, s73, v48, vcc_lo
	;; [unrolled: 3-line block ×3, first 2 shown]
	v_add_co_u32 v0, vcc_lo, v4, 2
	scratch_store_b32 off, v0, off offset:388 ; 4-byte Folded Spill
	s_wait_alu 0xfffd
	v_add_co_ci_u32_e64 v0, null, 0, v5, vcc_lo
	scratch_store_b32 off, v0, off offset:392 ; 4-byte Folded Spill
	v_add_co_u32 v0, vcc_lo, s72, v45
	s_wait_alu 0xfffd
	v_add_co_ci_u32_e64 v1, null, s73, v50, vcc_lo
	v_add_co_u32 v4, vcc_lo, s72, v44
	scratch_store_b32 off, v4, off offset:396 ; 4-byte Folded Spill
	s_wait_alu 0xfffd
	v_add_co_ci_u32_e64 v4, null, s73, v49, vcc_lo
	v_add_co_u32 v0, vcc_lo, v0, 2
	s_clause 0x1
	scratch_store_b32 off, v4, off offset:400
	scratch_store_b32 off, v0, off offset:404
	s_wait_alu 0xfffd
	v_add_co_ci_u32_e64 v0, null, 0, v1, vcc_lo
	scratch_store_b32 off, v0, off offset:408 ; 4-byte Folded Spill
	v_add_co_u32 v0, vcc_lo, s72, v55
	s_wait_alu 0xfffd
	v_add_co_ci_u32_e64 v1, null, s73, v58, vcc_lo
	v_add_co_u32 v4, vcc_lo, s72, v126
	scratch_store_b32 off, v4, off offset:412 ; 4-byte Folded Spill
	s_wait_alu 0xfffd
	v_add_co_ci_u32_e64 v4, null, s73, v51, vcc_lo
	v_add_co_u32 v126, vcc_lo, v0, 2
	s_wait_alu 0xfffd
	v_add_co_ci_u32_e64 v127, null, 0, v1, vcc_lo
	v_add_co_u32 v0, vcc_lo, s72, v53
	s_wait_alu 0xfffd
	v_add_co_ci_u32_e64 v1, null, s73, v60, vcc_lo
	v_add_co_u32 v128, vcc_lo, s72, v52
	scratch_store_b32 off, v4, off offset:244 ; 4-byte Folded Spill
	s_wait_alu 0xfffd
	v_add_co_ci_u32_e64 v4, null, s73, v59, vcc_lo
	v_add_co_u32 v131, vcc_lo, v0, 2
	s_wait_alu 0xfffd
	v_add_co_ci_u32_e64 v132, null, 0, v1, vcc_lo
	;; [unrolled: 10-line block ×3, first 2 shown]
	s_clause 0x1
	scratch_store_b32 off, v4, off offset:252
	scratch_store_b32 off, v0, off offset:256
	v_add_co_u32 v0, vcc_lo, s72, v63
	s_wait_alu 0xfffd
	v_add_co_ci_u32_e64 v1, null, s73, v68, vcc_lo
	v_add_co_u32 v137, vcc_lo, s72, v62
	s_wait_alu 0xfffd
	v_add_co_ci_u32_e64 v4, null, s73, v67, vcc_lo
	v_add_co_u32 v0, vcc_lo, v0, 2
	s_clause 0x1
	scratch_store_b32 off, v4, off offset:260
	scratch_store_b32 off, v0, off offset:264
	s_wait_alu 0xfffd
	v_add_co_ci_u32_e64 v0, null, 0, v1, vcc_lo
	scratch_store_b32 off, v0, off offset:268 ; 4-byte Folded Spill
	v_add_co_u32 v0, vcc_lo, s72, v74
	s_wait_alu 0xfffd
	v_add_co_ci_u32_e64 v1, null, s73, v75, vcc_lo
	v_add_co_u32 v4, vcc_lo, s72, v141
	scratch_store_b32 off, v4, off offset:272 ; 4-byte Folded Spill
	s_wait_alu 0xfffd
	v_add_co_ci_u32_e64 v4, null, s73, v69, vcc_lo
	v_add_co_u32 v0, vcc_lo, v0, 2
	s_clause 0x1
	scratch_store_b32 off, v4, off offset:276
	scratch_store_b32 off, v0, off offset:280
	s_wait_alu 0xfffd
	v_add_co_ci_u32_e64 v0, null, 0, v1, vcc_lo
	scratch_store_b32 off, v0, off offset:284 ; 4-byte Folded Spill
	v_add_co_u32 v0, vcc_lo, s72, v72
	s_wait_alu 0xfffd
	v_add_co_ci_u32_e64 v1, null, s73, v77, vcc_lo
	v_add_co_u32 v4, vcc_lo, s72, v121
	scratch_store_b32 off, v4, off offset:288 ; 4-byte Folded Spill
	s_wait_alu 0xfffd
	v_add_co_ci_u32_e64 v4, null, s73, v76, vcc_lo
	v_add_co_u32 v0, vcc_lo, v0, 2
	s_clause 0x1
	scratch_store_b32 off, v4, off offset:292
	scratch_store_b32 off, v0, off offset:296
	s_wait_alu 0xfffd
	v_add_co_ci_u32_e64 v0, null, 0, v1, vcc_lo
	scratch_store_b32 off, v0, off offset:300 ; 4-byte Folded Spill
	v_add_co_u32 v0, vcc_lo, s72, v82
	s_wait_alu 0xfffd
	v_add_co_ci_u32_e64 v1, null, s73, v83, vcc_lo
	v_add_co_u32 v4, vcc_lo, s72, v150
	v_mov_b32_e32 v150, 0
	scratch_store_b32 off, v4, off offset:304 ; 4-byte Folded Spill
	s_wait_alu 0xfffd
	v_add_co_ci_u32_e64 v4, null, s73, v123, vcc_lo
	v_add_co_u32 v0, vcc_lo, v0, 2
	v_mov_b32_e32 v123, 0
	s_clause 0x1
	scratch_store_b32 off, v4, off offset:308
	scratch_store_b32 off, v0, off offset:316
	s_wait_alu 0xfffd
	v_add_co_ci_u32_e64 v0, null, 0, v1, vcc_lo
	scratch_store_b32 off, v0, off offset:320 ; 4-byte Folded Spill
	v_add_co_u32 v0, vcc_lo, s72, v80
	s_wait_alu 0xfffd
	v_add_co_ci_u32_e64 v1, null, s73, v85, vcc_lo
	v_add_co_u32 v4, vcc_lo, s72, v209
	v_mov_b32_e32 v85, 0
	scratch_store_b32 off, v4, off offset:324 ; 4-byte Folded Spill
	s_wait_alu 0xfffd
	v_add_co_ci_u32_e64 v4, null, s73, v84, vcc_lo
	v_add_co_u32 v155, vcc_lo, v0, 2
	s_wait_alu 0xfffd
	v_add_co_ci_u32_e64 v152, null, 0, v1, vcc_lo
	v_add_co_u32 v0, vcc_lo, s72, v90
	;; [unrolled: 3-line block ×67, first 2 shown]
	s_clause 0x1
	scratch_load_b32 v0, off, off offset:628 th:TH_LOAD_LU
	scratch_load_b32 v2, off, off offset:612 th:TH_LOAD_LU
	s_wait_alu 0xfffd
	v_add_co_ci_u32_e64 v245, null, 0, v1, vcc_lo
	s_wait_loadcnt 0x1
	v_add_co_u32 v0, vcc_lo, s72, v0
	s_wait_alu 0xfffd
	v_add_co_ci_u32_e64 v1, null, s73, v233, vcc_lo
	s_wait_loadcnt 0x0
	v_add_co_u32 v233, vcc_lo, s72, v2
	s_wait_alu 0xfffd
	v_add_co_ci_u32_e64 v232, null, s73, v232, vcc_lo
	v_add_co_u32 v246, vcc_lo, v0, 2
	scratch_load_b32 v0, off, off offset:616 th:TH_LOAD_LU ; 4-byte Folded Reload
	s_wait_alu 0xfffd
	v_add_co_ci_u32_e64 v247, null, 0, v1, vcc_lo
	scratch_load_b32 v2, off, off offset:584 th:TH_LOAD_LU ; 4-byte Folded Reload
	s_wait_loadcnt 0x1
	v_add_co_u32 v0, vcc_lo, s72, v0
	s_wait_alu 0xfffd
	v_add_co_ci_u32_e64 v1, null, s73, v237, vcc_lo
	v_add_co_u32 v237, vcc_lo, s72, v252
	s_wait_alu 0xfffd
	v_add_co_ci_u32_e64 v242, null, s73, v242, vcc_lo
	;; [unrolled: 3-line block ×5, first 2 shown]
	v_add_co_u32 v62, vcc_lo, v0, 2
	scratch_load_b32 v0, off, off offset:596 th:TH_LOAD_LU ; 4-byte Folded Reload
	s_wait_alu 0xfffd
	v_add_co_ci_u32_e64 v64, null, 0, v1, vcc_lo
	s_wait_loadcnt 0x0
	v_add_co_u32 v0, vcc_lo, s72, v0
	s_wait_alu 0xfffd
	v_add_co_ci_u32_e64 v1, null, s73, v104, vcc_lo
	v_add_co_u32 v58, vcc_lo, s72, v2
	s_wait_alu 0xfffd
	v_add_co_ci_u32_e64 v60, null, s73, v251, vcc_lo
	v_add_co_u32 v59, vcc_lo, v0, 2
	s_clause 0x1
	scratch_load_b32 v0, off, off offset:588 th:TH_LOAD_LU
	scratch_load_b32 v2, off, off offset:568 th:TH_LOAD_LU
	s_wait_alu 0xfffd
	v_add_co_ci_u32_e64 v63, null, 0, v1, vcc_lo
	s_wait_loadcnt 0x1
	v_add_co_u32 v0, vcc_lo, s72, v0
	s_wait_alu 0xfffd
	v_add_co_ci_u32_e64 v1, null, s73, v249, vcc_lo
	s_wait_loadcnt 0x0
	v_add_co_u32 v66, vcc_lo, s72, v2
	s_wait_alu 0xfffd
	v_add_co_ci_u32_e64 v67, null, s73, v116, vcc_lo
	v_add_co_u32 v68, vcc_lo, v0, 2
	s_clause 0x1
	scratch_load_b32 v0, off, off offset:572 th:TH_LOAD_LU
	scratch_load_b32 v2, off, off offset:560 th:TH_LOAD_LU
	s_wait_alu 0xfffd
	v_add_co_ci_u32_e64 v69, null, 0, v1, vcc_lo
	s_wait_loadcnt 0x1
	v_add_co_u32 v0, vcc_lo, s72, v0
	s_wait_alu 0xfffd
	v_add_co_ci_u32_e64 v1, null, s73, v21, vcc_lo
	s_wait_loadcnt 0x0
	;; [unrolled: 14-line block ×3, first 2 shown]
	v_add_co_u32 v26, vcc_lo, s72, v2
	s_wait_alu 0xfffd
	v_add_co_ci_u32_e64 v27, null, s73, v97, vcc_lo
	v_add_co_u32 v28, vcc_lo, v0, 2
	s_clause 0x1
	scratch_load_b32 v0, off, off offset:556 th:TH_LOAD_LU
	scratch_load_b32 v2, off, off offset:544 th:TH_LOAD_LU
	s_wait_alu 0xfffd
	v_add_co_ci_u32_e64 v29, null, 0, v1, vcc_lo
	v_and_b32_e32 v89, 4, v148
	s_wait_loadcnt 0x1
	v_add_co_u32 v0, vcc_lo, s72, v0
	s_wait_alu 0xfffd
	v_add_co_ci_u32_e64 v1, null, s73, v73, vcc_lo
	s_wait_loadcnt 0x0
	v_add_co_u32 v30, vcc_lo, s72, v2
	s_wait_alu 0xfffd
	v_add_co_ci_u32_e64 v31, null, s73, v81, vcc_lo
	v_add_co_u32 v32, vcc_lo, v0, 2
	s_clause 0x1
	scratch_load_b32 v0, off, off offset:548 th:TH_LOAD_LU
	scratch_load_b32 v2, off, off offset:536 th:TH_LOAD_LU
	s_wait_alu 0xfffd
	v_add_co_ci_u32_e64 v33, null, 0, v1, vcc_lo
	s_wait_loadcnt 0x1
	v_add_co_u32 v0, vcc_lo, s72, v0
	s_wait_alu 0xfffd
	v_add_co_ci_u32_e64 v1, null, s73, v54, vcc_lo
	s_wait_loadcnt 0x0
	v_add_co_u32 v34, vcc_lo, s72, v2
	s_wait_alu 0xfffd
	v_add_co_ci_u32_e64 v35, null, s73, v95, vcc_lo
	v_add_co_u32 v36, vcc_lo, v0, 2
	s_clause 0x1
	scratch_load_b32 v0, off, off offset:540 th:TH_LOAD_LU
	scratch_load_b32 v2, off, off offset:528 th:TH_LOAD_LU
	s_wait_alu 0xfffd
	v_add_co_ci_u32_e64 v37, null, 0, v1, vcc_lo
	;; [unrolled: 14-line block ×3, first 2 shown]
	s_clause 0x1
	scratch_store_b32 off, v4, off offset:312
	scratch_store_b32 off, v148, off offset:512
	v_mov_b32_e32 v148, 0
	s_wait_loadcnt 0x1
	v_add_co_u32 v0, vcc_lo, s72, v0
	s_wait_alu 0xfffd
	v_add_co_ci_u32_e64 v1, null, s73, v79, vcc_lo
	s_wait_loadcnt 0x0
	v_add_co_u32 v42, vcc_lo, s72, v2
	s_wait_alu 0xfffd
	v_add_co_ci_u32_e64 v43, null, s73, v46, vcc_lo
	v_add_co_u32 v44, vcc_lo, v0, 2
	s_clause 0x1
	scratch_load_b32 v0, off, off offset:524 th:TH_LOAD_LU
	scratch_load_b32 v2, off, off offset:460 th:TH_LOAD_LU
	s_wait_alu 0xfffd
	v_add_co_ci_u32_e64 v45, null, 0, v1, vcc_lo
	s_wait_loadcnt 0x1
	v_add_co_u32 v0, vcc_lo, s72, v0
	s_wait_alu 0xfffd
	v_add_co_ci_u32_e64 v1, null, s73, v70, vcc_lo
	s_wait_loadcnt 0x0
	v_add_co_u32 v46, vcc_lo, s72, v2
	s_wait_alu 0xfffd
	v_add_co_ci_u32_e64 v47, null, s73, v86, vcc_lo
	v_add_co_u32 v48, vcc_lo, v0, 2
	s_clause 0x1
	scratch_load_b32 v0, off, off offset:464 th:TH_LOAD_LU
	scratch_load_b32 v2, off, off offset:452 th:TH_LOAD_LU
	s_wait_alu 0xfffd
	v_add_co_ci_u32_e64 v49, null, 0, v1, vcc_lo
	s_wait_loadcnt 0x1
	v_add_co_u32 v0, vcc_lo, s72, v0
	s_wait_alu 0xfffd
	v_add_co_ci_u32_e64 v1, null, s73, v78, vcc_lo
	s_wait_loadcnt 0x0
	v_add_co_u32 v50, vcc_lo, s72, v2
	s_wait_alu 0xfffd
	v_add_co_ci_u32_e64 v51, null, s73, v13, vcc_lo
	v_add_co_u32 v52, vcc_lo, v0, 2
	scratch_load_b32 v0, off, off offset:456 th:TH_LOAD_LU ; 4-byte Folded Reload
	s_wait_alu 0xfffd
	v_add_co_ci_u32_e64 v53, null, 0, v1, vcc_lo
	s_wait_loadcnt 0x0
	v_add_co_u32 v0, vcc_lo, s72, v0
	s_wait_alu 0xfffd
	v_add_co_ci_u32_e64 v1, null, s73, v96, vcc_lo
	v_add_co_u32 v54, vcc_lo, s72, v154
	s_wait_alu 0xfffd
	v_add_co_ci_u32_e64 v55, null, s73, v16, vcc_lo
	v_add_co_u32 v70, vcc_lo, v0, 2
	scratch_load_b32 v0, off, off offset:448 th:TH_LOAD_LU ; 4-byte Folded Reload
	s_wait_alu 0xfffd
	v_add_co_ci_u32_e64 v154, null, 0, v1, vcc_lo
	s_wait_loadcnt 0x0
	v_add_co_u32 v0, vcc_lo, s72, v0
	s_wait_alu 0xfffd
	v_add_co_ci_u32_e64 v1, null, s73, v88, vcc_lo
	;; [unrolled: 11-line block ×4, first 2 shown]
	v_add_co_u32 v9, vcc_lo, s72, v139
	s_wait_alu 0xfffd
	v_add_co_ci_u32_e64 v10, null, s73, v109, vcc_lo
	v_add_co_u32 v139, vcc_lo, v0, 2
	s_wait_alu 0xfffd
	v_add_co_ci_u32_e64 v141, null, 0, v1, vcc_lo
	;; [unrolled: 3-line block ×5, first 2 shown]
	scratch_load_b32 v1, off, off offset:436 th:TH_LOAD_LU ; 4-byte Folded Reload
	s_wait_loadcnt 0x0
	v_add_co_u32 v3, vcc_lo, s72, v1
	scratch_load_b32 v1, off, off offset:428 th:TH_LOAD_LU ; 4-byte Folded Reload
	s_wait_alu 0xfffd
	v_add_co_ci_u32_e64 v4, null, s73, v106, vcc_lo
	s_wait_loadcnt 0x0
	v_add_co_u32 v13, vcc_lo, s72, v1
	scratch_load_b32 v1, off, off offset:644 th:TH_LOAD_LU ; 4-byte Folded Reload
	s_wait_loadcnt 0x0
	s_wait_alu 0xfffd
	v_add_co_ci_u32_e64 v14, null, s73, v1, vcc_lo
	scratch_load_b32 v1, off, off offset:432 th:TH_LOAD_LU ; 4-byte Folded Reload
	v_add_co_u32 v3, vcc_lo, v3, 2
	s_wait_alu 0xfffd
	v_add_co_ci_u32_e64 v4, null, 0, v4, vcc_lo
	s_wait_loadcnt 0x0
	v_add_co_u32 v7, vcc_lo, s72, v1
	scratch_load_b32 v1, off, off offset:640 th:TH_LOAD_LU ; 4-byte Folded Reload
	s_wait_loadcnt 0x0
	s_wait_alu 0xfffd
	v_add_co_ci_u32_e64 v8, null, s73, v1, vcc_lo
	scratch_load_b32 v1, off, off offset:420 th:TH_LOAD_LU ; 4-byte Folded Reload
	s_wait_loadcnt 0x0
	v_add_co_u32 v71, vcc_lo, s72, v1
	scratch_load_b32 v1, off, off offset:636 th:TH_LOAD_LU ; 4-byte Folded Reload
	s_wait_loadcnt 0x0
	s_wait_alu 0xfffd
	v_add_co_ci_u32_e64 v72, null, s73, v1, vcc_lo
	scratch_load_b32 v1, off, off offset:424 th:TH_LOAD_LU ; 4-byte Folded Reload
	v_add_co_u32 v7, vcc_lo, v7, 2
	s_wait_alu 0xfffd
	v_add_co_ci_u32_e64 v8, null, 0, v8, vcc_lo
	s_wait_loadcnt 0x0
	v_add_co_u32 v11, vcc_lo, s72, v1
	scratch_load_b32 v1, off, off offset:632 th:TH_LOAD_LU ; 4-byte Folded Reload
	s_wait_loadcnt 0x0
	s_wait_alu 0xfffd
	v_add_co_ci_u32_e64 v12, null, s73, v1, vcc_lo
	scratch_load_b32 v1, off, off offset:384 th:TH_LOAD_LU ; 4-byte Folded Reload
	;; [unrolled: 17-line block ×4, first 2 shown]
	v_add_co_u32 v79, vcc_lo, s72, v151
	s_wait_loadcnt 0x0
	s_wait_alu 0xfffd
	v_add_co_ci_u32_e64 v80, null, s73, v1, vcc_lo
	scratch_load_b32 v1, off, off offset:592 th:TH_LOAD_LU ; 4-byte Folded Reload
	v_add_co_u32 v81, vcc_lo, v16, 2
	s_wait_alu 0xfffd
	v_add_co_ci_u32_e64 v82, null, 0, v17, vcc_lo
	v_add_co_u32 v16, vcc_lo, s72, v156
	v_mov_b32_e32 v156, 0xfeffffff
	s_wait_loadcnt 0x0
	s_wait_alu 0xfffd
	v_add_co_ci_u32_e64 v17, null, s73, v1, vcc_lo
	scratch_load_b32 v1, off, off offset:580 th:TH_LOAD_LU ; 4-byte Folded Reload
	v_add_co_u32 v83, vcc_lo, s72, v147
	s_wait_loadcnt 0x0
	s_wait_alu 0xfffd
	v_add_co_ci_u32_e64 v11, null, s73, v1, vcc_lo
	scratch_load_b32 v1, off, off offset:344 th:TH_LOAD_LU ; 4-byte Folded Reload
	v_add_co_u32 v84, vcc_lo, v16, 2
	s_wait_alu 0xfffd
	v_add_co_ci_u32_e64 v86, null, 0, v17, vcc_lo
	s_wait_loadcnt 0x0
	v_add_co_u32 v16, vcc_lo, s72, v1
	scratch_load_b32 v1, off, off offset:576 th:TH_LOAD_LU ; 4-byte Folded Reload
	s_wait_loadcnt 0x0
	s_wait_alu 0xfffd
	v_add_co_ci_u32_e64 v17, null, s73, v1, vcc_lo
	v_add_co_u32 v87, vcc_lo, s72, v143
	s_wait_alu 0xfffd
	v_add_co_ci_u32_e64 v18, null, s73, v113, vcc_lo
	v_add_co_u32 v129, vcc_lo, v16, 2
	;; [unrolled: 3-line block ×6, first 2 shown]
	s_wait_alu 0xfffd
	v_add_co_ci_u32_e64 v151, null, s73, v110, vcc_lo
	v_mov_b32_e32 v1, 0
	scratch_store_b32 off, v18, off offset:420 ; 4-byte Folded Spill
.LBB23_15:                              ; =>This Inner Loop Header: Depth=1
	v_add_co_u32 v16, vcc_lo, v101, s7
	s_wait_alu 0xfffd
	v_add_co_ci_u32_e64 v17, null, 0, v102, vcc_lo
	s_clause 0x1
	scratch_store_b32 off, v101, off offset:380
	scratch_store_b32 off, v102, off offset:384
	s_clause 0x7
	global_load_b32 v18, v[16:17], off offset:-140
	global_load_b32 v19, v[16:17], off offset:-120
	;; [unrolled: 1-line block ×7, first 2 shown]
	global_load_b32 v91, v[16:17], off
	v_add_co_u32 v16, vcc_lo, v99, s7
	s_wait_alu 0xfffd
	v_add_co_ci_u32_e64 v17, null, 0, v100, vcc_lo
	s_clause 0x1
	scratch_store_b32 off, v99, off offset:344
	scratch_store_b32 off, v100, off offset:348
	s_clause 0x7
	global_load_b32 v93, v[16:17], off offset:4
	global_load_b32 v94, v[16:17], off offset:12
	;; [unrolled: 1-line block ×8, first 2 shown]
	s_clause 0x1
	scratch_load_b64 v[103:104], off, off offset:40
	scratch_load_b128 v[105:108], off, off offset:72
	s_and_b32 vcc_lo, exec_lo, s79
	scratch_load_b64 v[109:110], off, off offset:144 ; 8-byte Folded Reload
	s_wait_loadcnt 0x12
	v_cvt_f32_f16_e32 v92, v18
	v_lshrrev_b32_e32 v18, 16, v18
	s_delay_alu instid0(VALU_DEP_1)
	v_cvt_f32_f16_e32 v18, v18
	s_wait_loadcnt 0xa
	v_and_b32_e32 v101, 0xf0f0f0f, v93
	s_wait_loadcnt 0x9
	v_lshrrev_b32_e32 v102, 4, v94
	v_and_b32_e32 v94, 0xf0f0f0f, v94
	v_lshrrev_b32_e32 v93, 4, v93
	s_delay_alu instid0(VALU_DEP_3) | instskip(SKIP_1) | instid1(VALU_DEP_3)
	v_and_b32_e32 v102, 0xf0f0f0f, v102
	s_wait_loadcnt 0x2
	v_dot4_i32_iu8 v94, v94, v104, 0 neg_lo:[1,1,0]
	s_wait_loadcnt 0x1
	v_mul_f32_e32 v92, v105, v92
	v_dot4_i32_iu8 v101, v101, v103, 0 neg_lo:[1,1,0]
	scratch_load_b64 v[103:104], off, off offset:48 ; 8-byte Folded Reload
	v_dual_mul_f32 v18, v106, v18 :: v_dual_and_b32 v93, 0xf0f0f0f, v93
	v_cvt_f32_i32_e32 v94, v94
	v_cvt_f32_i32_e32 v101, v101
	s_delay_alu instid0(VALU_DEP_3) | instskip(NEXT) | instid1(VALU_DEP_1)
	v_mul_f32_e32 v18, 0x3e000000, v18
	v_fma_f32 v101, v92, v101, v18
	s_delay_alu instid0(VALU_DEP_4)
	v_fma_f32 v94, v92, v94, v18
	s_wait_loadcnt 0x0
	v_dot4_i32_iu8 v102, v102, v104, 0 neg_lo:[1,1,0]
	scratch_load_b64 v[104:105], off, off offset:56 ; 8-byte Folded Reload
	v_dot4_i32_iu8 v93, v93, v103, 0 neg_lo:[1,1,0]
	v_lshrrev_b32_e32 v103, 4, v96
	v_and_b32_e32 v96, 0xf0f0f0f, v96
	v_cvt_f32_i32_e32 v102, v102
	s_delay_alu instid0(VALU_DEP_4) | instskip(NEXT) | instid1(VALU_DEP_1)
	v_cvt_f32_i32_e32 v93, v93
	v_fma_f32 v93, v92, v93, v18
	s_delay_alu instid0(VALU_DEP_3)
	v_fmac_f32_e32 v18, v92, v102
	v_and_b32_e32 v102, 0xf0f0f0f, v95
	v_cvt_f32_f16_e32 v92, v19
	v_lshrrev_b32_e32 v19, 16, v19
	v_and_b32_e32 v103, 0xf0f0f0f, v103
	v_lshrrev_b32_e32 v95, 4, v95
	s_delay_alu instid0(VALU_DEP_4) | instskip(NEXT) | instid1(VALU_DEP_4)
	v_mul_f32_e32 v92, v107, v92
	v_cvt_f32_f16_e32 v19, v19
	s_delay_alu instid0(VALU_DEP_3) | instskip(NEXT) | instid1(VALU_DEP_2)
	v_and_b32_e32 v95, 0xf0f0f0f, v95
	v_mul_f32_e32 v19, v108, v19
	s_delay_alu instid0(VALU_DEP_1)
	v_mul_f32_e32 v19, 0x3e000000, v19
	s_wait_loadcnt 0x0
	v_dot4_i32_iu8 v102, v102, v104, 0 neg_lo:[1,1,0]
	v_dot4_i32_iu8 v96, v96, v105, 0 neg_lo:[1,1,0]
	scratch_load_b64 v[104:105], off, off offset:64 ; 8-byte Folded Reload
	v_cvt_f32_i32_e32 v102, v102
	v_cvt_f32_i32_e32 v96, v96
	s_delay_alu instid0(VALU_DEP_2) | instskip(NEXT) | instid1(VALU_DEP_2)
	v_fma_f32 v102, v92, v102, v19
	v_fma_f32 v96, v92, v96, v19
	s_wait_loadcnt 0x0
	v_dot4_i32_iu8 v103, v103, v105, 0 neg_lo:[1,1,0]
	scratch_load_b128 v[105:108], off, off offset:88 ; 16-byte Folded Reload
	v_dot4_i32_iu8 v95, v95, v104, 0 neg_lo:[1,1,0]
	v_lshrrev_b32_e32 v104, 4, v98
	v_and_b32_e32 v98, 0xf0f0f0f, v98
	v_cvt_f32_i32_e32 v103, v103
	s_delay_alu instid0(VALU_DEP_4) | instskip(NEXT) | instid1(VALU_DEP_4)
	v_cvt_f32_i32_e32 v95, v95
	v_and_b32_e32 v104, 0xf0f0f0f, v104
	s_delay_alu instid0(VALU_DEP_4) | instskip(NEXT) | instid1(VALU_DEP_3)
	v_dot4_i32_iu8 v98, v98, v120, 0 neg_lo:[1,1,0]
	v_fma_f32 v95, v92, v95, v19
	v_fmac_f32_e32 v19, v92, v103
	v_cvt_f32_f16_e32 v92, v20
	v_lshrrev_b32_e32 v20, 16, v20
	v_and_b32_e32 v103, 0xf0f0f0f, v97
	v_lshrrev_b32_e32 v97, 4, v97
	v_cvt_f32_i32_e32 v98, v98
	s_delay_alu instid0(VALU_DEP_4) | instskip(SKIP_1) | instid1(VALU_DEP_1)
	v_cvt_f32_f16_e32 v20, v20
	s_wait_loadcnt 0x0
	v_dual_mul_f32 v20, v106, v20 :: v_dual_and_b32 v97, 0xf0f0f0f, v97
	v_mul_f32_e32 v92, v105, v92
	scratch_load_b64 v[105:106], off, off offset:136 ; 8-byte Folded Reload
	v_dot4_i32_iu8 v103, v103, v119, 0 neg_lo:[1,1,0]
	v_mul_f32_e32 v20, 0x3e000000, v20
	s_delay_alu instid0(VALU_DEP_2) | instskip(NEXT) | instid1(VALU_DEP_2)
	v_cvt_f32_i32_e32 v103, v103
	v_fma_f32 v98, v92, v98, v20
	s_delay_alu instid0(VALU_DEP_2)
	v_fma_f32 v103, v92, v103, v20
	s_wait_loadcnt 0x0
	v_dot4_i32_iu8 v97, v97, v105, 0 neg_lo:[1,1,0]
	v_dot4_i32_iu8 v104, v104, v106, 0 neg_lo:[1,1,0]
	v_lshrrev_b32_e32 v105, 4, v100
	v_and_b32_e32 v100, 0xf0f0f0f, v100
	s_delay_alu instid0(VALU_DEP_4) | instskip(NEXT) | instid1(VALU_DEP_4)
	v_cvt_f32_i32_e32 v97, v97
	v_cvt_f32_i32_e32 v104, v104
	s_delay_alu instid0(VALU_DEP_3) | instskip(NEXT) | instid1(VALU_DEP_3)
	v_dot4_i32_iu8 v100, v100, v110, 0 neg_lo:[1,1,0]
	v_fma_f32 v97, v92, v97, v20
	s_delay_alu instid0(VALU_DEP_3)
	v_fmac_f32_e32 v20, v92, v104
	v_cvt_f32_f16_e32 v92, v21
	v_and_b32_e32 v105, 0xf0f0f0f, v105
	v_lshrrev_b32_e32 v21, 16, v21
	v_and_b32_e32 v104, 0xf0f0f0f, v99
	v_lshrrev_b32_e32 v99, 4, v99
	v_mul_f32_e32 v92, v107, v92
	scratch_load_b64 v[106:107], off, off offset:152 ; 8-byte Folded Reload
	v_cvt_f32_f16_e32 v21, v21
	v_dot4_i32_iu8 v104, v104, v109, 0 neg_lo:[1,1,0]
	v_and_b32_e32 v99, 0xf0f0f0f, v99
	v_cvt_f32_i32_e32 v100, v100
	s_delay_alu instid0(VALU_DEP_4) | instskip(NEXT) | instid1(VALU_DEP_4)
	v_mul_f32_e32 v21, v108, v21
	v_cvt_f32_i32_e32 v104, v104
	s_delay_alu instid0(VALU_DEP_2) | instskip(NEXT) | instid1(VALU_DEP_1)
	v_mul_f32_e32 v21, 0x3e000000, v21
	v_fma_f32 v104, v92, v104, v21
	v_fma_f32 v100, v92, v100, v21
	s_wait_loadcnt 0x0
	v_dot4_i32_iu8 v99, v99, v106, 0 neg_lo:[1,1,0]
	v_dot4_i32_iu8 v105, v105, v107, 0 neg_lo:[1,1,0]
	s_delay_alu instid0(VALU_DEP_2) | instskip(NEXT) | instid1(VALU_DEP_2)
	v_cvt_f32_i32_e32 v99, v99
	v_cvt_f32_i32_e32 v105, v105
	s_delay_alu instid0(VALU_DEP_2) | instskip(NEXT) | instid1(VALU_DEP_2)
	v_fma_f32 v99, v92, v99, v21
	v_fmac_f32_e32 v21, v92, v105
	s_clause 0x7
	global_load_b32 v92, v[16:17], off offset:84
	global_load_b32 v105, v[16:17], off offset:92
	;; [unrolled: 1-line block ×8, first 2 shown]
	scratch_load_b64 v[116:117], off, off offset:160 ; 8-byte Folded Reload
	v_cvt_f32_f16_e32 v17, v22
	v_lshrrev_b32_e32 v22, 16, v22
	scratch_load_b64 v[121:122], off, off offset:192 ; 8-byte Folded Reload
	v_cvt_f32_f16_e32 v22, v22
	s_wait_loadcnt 0x9
	v_and_b32_e32 v111, 0xf0f0f0f, v92
	s_wait_loadcnt 0x8
	v_lshrrev_b32_e32 v112, 4, v105
	v_and_b32_e32 v105, 0xf0f0f0f, v105
	v_lshrrev_b32_e32 v92, 4, v92
	s_delay_alu instid0(VALU_DEP_3)
	v_and_b32_e32 v112, 0xf0f0f0f, v112
	s_wait_loadcnt 0x1
	v_dot4_i32_iu8 v111, v111, v116, 0 neg_lo:[1,1,0]
	scratch_load_b128 v[113:116], off, off offset:104 ; 16-byte Folded Reload
	v_dot4_i32_iu8 v105, v105, v117, 0 neg_lo:[1,1,0]
	scratch_load_b64 v[117:118], off, off offset:176 ; 8-byte Folded Reload
	v_and_b32_e32 v92, 0xf0f0f0f, v92
	v_cvt_f32_i32_e32 v111, v111
	v_cvt_f32_i32_e32 v105, v105
	s_wait_loadcnt 0x1
	v_dual_mul_f32 v17, v113, v17 :: v_dual_mul_f32 v22, v114, v22
	scratch_load_b64 v[113:114], off, off offset:168 ; 8-byte Folded Reload
	v_mul_f32_e32 v22, 0x3e000000, v22
	s_delay_alu instid0(VALU_DEP_1)
	v_fma_f32 v111, v17, v111, v22
	v_fma_f32 v105, v17, v105, v22
	s_wait_loadcnt 0x0
	v_dot4_i32_iu8 v92, v92, v113, 0 neg_lo:[1,1,0]
	v_dot4_i32_iu8 v112, v112, v114, 0 neg_lo:[1,1,0]
	v_lshrrev_b32_e32 v113, 4, v107
	v_and_b32_e32 v107, 0xf0f0f0f, v107
	s_delay_alu instid0(VALU_DEP_4) | instskip(NEXT) | instid1(VALU_DEP_4)
	v_cvt_f32_i32_e32 v92, v92
	v_cvt_f32_i32_e32 v112, v112
	s_delay_alu instid0(VALU_DEP_4) | instskip(NEXT) | instid1(VALU_DEP_4)
	v_and_b32_e32 v113, 0xf0f0f0f, v113
	v_dot4_i32_iu8 v107, v107, v118, 0 neg_lo:[1,1,0]
	s_delay_alu instid0(VALU_DEP_4) | instskip(NEXT) | instid1(VALU_DEP_4)
	v_fma_f32 v92, v17, v92, v22
	v_fmac_f32_e32 v22, v17, v112
	v_cvt_f32_f16_e32 v17, v23
	v_lshrrev_b32_e32 v23, 16, v23
	v_and_b32_e32 v112, 0xf0f0f0f, v106
	v_lshrrev_b32_e32 v106, 4, v106
	v_cvt_f32_i32_e32 v107, v107
	v_mul_f32_e32 v17, v115, v17
	scratch_load_b64 v[114:115], off, off offset:184 ; 8-byte Folded Reload
	v_cvt_f32_f16_e32 v23, v23
	v_dot4_i32_iu8 v112, v112, v117, 0 neg_lo:[1,1,0]
	s_delay_alu instid0(VALU_DEP_2) | instskip(NEXT) | instid1(VALU_DEP_2)
	v_dual_mul_f32 v23, v116, v23 :: v_dual_and_b32 v106, 0xf0f0f0f, v106
	v_cvt_f32_i32_e32 v112, v112
	s_delay_alu instid0(VALU_DEP_2) | instskip(NEXT) | instid1(VALU_DEP_1)
	v_mul_f32_e32 v23, 0x3e000000, v23
	v_fma_f32 v112, v17, v112, v23
	v_fma_f32 v107, v17, v107, v23
	s_wait_loadcnt 0x0
	v_dot4_i32_iu8 v113, v113, v115, 0 neg_lo:[1,1,0]
	scratch_load_b128 v[115:118], off, off offset:120 ; 16-byte Folded Reload
	v_dot4_i32_iu8 v106, v106, v114, 0 neg_lo:[1,1,0]
	v_lshrrev_b32_e32 v114, 4, v109
	v_and_b32_e32 v109, 0xf0f0f0f, v109
	v_cvt_f32_i32_e32 v113, v113
	s_delay_alu instid0(VALU_DEP_4) | instskip(NEXT) | instid1(VALU_DEP_4)
	v_cvt_f32_i32_e32 v106, v106
	v_and_b32_e32 v114, 0xf0f0f0f, v114
	s_delay_alu instid0(VALU_DEP_4) | instskip(NEXT) | instid1(VALU_DEP_3)
	v_dot4_i32_iu8 v109, v109, v122, 0 neg_lo:[1,1,0]
	v_fma_f32 v106, v17, v106, v23
	v_fmac_f32_e32 v23, v17, v113
	v_cvt_f32_f16_e32 v17, v90
	v_lshrrev_b32_e32 v90, 16, v90
	v_and_b32_e32 v113, 0xf0f0f0f, v108
	v_lshrrev_b32_e32 v108, 4, v108
	v_cvt_f32_i32_e32 v109, v109
	s_delay_alu instid0(VALU_DEP_4) | instskip(NEXT) | instid1(VALU_DEP_4)
	v_cvt_f32_f16_e32 v90, v90
	v_dot4_i32_iu8 v113, v113, v121, 0 neg_lo:[1,1,0]
	s_delay_alu instid0(VALU_DEP_4)
	v_and_b32_e32 v108, 0xf0f0f0f, v108
	scratch_load_b64 v[121:122], off, off offset:208 ; 8-byte Folded Reload
	v_cvt_f32_i32_e32 v113, v113
	s_wait_loadcnt 0x1
	v_dual_mul_f32 v17, v115, v17 :: v_dual_mul_f32 v90, v116, v90
	scratch_load_b64 v[115:116], off, off offset:200 ; 8-byte Folded Reload
	v_mul_f32_e32 v90, 0x3e000000, v90
	s_delay_alu instid0(VALU_DEP_1)
	v_fma_f32 v113, v17, v113, v90
	v_fma_f32 v109, v17, v109, v90
	s_wait_loadcnt 0x0
	v_dot4_i32_iu8 v108, v108, v115, 0 neg_lo:[1,1,0]
	v_dot4_i32_iu8 v114, v114, v116, 0 neg_lo:[1,1,0]
	v_lshrrev_b32_e32 v115, 4, v16
	v_and_b32_e32 v16, 0xf0f0f0f, v16
	s_delay_alu instid0(VALU_DEP_4) | instskip(NEXT) | instid1(VALU_DEP_4)
	v_cvt_f32_i32_e32 v108, v108
	v_cvt_f32_i32_e32 v114, v114
	s_delay_alu instid0(VALU_DEP_4) | instskip(NEXT) | instid1(VALU_DEP_4)
	v_and_b32_e32 v115, 0xf0f0f0f, v115
	v_dot4_i32_iu8 v16, v16, v122, 0 neg_lo:[1,1,0]
	scratch_load_b32 v122, off, off offset:484 ; 4-byte Folded Reload
	v_fma_f32 v108, v17, v108, v90
	v_fmac_f32_e32 v90, v17, v114
	v_cvt_f32_f16_e32 v17, v91
	v_lshrrev_b32_e32 v91, 16, v91
	v_and_b32_e32 v114, 0xf0f0f0f, v110
	v_lshrrev_b32_e32 v110, 4, v110
	v_cvt_f32_i32_e32 v16, v16
	v_mul_f32_e32 v17, v117, v17
	scratch_load_b64 v[116:117], off, off offset:216 ; 8-byte Folded Reload
	v_cvt_f32_f16_e32 v91, v91
	v_and_b32_e32 v110, 0xf0f0f0f, v110
	v_dot4_i32_iu8 v114, v114, v121, 0 neg_lo:[1,1,0]
	s_delay_alu instid0(VALU_DEP_3) | instskip(NEXT) | instid1(VALU_DEP_2)
	v_mul_f32_e32 v91, v118, v91
	v_cvt_f32_i32_e32 v114, v114
	s_delay_alu instid0(VALU_DEP_2) | instskip(NEXT) | instid1(VALU_DEP_1)
	v_mul_f32_e32 v91, 0x3e000000, v91
	v_fma_f32 v114, v17, v114, v91
	v_fma_f32 v16, v17, v16, v91
	s_wait_loadcnt 0x0
	v_dot4_i32_iu8 v110, v110, v116, 0 neg_lo:[1,1,0]
	v_dot4_i32_iu8 v115, v115, v117, 0 neg_lo:[1,1,0]
	s_delay_alu instid0(VALU_DEP_2) | instskip(NEXT) | instid1(VALU_DEP_2)
	v_cvt_f32_i32_e32 v110, v110
	v_cvt_f32_i32_e32 v115, v115
	s_delay_alu instid0(VALU_DEP_2) | instskip(NEXT) | instid1(VALU_DEP_2)
	v_fma_f32 v110, v17, v110, v91
	v_fmac_f32_e32 v91, v17, v115
	v_add_f32_e32 v17, 0, v101
	s_delay_alu instid0(VALU_DEP_1) | instskip(NEXT) | instid1(VALU_DEP_1)
	v_add_f32_e32 v17, v17, v94
	v_add_f32_e32 v17, v17, v93
	s_delay_alu instid0(VALU_DEP_1) | instskip(NEXT) | instid1(VALU_DEP_1)
	v_add_f32_e32 v17, v17, v18
	;; [unrolled: 3-line block ×15, first 2 shown]
	v_add_f32_e32 v16, v16, v110
	s_delay_alu instid0(VALU_DEP_1)
	v_add_f32_e32 v16, v16, v91
	ds_bpermute_b32 v17, v122, v16
	s_wait_dscnt 0x0
	v_add_f32_e32 v18, v16, v17
	s_wait_alu 0xfffe
	s_cbranch_vccz .LBB23_17
; %bb.16:                               ;   in Loop: Header=BB23_15 Depth=1
	global_load_u16 v16, v[56:57], off offset:-2
	scratch_load_b32 v17, off, off offset:468 ; 4-byte Folded Reload
	s_wait_loadcnt 0x0
	v_fma_mix_f32 v18, v17, v16, v18 op_sel_hi:[0,1,0]
.LBB23_17:                              ;   in Loop: Header=BB23_15 Depth=1
	s_clause 0x1
	scratch_load_b32 v16, off, off offset:32
	scratch_load_b32 v17, off, off offset:36
	s_wait_loadcnt 0x1
	v_add_co_u32 v16, vcc_lo, v16, s7
	s_wait_loadcnt 0x0
	s_wait_alu 0xfffd
	v_add_co_ci_u32_e64 v17, null, 0, v17, vcc_lo
	s_clause 0x7
	global_load_b32 v19, v[16:17], off
	global_load_b32 v20, v[16:17], off offset:20
	global_load_b32 v21, v[16:17], off offset:40
	;; [unrolled: 1-line block ×7, first 2 shown]
	s_clause 0x1
	scratch_load_b32 v16, off, off offset:24
	scratch_load_b32 v17, off, off offset:28
	s_wait_loadcnt 0x9
	v_cvt_f32_f16_e32 v93, v19
	v_lshrrev_b32_e32 v19, 16, v19
	s_delay_alu instid0(VALU_DEP_1)
	v_cvt_f32_f16_e32 v19, v19
	s_wait_loadcnt 0x1
	v_add_co_u32 v16, vcc_lo, v16, s7
	s_wait_loadcnt 0x0
	s_wait_alu 0xfffd
	v_add_co_ci_u32_e64 v17, null, 0, v17, vcc_lo
	s_and_not1_b32 vcc_lo, exec_lo, s79
	s_clause 0x7
	global_load_b32 v94, v[16:17], off offset:4
	global_load_b32 v95, v[16:17], off offset:12
	;; [unrolled: 1-line block ×8, first 2 shown]
	s_clause 0x2
	scratch_load_b64 v[104:105], off, off offset:40
	scratch_load_b128 v[106:109], off, off offset:72
	scratch_load_b64 v[110:111], off, off offset:144
	s_wait_loadcnt 0xa
	v_and_b32_e32 v102, 0xf0f0f0f, v94
	s_wait_loadcnt 0x9
	v_lshrrev_b32_e32 v103, 4, v95
	v_and_b32_e32 v95, 0xf0f0f0f, v95
	v_lshrrev_b32_e32 v94, 4, v94
	s_delay_alu instid0(VALU_DEP_3) | instskip(SKIP_1) | instid1(VALU_DEP_3)
	v_and_b32_e32 v103, 0xf0f0f0f, v103
	s_wait_loadcnt 0x2
	v_dot4_i32_iu8 v95, v95, v105, 0 neg_lo:[1,1,0]
	s_wait_loadcnt 0x1
	v_mul_f32_e32 v93, v106, v93
	v_dot4_i32_iu8 v102, v102, v104, 0 neg_lo:[1,1,0]
	scratch_load_b64 v[104:105], off, off offset:48 ; 8-byte Folded Reload
	v_dual_mul_f32 v19, v107, v19 :: v_dual_and_b32 v94, 0xf0f0f0f, v94
	v_cvt_f32_i32_e32 v95, v95
	v_cvt_f32_i32_e32 v102, v102
	s_delay_alu instid0(VALU_DEP_3) | instskip(NEXT) | instid1(VALU_DEP_1)
	v_mul_f32_e32 v19, 0x3e000000, v19
	v_fma_f32 v102, v93, v102, v19
	s_delay_alu instid0(VALU_DEP_4)
	v_fma_f32 v95, v93, v95, v19
	s_wait_loadcnt 0x0
	v_dot4_i32_iu8 v103, v103, v105, 0 neg_lo:[1,1,0]
	scratch_load_b64 v[105:106], off, off offset:56 ; 8-byte Folded Reload
	v_dot4_i32_iu8 v94, v94, v104, 0 neg_lo:[1,1,0]
	v_lshrrev_b32_e32 v104, 4, v97
	v_and_b32_e32 v97, 0xf0f0f0f, v97
	v_cvt_f32_i32_e32 v103, v103
	s_delay_alu instid0(VALU_DEP_4) | instskip(NEXT) | instid1(VALU_DEP_1)
	v_cvt_f32_i32_e32 v94, v94
	v_fma_f32 v94, v93, v94, v19
	s_delay_alu instid0(VALU_DEP_3)
	v_fmac_f32_e32 v19, v93, v103
	v_and_b32_e32 v103, 0xf0f0f0f, v96
	v_cvt_f32_f16_e32 v93, v20
	v_lshrrev_b32_e32 v20, 16, v20
	v_and_b32_e32 v104, 0xf0f0f0f, v104
	v_lshrrev_b32_e32 v96, 4, v96
	s_delay_alu instid0(VALU_DEP_4) | instskip(NEXT) | instid1(VALU_DEP_4)
	v_mul_f32_e32 v93, v108, v93
	v_cvt_f32_f16_e32 v20, v20
	s_delay_alu instid0(VALU_DEP_3) | instskip(NEXT) | instid1(VALU_DEP_2)
	v_and_b32_e32 v96, 0xf0f0f0f, v96
	v_mul_f32_e32 v20, v109, v20
	s_delay_alu instid0(VALU_DEP_1)
	v_mul_f32_e32 v20, 0x3e000000, v20
	s_wait_loadcnt 0x0
	v_dot4_i32_iu8 v103, v103, v105, 0 neg_lo:[1,1,0]
	v_dot4_i32_iu8 v97, v97, v106, 0 neg_lo:[1,1,0]
	scratch_load_b64 v[105:106], off, off offset:64 ; 8-byte Folded Reload
	v_cvt_f32_i32_e32 v103, v103
	v_cvt_f32_i32_e32 v97, v97
	s_delay_alu instid0(VALU_DEP_2) | instskip(NEXT) | instid1(VALU_DEP_2)
	v_fma_f32 v103, v93, v103, v20
	v_fma_f32 v97, v93, v97, v20
	s_wait_loadcnt 0x0
	v_dot4_i32_iu8 v104, v104, v106, 0 neg_lo:[1,1,0]
	scratch_load_b128 v[106:109], off, off offset:88 ; 16-byte Folded Reload
	v_dot4_i32_iu8 v96, v96, v105, 0 neg_lo:[1,1,0]
	v_lshrrev_b32_e32 v105, 4, v99
	v_and_b32_e32 v99, 0xf0f0f0f, v99
	v_cvt_f32_i32_e32 v104, v104
	s_delay_alu instid0(VALU_DEP_4) | instskip(NEXT) | instid1(VALU_DEP_4)
	v_cvt_f32_i32_e32 v96, v96
	v_and_b32_e32 v105, 0xf0f0f0f, v105
	s_delay_alu instid0(VALU_DEP_4) | instskip(NEXT) | instid1(VALU_DEP_3)
	v_dot4_i32_iu8 v99, v99, v120, 0 neg_lo:[1,1,0]
	v_fma_f32 v96, v93, v96, v20
	v_fmac_f32_e32 v20, v93, v104
	v_cvt_f32_f16_e32 v93, v21
	v_lshrrev_b32_e32 v21, 16, v21
	v_and_b32_e32 v104, 0xf0f0f0f, v98
	v_lshrrev_b32_e32 v98, 4, v98
	v_cvt_f32_i32_e32 v99, v99
	s_delay_alu instid0(VALU_DEP_4) | instskip(SKIP_1) | instid1(VALU_DEP_1)
	v_cvt_f32_f16_e32 v21, v21
	s_wait_loadcnt 0x0
	v_dual_mul_f32 v21, v107, v21 :: v_dual_and_b32 v98, 0xf0f0f0f, v98
	v_mul_f32_e32 v93, v106, v93
	scratch_load_b64 v[106:107], off, off offset:136 ; 8-byte Folded Reload
	v_dot4_i32_iu8 v104, v104, v119, 0 neg_lo:[1,1,0]
	v_mul_f32_e32 v21, 0x3e000000, v21
	s_delay_alu instid0(VALU_DEP_2) | instskip(NEXT) | instid1(VALU_DEP_2)
	v_cvt_f32_i32_e32 v104, v104
	v_fma_f32 v99, v93, v99, v21
	s_delay_alu instid0(VALU_DEP_2)
	v_fma_f32 v104, v93, v104, v21
	s_wait_loadcnt 0x0
	v_dot4_i32_iu8 v98, v98, v106, 0 neg_lo:[1,1,0]
	v_dot4_i32_iu8 v105, v105, v107, 0 neg_lo:[1,1,0]
	v_lshrrev_b32_e32 v106, 4, v101
	v_and_b32_e32 v101, 0xf0f0f0f, v101
	s_delay_alu instid0(VALU_DEP_4) | instskip(NEXT) | instid1(VALU_DEP_4)
	v_cvt_f32_i32_e32 v98, v98
	v_cvt_f32_i32_e32 v105, v105
	s_delay_alu instid0(VALU_DEP_3) | instskip(NEXT) | instid1(VALU_DEP_3)
	v_dot4_i32_iu8 v101, v101, v111, 0 neg_lo:[1,1,0]
	v_fma_f32 v98, v93, v98, v21
	s_delay_alu instid0(VALU_DEP_3)
	v_fmac_f32_e32 v21, v93, v105
	v_cvt_f32_f16_e32 v93, v22
	v_and_b32_e32 v106, 0xf0f0f0f, v106
	v_lshrrev_b32_e32 v22, 16, v22
	v_and_b32_e32 v105, 0xf0f0f0f, v100
	v_lshrrev_b32_e32 v100, 4, v100
	v_mul_f32_e32 v93, v108, v93
	scratch_load_b64 v[107:108], off, off offset:152 ; 8-byte Folded Reload
	v_cvt_f32_f16_e32 v22, v22
	v_dot4_i32_iu8 v105, v105, v110, 0 neg_lo:[1,1,0]
	v_and_b32_e32 v100, 0xf0f0f0f, v100
	v_cvt_f32_i32_e32 v101, v101
	s_delay_alu instid0(VALU_DEP_4) | instskip(NEXT) | instid1(VALU_DEP_4)
	v_mul_f32_e32 v22, v109, v22
	v_cvt_f32_i32_e32 v105, v105
	s_delay_alu instid0(VALU_DEP_2) | instskip(NEXT) | instid1(VALU_DEP_1)
	v_mul_f32_e32 v22, 0x3e000000, v22
	v_fma_f32 v105, v93, v105, v22
	v_fma_f32 v101, v93, v101, v22
	s_wait_loadcnt 0x0
	v_dot4_i32_iu8 v100, v100, v107, 0 neg_lo:[1,1,0]
	v_dot4_i32_iu8 v106, v106, v108, 0 neg_lo:[1,1,0]
	s_delay_alu instid0(VALU_DEP_2) | instskip(NEXT) | instid1(VALU_DEP_2)
	v_cvt_f32_i32_e32 v100, v100
	v_cvt_f32_i32_e32 v106, v106
	s_delay_alu instid0(VALU_DEP_2) | instskip(NEXT) | instid1(VALU_DEP_2)
	v_fma_f32 v100, v93, v100, v22
	v_fmac_f32_e32 v22, v93, v106
	s_clause 0x7
	global_load_b32 v93, v[16:17], off offset:84
	global_load_b32 v106, v[16:17], off offset:92
	;; [unrolled: 1-line block ×8, first 2 shown]
	scratch_load_b64 v[118:119], off, off offset:160 ; 8-byte Folded Reload
	v_cvt_f32_f16_e32 v17, v23
	v_lshrrev_b32_e32 v23, 16, v23
	scratch_load_b64 v[120:121], off, off offset:192 ; 8-byte Folded Reload
	v_cvt_f32_f16_e32 v23, v23
	s_wait_loadcnt 0x9
	v_and_b32_e32 v112, 0xf0f0f0f, v93
	s_wait_loadcnt 0x8
	v_lshrrev_b32_e32 v113, 4, v106
	v_lshrrev_b32_e32 v93, 4, v93
	s_delay_alu instid0(VALU_DEP_2) | instskip(NEXT) | instid1(VALU_DEP_2)
	v_and_b32_e32 v113, 0xf0f0f0f, v113
	v_and_b32_e32 v93, 0xf0f0f0f, v93
	s_wait_loadcnt 0x1
	v_dot4_i32_iu8 v112, v112, v118, 0 neg_lo:[1,1,0]
	scratch_load_b128 v[115:118], off, off offset:104 ; 16-byte Folded Reload
	v_and_b32_e32 v106, 0xf0f0f0f, v106
	v_cvt_f32_i32_e32 v112, v112
	s_wait_loadcnt 0x0
	v_mul_f32_e32 v17, v115, v17
	scratch_load_b64 v[114:115], off, off offset:168 ; 8-byte Folded Reload
	v_mul_f32_e32 v23, v116, v23
	v_dot4_i32_iu8 v106, v106, v119, 0 neg_lo:[1,1,0]
	s_delay_alu instid0(VALU_DEP_2) | instskip(NEXT) | instid1(VALU_DEP_2)
	v_mul_f32_e32 v23, 0x3e000000, v23
	v_cvt_f32_i32_e32 v106, v106
	s_delay_alu instid0(VALU_DEP_2) | instskip(NEXT) | instid1(VALU_DEP_2)
	v_fma_f32 v112, v17, v112, v23
	v_fma_f32 v106, v17, v106, v23
	s_wait_loadcnt 0x0
	v_dot4_i32_iu8 v113, v113, v115, 0 neg_lo:[1,1,0]
	scratch_load_b64 v[115:116], off, off offset:176 ; 8-byte Folded Reload
	v_dot4_i32_iu8 v93, v93, v114, 0 neg_lo:[1,1,0]
	v_lshrrev_b32_e32 v114, 4, v108
	v_and_b32_e32 v108, 0xf0f0f0f, v108
	v_cvt_f32_i32_e32 v113, v113
	s_delay_alu instid0(VALU_DEP_4) | instskip(NEXT) | instid1(VALU_DEP_1)
	v_cvt_f32_i32_e32 v93, v93
	v_fma_f32 v93, v17, v93, v23
	s_delay_alu instid0(VALU_DEP_3) | instskip(SKIP_4) | instid1(VALU_DEP_3)
	v_fmac_f32_e32 v23, v17, v113
	v_and_b32_e32 v113, 0xf0f0f0f, v107
	v_cvt_f32_f16_e32 v17, v90
	v_lshrrev_b32_e32 v90, 16, v90
	v_lshrrev_b32_e32 v107, 4, v107
	v_dual_mul_f32 v17, v117, v17 :: v_dual_and_b32 v114, 0xf0f0f0f, v114
	s_delay_alu instid0(VALU_DEP_3) | instskip(NEXT) | instid1(VALU_DEP_1)
	v_cvt_f32_f16_e32 v90, v90
	v_dual_mul_f32 v90, v118, v90 :: v_dual_and_b32 v107, 0xf0f0f0f, v107
	s_delay_alu instid0(VALU_DEP_1)
	v_mul_f32_e32 v90, 0x3e000000, v90
	s_wait_loadcnt 0x0
	v_dot4_i32_iu8 v113, v113, v115, 0 neg_lo:[1,1,0]
	v_dot4_i32_iu8 v108, v108, v116, 0 neg_lo:[1,1,0]
	scratch_load_b64 v[115:116], off, off offset:184 ; 8-byte Folded Reload
	v_cvt_f32_i32_e32 v113, v113
	v_cvt_f32_i32_e32 v108, v108
	s_delay_alu instid0(VALU_DEP_2) | instskip(NEXT) | instid1(VALU_DEP_2)
	v_fma_f32 v113, v17, v113, v90
	v_fma_f32 v108, v17, v108, v90
	s_wait_loadcnt 0x0
	v_dot4_i32_iu8 v107, v107, v115, 0 neg_lo:[1,1,0]
	v_dot4_i32_iu8 v114, v114, v116, 0 neg_lo:[1,1,0]
	v_lshrrev_b32_e32 v115, 4, v110
	s_delay_alu instid0(VALU_DEP_3) | instskip(NEXT) | instid1(VALU_DEP_3)
	v_cvt_f32_i32_e32 v107, v107
	v_cvt_f32_i32_e32 v114, v114
	s_delay_alu instid0(VALU_DEP_3) | instskip(NEXT) | instid1(VALU_DEP_3)
	v_and_b32_e32 v115, 0xf0f0f0f, v115
	v_fma_f32 v107, v17, v107, v90
	s_delay_alu instid0(VALU_DEP_3) | instskip(SKIP_2) | instid1(VALU_DEP_1)
	v_fmac_f32_e32 v90, v17, v114
	v_cvt_f32_f16_e32 v17, v91
	v_lshrrev_b32_e32 v91, 16, v91
	v_cvt_f32_f16_e32 v91, v91
	v_and_b32_e32 v114, 0xf0f0f0f, v109
	v_lshrrev_b32_e32 v109, 4, v109
	s_delay_alu instid0(VALU_DEP_2)
	v_dot4_i32_iu8 v114, v114, v120, 0 neg_lo:[1,1,0]
	scratch_load_b128 v[117:120], off, off offset:120 ; 16-byte Folded Reload
	v_and_b32_e32 v110, 0xf0f0f0f, v110
	v_and_b32_e32 v109, 0xf0f0f0f, v109
	v_cvt_f32_i32_e32 v114, v114
	s_wait_loadcnt 0x0
	v_mul_f32_e32 v17, v117, v17
	scratch_load_b64 v[116:117], off, off offset:200 ; 8-byte Folded Reload
	v_mul_f32_e32 v91, v118, v91
	v_dot4_i32_iu8 v110, v110, v121, 0 neg_lo:[1,1,0]
	s_delay_alu instid0(VALU_DEP_2) | instskip(NEXT) | instid1(VALU_DEP_2)
	v_mul_f32_e32 v91, 0x3e000000, v91
	v_cvt_f32_i32_e32 v110, v110
	s_delay_alu instid0(VALU_DEP_2) | instskip(NEXT) | instid1(VALU_DEP_2)
	v_fma_f32 v114, v17, v114, v91
	v_fma_f32 v110, v17, v110, v91
	s_wait_loadcnt 0x0
	v_dot4_i32_iu8 v115, v115, v117, 0 neg_lo:[1,1,0]
	scratch_load_b64 v[117:118], off, off offset:208 ; 8-byte Folded Reload
	v_dot4_i32_iu8 v109, v109, v116, 0 neg_lo:[1,1,0]
	v_lshrrev_b32_e32 v116, 4, v16
	v_and_b32_e32 v16, 0xf0f0f0f, v16
	v_cvt_f32_i32_e32 v115, v115
	s_delay_alu instid0(VALU_DEP_4) | instskip(NEXT) | instid1(VALU_DEP_1)
	v_cvt_f32_i32_e32 v109, v109
	v_fma_f32 v109, v17, v109, v91
	s_delay_alu instid0(VALU_DEP_3) | instskip(SKIP_4) | instid1(VALU_DEP_3)
	v_fmac_f32_e32 v91, v17, v115
	v_and_b32_e32 v115, 0xf0f0f0f, v111
	v_cvt_f32_f16_e32 v17, v92
	v_lshrrev_b32_e32 v92, 16, v92
	v_lshrrev_b32_e32 v111, 4, v111
	v_dual_mul_f32 v17, v119, v17 :: v_dual_and_b32 v116, 0xf0f0f0f, v116
	s_delay_alu instid0(VALU_DEP_3) | instskip(NEXT) | instid1(VALU_DEP_1)
	v_cvt_f32_f16_e32 v92, v92
	v_dual_mul_f32 v92, v120, v92 :: v_dual_and_b32 v111, 0xf0f0f0f, v111
	s_delay_alu instid0(VALU_DEP_1)
	v_mul_f32_e32 v92, 0x3e000000, v92
	s_wait_loadcnt 0x0
	v_dot4_i32_iu8 v115, v115, v117, 0 neg_lo:[1,1,0]
	v_dot4_i32_iu8 v16, v16, v118, 0 neg_lo:[1,1,0]
	scratch_load_b64 v[117:118], off, off offset:216 ; 8-byte Folded Reload
	v_cvt_f32_i32_e32 v115, v115
	v_cvt_f32_i32_e32 v16, v16
	s_delay_alu instid0(VALU_DEP_2) | instskip(NEXT) | instid1(VALU_DEP_2)
	v_fma_f32 v115, v17, v115, v92
	v_fma_f32 v16, v17, v16, v92
	s_wait_loadcnt 0x0
	v_dot4_i32_iu8 v111, v111, v117, 0 neg_lo:[1,1,0]
	v_dot4_i32_iu8 v116, v116, v118, 0 neg_lo:[1,1,0]
	s_delay_alu instid0(VALU_DEP_2) | instskip(NEXT) | instid1(VALU_DEP_2)
	v_cvt_f32_i32_e32 v111, v111
	v_cvt_f32_i32_e32 v116, v116
	s_delay_alu instid0(VALU_DEP_2) | instskip(NEXT) | instid1(VALU_DEP_2)
	v_fma_f32 v111, v17, v111, v92
	v_dual_fmac_f32 v92, v17, v116 :: v_dual_add_f32 v17, 0, v102
	s_delay_alu instid0(VALU_DEP_1) | instskip(NEXT) | instid1(VALU_DEP_1)
	v_add_f32_e32 v17, v17, v95
	v_add_f32_e32 v17, v17, v94
	s_delay_alu instid0(VALU_DEP_1) | instskip(NEXT) | instid1(VALU_DEP_1)
	v_add_f32_e32 v17, v17, v19
	v_add_f32_e32 v17, v17, v103
	;; [unrolled: 3-line block ×15, first 2 shown]
	s_delay_alu instid0(VALU_DEP_1)
	v_add_f32_e32 v16, v16, v92
	ds_bpermute_b32 v17, v122, v16
	s_wait_dscnt 0x0
	v_add_f32_e32 v16, v16, v17
	s_wait_alu 0xfffe
	s_cbranch_vccnz .LBB23_19
; %bb.18:                               ;   in Loop: Header=BB23_15 Depth=1
	global_load_u16 v17, v[56:57], off
	scratch_load_b32 v19, off, off offset:468 ; 4-byte Folded Reload
	s_wait_loadcnt 0x0
	v_fma_mix_f32 v16, v19, v17, v16 op_sel_hi:[0,1,0]
.LBB23_19:                              ;   in Loop: Header=BB23_15 Depth=1
	s_clause 0xe
	scratch_load_b32 v90, off, off offset:328
	scratch_load_b32 v100, off, off
	scratch_load_b32 v99, off, off offset:4
	scratch_load_b32 v101, off, off offset:8
	;; [unrolled: 1-line block ×13, first 2 shown]
	v_add_f32_e32 v19, 0x40051340, v16
	v_cndmask_b32_e64 v16, v16, v18, s3
	v_dual_add_f32 v17, 0x40051340, v18 :: v_dual_mov_b32 v114, v57
	v_mov_b32_e32 v113, v56
	s_add_co_i32 s98, s98, s66
	s_wait_loadcnt 0x8
	s_clause 0x5
	scratch_store_b32 off, v104, off offset:20
	scratch_store_b32 off, v101, off offset:8
	scratch_store_b32 off, v100, off
	scratch_store_b32 off, v103, off offset:16
	scratch_store_b32 off, v102, off offset:12
	;; [unrolled: 1-line block ×3, first 2 shown]
	v_max3_num_f32 v17, v156, v17, v19
	s_clause 0x1
	scratch_load_b32 v19, off, off offset:488
	scratch_load_b32 v18, off, off offset:500
	s_cmp_ge_i32 s98, s94
	scratch_load_b32 v93, off, off offset:504 ; 4-byte Folded Reload
	v_mov_b32_e32 v117, v149
	v_mov_b32_e32 v107, v88
	s_wait_loadcnt 0x2
	ds_bpermute_b32 v19, v19, v17
	s_wait_dscnt 0x0
	v_max_num_f32_e32 v19, v19, v19
	s_delay_alu instid0(VALU_DEP_1)
	v_max_num_f32_e32 v17, v17, v19
	scratch_load_b32 v19, off, off offset:492 ; 4-byte Folded Reload
	s_wait_loadcnt 0x0
	ds_bpermute_b32 v19, v19, v17
	s_wait_dscnt 0x0
	v_max_num_f32_e32 v19, v19, v19
	s_delay_alu instid0(VALU_DEP_1)
	v_max_num_f32_e32 v17, v17, v19
	scratch_load_b32 v19, off, off offset:496 ; 4-byte Folded Reload
	s_wait_loadcnt 0x0
	ds_bpermute_b32 v19, v19, v17
	s_wait_dscnt 0x0
	v_max_num_f32_e32 v19, v19, v19
	s_delay_alu instid0(VALU_DEP_1) | instskip(SKIP_3) | instid1(VALU_DEP_1)
	v_max_num_f32_e32 v17, v17, v19
	ds_bpermute_b32 v18, v18, v17
	s_wait_dscnt 0x0
	v_max_num_f32_e32 v18, v18, v18
	v_max_num_f32_e32 v56, v17, v18
	s_delay_alu instid0(VALU_DEP_1) | instskip(NEXT) | instid1(VALU_DEP_1)
	v_sub_f32_e32 v16, v16, v56
	v_mul_f32_e32 v17, 0x3fb8aa3b, v16
	v_cmp_ngt_f32_e32 vcc_lo, 0xc2ce8ed0, v16
	s_delay_alu instid0(VALU_DEP_2) | instskip(SKIP_1) | instid1(VALU_DEP_1)
	v_fma_f32 v18, 0x3fb8aa3b, v16, -v17
	v_rndne_f32_e32 v19, v17
	v_dual_fmac_f32 v18, 0x32a5705f, v16 :: v_dual_sub_f32 v17, v17, v19
	s_delay_alu instid0(VALU_DEP_1) | instskip(SKIP_1) | instid1(VALU_DEP_2)
	v_add_f32_e32 v17, v17, v18
	v_cvt_i32_f32_e32 v18, v19
	v_exp_f32_e32 v17, v17
	s_delay_alu instid0(TRANS32_DEP_1) | instskip(SKIP_1) | instid1(VALU_DEP_1)
	v_ldexp_f32 v17, v17, v18
	s_wait_alu 0xfffd
	v_cndmask_b32_e32 v17, 0, v17, vcc_lo
	v_cmp_nlt_f32_e32 vcc_lo, 0x42b17218, v16
	s_wait_alu 0xfffd
	s_delay_alu instid0(VALU_DEP_2)
	v_cndmask_b32_e32 v91, 0x7f800000, v17, vcc_lo
	scratch_load_b32 v17, off, off offset:472 ; 4-byte Folded Reload
	v_cvt_f16_f32_e32 v16, v91
	s_wait_loadcnt 0x0
	ds_store_b16 v17, v16
	ds_load_b128 v[20:23], v93
	ds_load_b128 v[16:19], v93 offset:16
	s_wait_dscnt 0x1
	v_lshrrev_b32_e32 v57, 16, v21
	v_lshrrev_b32_e32 v94, 16, v20
	v_and_b32_e32 v96, 0xffff, v20
	v_and_b32_e32 v20, 0xffff, v22
	;; [unrolled: 1-line block ×3, first 2 shown]
	scratch_store_b32 off, v57, off offset:460 ; 4-byte Folded Spill
	v_lshrrev_b32_e32 v57, 16, v22
	s_wait_dscnt 0x0
	v_lshrrev_b32_e32 v121, 16, v17
	scratch_store_b32 off, v20, off offset:452 ; 4-byte Folded Spill
	v_and_b32_e32 v20, 0xffff, v23
	v_lshrrev_b32_e32 v118, 16, v18
	scratch_store_b32 off, v57, off offset:368 ; 4-byte Folded Spill
	v_lshrrev_b32_e32 v57, 16, v23
	v_lshrrev_b32_e32 v115, 16, v19
	scratch_store_b32 off, v20, off offset:352 ; 4-byte Folded Spill
	v_lshrrev_b32_e32 v20, 16, v16
	v_and_b32_e32 v16, 0xffff, v16
	scratch_store_b32 off, v57, off offset:340 ; 4-byte Folded Spill
	v_mul_u32_u24_e32 v96, 0x10001, v96
	v_mul_u32_u24_e32 v94, 0x10001, v94
	s_clause 0x1
	scratch_store_b32 off, v20, off offset:356
	scratch_store_b32 off, v16, off offset:360
	v_and_b32_e32 v16, 0xffff, v17
	v_mul_u32_u24_e32 v92, 0x10001, v92
	scratch_store_b32 off, v16, off offset:364 ; 4-byte Folded Spill
	v_and_b32_e32 v16, 0xffff, v18
	scratch_store_b32 off, v16, off offset:428 ; 4-byte Folded Spill
	v_and_b32_e32 v16, 0xffff, v19
	scratch_store_b32 off, v16, off offset:432 ; 4-byte Folded Spill
	ds_load_b128 v[16:19], v93 offset:32
	ds_load_b128 v[20:23], v93 offset:48
	s_wait_dscnt 0x1
	v_lshrrev_b32_e32 v93, 16, v17
	v_and_b32_e32 v95, 0xffff, v17
	v_and_b32_e32 v17, 0xffff, v19
	v_lshrrev_b32_e32 v57, 16, v18
	v_lshrrev_b32_e32 v97, 16, v16
	v_and_b32_e32 v98, 0xffff, v16
	v_and_b32_e32 v16, 0xffff, v18
	scratch_store_b32 off, v17, off offset:456 ; 4-byte Folded Spill
	s_wait_dscnt 0x0
	v_lshrrev_b32_e32 v17, 16, v20
	v_add_co_u32 v18, vcc_lo, v99, s6
	v_lshrrev_b32_e32 v249, 16, v22
	v_and_b32_e32 v22, 0xffff, v22
	scratch_store_b32 off, v17, off offset:448 ; 4-byte Folded Spill
	v_lshrrev_b32_e32 v17, 16, v21
	scratch_store_b32 off, v57, off offset:464 ; 4-byte Folded Spill
	v_lshrrev_b32_e32 v57, 16, v19
	s_wait_alu 0xfffd
	v_add_co_ci_u32_e64 v19, null, 0, v101, vcc_lo
	scratch_store_b32 off, v17, off offset:436 ; 4-byte Folded Spill
	v_lshrrev_b32_e32 v17, 16, v23
	v_and_b32_e32 v21, 0xffff, v21
	v_mul_u32_u24_e32 v97, 0x10001, v97
	v_mul_u32_u24_e32 v93, 0x10001, v93
	scratch_store_b32 off, v17, off offset:440 ; 4-byte Folded Spill
	v_and_b32_e32 v17, 0xffff, v20
	v_and_b32_e32 v20, 0xffff, v23
	global_load_b32 v23, v[18:19], off
	v_add_co_u32 v18, vcc_lo, v104, s6
	s_wait_alu 0xfffd
	v_add_co_ci_u32_e64 v19, null, 0, v122, vcc_lo
	global_load_b32 v99, v[18:19], off
	v_add_co_u32 v18, vcc_lo, v90, s6
	s_wait_alu 0xfffd
	v_add_co_ci_u32_e64 v19, null, 0, v100, vcc_lo
	global_load_u16 v100, v[18:19], off
	v_add_co_u32 v18, vcc_lo, v102, s6
	s_wait_alu 0xfffd
	v_add_co_ci_u32_e64 v19, null, 0, v103, vcc_lo
	global_load_u16 v18, v[18:19], off
	v_dual_sub_f32 v19, v156, v56 :: v_dual_mov_b32 v156, v151
	s_delay_alu instid0(VALU_DEP_1) | instskip(SKIP_1) | instid1(VALU_DEP_2)
	v_mul_f32_e32 v101, 0x3fb8aa3b, v19
	v_cmp_ngt_f32_e32 vcc_lo, 0xc2ce8ed0, v19
	v_fma_f32 v102, 0x3fb8aa3b, v19, -v101
	v_rndne_f32_e32 v103, v101
	s_delay_alu instid0(VALU_DEP_2) | instskip(NEXT) | instid1(VALU_DEP_2)
	v_fmac_f32_e32 v102, 0x32a5705f, v19
	v_sub_f32_e32 v101, v101, v103
	v_mul_u32_u24_e32 v98, 0x10001, v98
	s_delay_alu instid0(VALU_DEP_2) | instskip(SKIP_2) | instid1(VALU_DEP_3)
	v_add_f32_e32 v101, v101, v102
	v_cvt_i32_f32_e32 v102, v103
	v_mul_u32_u24_e32 v20, 0x10001, v20
	v_exp_f32_e32 v101, v101
	s_delay_alu instid0(TRANS32_DEP_1) | instskip(SKIP_1) | instid1(VALU_DEP_1)
	v_ldexp_f32 v101, v101, v102
	s_wait_alu 0xfffd
	v_cndmask_b32_e32 v101, 0, v101, vcc_lo
	v_cmp_nlt_f32_e32 vcc_lo, 0x42b17218, v19
	v_mul_u32_u24_e32 v16, 0x10001, v16
	s_wait_alu 0xfffd
	s_delay_alu instid0(VALU_DEP_3) | instskip(NEXT) | instid1(VALU_DEP_1)
	v_cndmask_b32_e32 v19, 0x7f800000, v101, vcc_lo
	v_fma_f32 v85, v85, v19, v91
	v_cvt_f16_f32_e32 v19, v19
	s_clause 0x2
	scratch_store_b32 off, v57, off offset:444
	scratch_store_b32 off, v56, off offset:424
	;; [unrolled: 1-line block ×3, first 2 shown]
	v_and_b32_e32 v19, 0xffff, v19
	v_mov_b32_e32 v85, v86
	s_delay_alu instid0(VALU_DEP_2) | instskip(NEXT) | instid1(VALU_DEP_1)
	v_mul_u32_u24_e32 v19, 0x10001, v19
	v_pk_mul_f16 v91, v148, v19
	v_pk_mul_f16 v101, v1, v19
	;; [unrolled: 1-line block ×4, first 2 shown]
	v_mov_b32_e32 v1, v112
	v_mul_u32_u24_e32 v22, 0x10001, v22
	s_wait_loadcnt 0x3
	v_ashrrev_i32_e32 v23, v89, v23
	s_delay_alu instid0(VALU_DEP_1) | instskip(SKIP_2) | instid1(VALU_DEP_2)
	v_and_b32_e32 v23, 0xf0f0f0f, v23
	s_wait_loadcnt 0x2
	v_ashrrev_i32_e32 v99, v89, v99
	v_lshlrev_b16 v103, 8, v23
	v_and_b32_e32 v104, 0xf00, v23
	v_lshrrev_b32_e32 v23, 16, v23
	s_delay_alu instid0(VALU_DEP_4) | instskip(NEXT) | instid1(VALU_DEP_4)
	v_and_b32_e32 v99, 0xf0f0f0f, v99
	v_add_nc_u16 v103, 0xf800, v103
	s_wait_loadcnt 0x1
	v_mul_u32_u24_e32 v100, 0x10001, v100
	s_delay_alu instid0(VALU_DEP_3) | instskip(NEXT) | instid1(VALU_DEP_3)
	v_and_b32_e32 v105, 0xf00, v99
	v_lshrrev_b16 v103, 8, v103
	s_wait_loadcnt 0x0
	v_mul_u32_u24_e32 v18, 0x10001, v18
	s_delay_alu instid0(VALU_DEP_2) | instskip(SKIP_2) | instid1(VALU_DEP_3)
	v_or_b32_e32 v103, v104, v103
	v_lshlrev_b16 v104, 8, v99
	v_lshrrev_b32_e32 v99, 16, v99
	v_add_nc_u16 v103, 0xf800, v103
	s_delay_alu instid0(VALU_DEP_3) | instskip(NEXT) | instid1(VALU_DEP_1)
	v_add_nc_u16 v104, 0xf800, v104
	v_lshrrev_b16 v104, 8, v104
	s_delay_alu instid0(VALU_DEP_1) | instskip(SKIP_2) | instid1(VALU_DEP_3)
	v_or_b32_e32 v104, v105, v104
	v_lshlrev_b16 v105, 8, v23
	v_and_b32_e32 v23, 0xf00, v23
	v_add_nc_u16 v104, 0xf800, v104
	s_delay_alu instid0(VALU_DEP_3) | instskip(NEXT) | instid1(VALU_DEP_1)
	v_add_nc_u16 v105, 0xf800, v105
	v_lshrrev_b16 v105, 8, v105
	s_delay_alu instid0(VALU_DEP_1) | instskip(SKIP_2) | instid1(VALU_DEP_3)
	v_or_b32_e32 v23, v23, v105
	v_lshlrev_b16 v105, 8, v99
	v_and_b32_e32 v99, 0xf00, v99
	v_add_nc_u16 v23, 0xf800, v23
	s_delay_alu instid0(VALU_DEP_3) | instskip(NEXT) | instid1(VALU_DEP_1)
	v_add_nc_u16 v105, 0xf800, v105
	v_lshrrev_b16 v105, 8, v105
	s_delay_alu instid0(VALU_DEP_1) | instskip(SKIP_2) | instid1(VALU_DEP_3)
	v_or_b32_e32 v99, v99, v105
	v_lshrrev_b32_e32 v105, 8, v103
	v_bfe_i32 v103, v103, 0, 8
	v_add_nc_u16 v99, 0xf800, v99
	s_delay_alu instid0(VALU_DEP_3) | instskip(NEXT) | instid1(VALU_DEP_3)
	v_bfe_i32 v105, v105, 0, 8
	v_cvt_f16_i16_e32 v103, v103
	s_delay_alu instid0(VALU_DEP_2) | instskip(NEXT) | instid1(VALU_DEP_1)
	v_cvt_f16_i16_e32 v105, v105
	v_pack_b32_f16 v103, v103, v105
	v_lshrrev_b32_e32 v105, 8, v104
	v_bfe_i32 v104, v104, 0, 8
	s_delay_alu instid0(VALU_DEP_3) | instskip(NEXT) | instid1(VALU_DEP_3)
	v_pk_mul_f16 v103, v103, v100
	v_bfe_i32 v105, v105, 0, 8
	s_delay_alu instid0(VALU_DEP_3) | instskip(NEXT) | instid1(VALU_DEP_3)
	v_cvt_f16_i16_e32 v104, v104
	v_pk_fma_f16 v91, v103, v96, v91
	s_delay_alu instid0(VALU_DEP_3) | instskip(NEXT) | instid1(VALU_DEP_1)
	v_cvt_f16_i16_e32 v105, v105
	v_pack_b32_f16 v104, v104, v105
	v_lshrrev_b32_e32 v105, 8, v23
	v_bfe_i32 v23, v23, 0, 8
	s_delay_alu instid0(VALU_DEP_2) | instskip(NEXT) | instid1(VALU_DEP_2)
	v_bfe_i32 v105, v105, 0, 8
	v_cvt_f16_i16_e32 v23, v23
	s_delay_alu instid0(VALU_DEP_2) | instskip(NEXT) | instid1(VALU_DEP_1)
	v_cvt_f16_i16_e32 v105, v105
	v_pack_b32_f16 v23, v23, v105
	v_lshrrev_b32_e32 v105, 8, v99
	v_bfe_i32 v99, v99, 0, 8
	s_delay_alu instid0(VALU_DEP_3) | instskip(NEXT) | instid1(VALU_DEP_3)
	v_pk_mul_f16 v23, v23, v100
	v_bfe_i32 v105, v105, 0, 8
	s_delay_alu instid0(VALU_DEP_3) | instskip(SKIP_1) | instid1(VALU_DEP_4)
	v_cvt_f16_i16_e32 v99, v99
	v_pk_mul_f16 v100, v104, v18
	v_pk_fma_f16 v23, v23, v96, v101
	s_delay_alu instid0(VALU_DEP_4) | instskip(NEXT) | instid1(VALU_DEP_1)
	v_cvt_f16_i16_e32 v105, v105
	v_pack_b32_f16 v99, v99, v105
	s_delay_alu instid0(VALU_DEP_1) | instskip(SKIP_1) | instid1(VALU_DEP_2)
	v_pk_mul_f16 v18, v99, v18
	v_pk_fma_f16 v99, v100, v96, v102
	v_pk_fma_f16 v96, v18, v96, v19
	v_add_co_u32 v18, vcc_lo, v116, s6
	s_wait_alu 0xfffd
	v_add_co_ci_u32_e64 v19, null, 0, v108, vcc_lo
	global_load_b32 v100, v[18:19], off
	v_add_co_u32 v18, vcc_lo, v111, s6
	s_wait_alu 0xfffd
	v_add_co_ci_u32_e64 v19, null, 0, v112, vcc_lo
	global_load_b32 v101, v[18:19], off
	s_clause 0x2
	scratch_load_b32 v105, off, off offset:336 th:TH_LOAD_LU
	scratch_load_b32 v120, off, off offset:228
	scratch_load_b32 v123, off, off offset:232
	v_mov_b32_e32 v112, v147
	s_wait_loadcnt 0x3
	v_ashrrev_i32_e32 v101, v89, v101
	s_wait_loadcnt 0x2
	v_add_co_u32 v18, vcc_lo, v105, s6
	s_wait_alu 0xfffd
	v_add_co_ci_u32_e64 v19, null, 0, v106, vcc_lo
	v_and_b32_e32 v101, 0xf0f0f0f, v101
	global_load_u16 v102, v[18:19], off
	v_add_co_u32 v18, vcc_lo, v109, s6
	s_wait_alu 0xfffd
	v_add_co_ci_u32_e64 v19, null, 0, v110, vcc_lo
	v_and_b32_e32 v104, 0xf00, v101
	global_load_u16 v18, v[18:19], off
	v_ashrrev_i32_e32 v19, v89, v100
	s_delay_alu instid0(VALU_DEP_1) | instskip(NEXT) | instid1(VALU_DEP_1)
	v_and_b32_e32 v19, 0xf0f0f0f, v19
	v_lshlrev_b16 v100, 8, v19
	v_and_b32_e32 v103, 0xf00, v19
	v_lshrrev_b32_e32 v19, 16, v19
	s_delay_alu instid0(VALU_DEP_3) | instskip(NEXT) | instid1(VALU_DEP_1)
	v_add_nc_u16 v100, 0xf800, v100
	v_lshrrev_b16 v100, 8, v100
	s_delay_alu instid0(VALU_DEP_1) | instskip(SKIP_2) | instid1(VALU_DEP_3)
	v_or_b32_e32 v100, v103, v100
	v_lshlrev_b16 v103, 8, v101
	v_lshrrev_b32_e32 v101, 16, v101
	v_add_nc_u16 v100, 0xf800, v100
	s_delay_alu instid0(VALU_DEP_3) | instskip(NEXT) | instid1(VALU_DEP_1)
	v_add_nc_u16 v103, 0xf800, v103
	v_lshrrev_b16 v103, 8, v103
	s_delay_alu instid0(VALU_DEP_1) | instskip(SKIP_2) | instid1(VALU_DEP_3)
	v_or_b32_e32 v103, v104, v103
	v_lshlrev_b16 v104, 8, v19
	v_and_b32_e32 v19, 0xf00, v19
	v_add_nc_u16 v103, 0xf800, v103
	s_delay_alu instid0(VALU_DEP_3) | instskip(NEXT) | instid1(VALU_DEP_1)
	v_add_nc_u16 v104, 0xf800, v104
	v_lshrrev_b16 v104, 8, v104
	s_delay_alu instid0(VALU_DEP_1) | instskip(SKIP_2) | instid1(VALU_DEP_3)
	v_or_b32_e32 v19, v19, v104
	v_lshlrev_b16 v104, 8, v101
	v_and_b32_e32 v101, 0xf00, v101
	v_add_nc_u16 v19, 0xf800, v19
	s_delay_alu instid0(VALU_DEP_3) | instskip(NEXT) | instid1(VALU_DEP_1)
	v_add_nc_u16 v104, 0xf800, v104
	v_lshrrev_b16 v104, 8, v104
	s_delay_alu instid0(VALU_DEP_1) | instskip(SKIP_2) | instid1(VALU_DEP_3)
	v_or_b32_e32 v101, v101, v104
	v_lshrrev_b32_e32 v104, 8, v100
	v_bfe_i32 v100, v100, 0, 8
	v_add_nc_u16 v101, 0xf800, v101
	s_delay_alu instid0(VALU_DEP_3) | instskip(NEXT) | instid1(VALU_DEP_3)
	v_bfe_i32 v104, v104, 0, 8
	v_cvt_f16_i16_e32 v100, v100
	s_delay_alu instid0(VALU_DEP_2) | instskip(NEXT) | instid1(VALU_DEP_1)
	v_cvt_f16_i16_e32 v104, v104
	v_pack_b32_f16 v100, v100, v104
	v_lshrrev_b32_e32 v104, 8, v103
	v_bfe_i32 v103, v103, 0, 8
	s_delay_alu instid0(VALU_DEP_2) | instskip(NEXT) | instid1(VALU_DEP_2)
	v_bfe_i32 v104, v104, 0, 8
	v_cvt_f16_i16_e32 v103, v103
	s_delay_alu instid0(VALU_DEP_2) | instskip(NEXT) | instid1(VALU_DEP_1)
	v_cvt_f16_i16_e32 v104, v104
	v_pack_b32_f16 v103, v103, v104
	v_lshrrev_b32_e32 v104, 8, v19
	v_bfe_i32 v19, v19, 0, 8
	s_delay_alu instid0(VALU_DEP_2) | instskip(NEXT) | instid1(VALU_DEP_2)
	;; [unrolled: 8-line block ×3, first 2 shown]
	v_bfe_i32 v104, v104, 0, 8
	v_cvt_f16_i16_e32 v101, v101
	s_delay_alu instid0(VALU_DEP_2) | instskip(NEXT) | instid1(VALU_DEP_1)
	v_cvt_f16_i16_e32 v104, v104
	v_pack_b32_f16 v101, v101, v104
	s_wait_loadcnt 0x1
	v_mul_u32_u24_e32 v102, 0x10001, v102
	s_delay_alu instid0(VALU_DEP_1) | instskip(SKIP_3) | instid1(VALU_DEP_3)
	v_pk_mul_f16 v100, v100, v102
	v_pk_mul_f16 v19, v19, v102
	s_wait_loadcnt 0x0
	v_mul_u32_u24_e32 v18, 0x10001, v18
	v_pk_fma_f16 v91, v100, v94, v91
	s_delay_alu instid0(VALU_DEP_3) | instskip(NEXT) | instid1(VALU_DEP_3)
	v_pk_fma_f16 v23, v19, v94, v23
	v_pk_mul_f16 v102, v103, v18
	v_pk_mul_f16 v18, v101, v18
	s_delay_alu instid0(VALU_DEP_2) | instskip(NEXT) | instid1(VALU_DEP_2)
	v_pk_fma_f16 v99, v102, v94, v99
	v_pk_fma_f16 v94, v18, v94, v96
	v_add_co_u32 v18, vcc_lo, v120, s6
	s_wait_alu 0xfffd
	v_add_co_ci_u32_e64 v19, null, 0, v123, vcc_lo
	global_load_b32 v96, v[18:19], off
	v_add_co_u32 v18, vcc_lo, v124, s6
	s_wait_alu 0xfffd
	v_add_co_ci_u32_e64 v19, null, 0, v125, vcc_lo
	global_load_b32 v100, v[18:19], off
	s_clause 0x3
	scratch_load_b32 v104, off, off offset:376 th:TH_LOAD_LU
	scratch_load_b32 v119, off, off offset:224
	scratch_load_b32 v56, off, off offset:460 th:TH_LOAD_LU
	scratch_load_b32 v57, off, off offset:420 th:TH_LOAD_LU
	s_clause 0x2
	scratch_store_b32 off, v124, off offset:328
	scratch_store_b32 off, v125, off offset:332
	;; [unrolled: 1-line block ×3, first 2 shown]
	s_clause 0x1
	scratch_load_b32 v124, off, off offset:236
	scratch_load_b32 v125, off, off offset:240
	s_wait_loadcnt 0x6
	v_ashrrev_i32_e32 v100, v89, v100
	s_wait_loadcnt 0x5
	v_add_co_u32 v18, vcc_lo, v104, s6
	s_wait_loadcnt 0x4
	s_wait_alu 0xfffd
	v_add_co_ci_u32_e64 v19, null, 0, v119, vcc_lo
	v_and_b32_e32 v100, 0xf0f0f0f, v100
	global_load_u16 v101, v[18:19], off
	s_wait_loadcnt 0x2
	v_add_co_u32 v18, vcc_lo, v124, s6
	s_wait_loadcnt 0x1
	s_wait_alu 0xfffd
	v_add_co_ci_u32_e64 v19, null, 0, v125, vcc_lo
	v_and_b32_e32 v103, 0xf00, v100
	global_load_u16 v18, v[18:19], off
	v_ashrrev_i32_e32 v19, v89, v96
	s_delay_alu instid0(VALU_DEP_1) | instskip(NEXT) | instid1(VALU_DEP_1)
	v_and_b32_e32 v19, 0xf0f0f0f, v19
	v_lshlrev_b16 v96, 8, v19
	v_and_b32_e32 v102, 0xf00, v19
	v_lshrrev_b32_e32 v19, 16, v19
	s_delay_alu instid0(VALU_DEP_3) | instskip(NEXT) | instid1(VALU_DEP_1)
	v_add_nc_u16 v96, 0xf800, v96
	v_lshrrev_b16 v96, 8, v96
	s_delay_alu instid0(VALU_DEP_1) | instskip(SKIP_2) | instid1(VALU_DEP_3)
	v_or_b32_e32 v96, v102, v96
	v_lshlrev_b16 v102, 8, v100
	v_lshrrev_b32_e32 v100, 16, v100
	v_add_nc_u16 v96, 0xf800, v96
	s_delay_alu instid0(VALU_DEP_3) | instskip(NEXT) | instid1(VALU_DEP_1)
	v_add_nc_u16 v102, 0xf800, v102
	v_lshrrev_b16 v102, 8, v102
	s_delay_alu instid0(VALU_DEP_1) | instskip(SKIP_2) | instid1(VALU_DEP_3)
	v_or_b32_e32 v102, v103, v102
	v_lshlrev_b16 v103, 8, v19
	v_and_b32_e32 v19, 0xf00, v19
	v_add_nc_u16 v102, 0xf800, v102
	s_delay_alu instid0(VALU_DEP_3) | instskip(NEXT) | instid1(VALU_DEP_1)
	v_add_nc_u16 v103, 0xf800, v103
	v_lshrrev_b16 v103, 8, v103
	s_delay_alu instid0(VALU_DEP_1) | instskip(SKIP_2) | instid1(VALU_DEP_3)
	v_or_b32_e32 v19, v19, v103
	v_lshlrev_b16 v103, 8, v100
	v_and_b32_e32 v100, 0xf00, v100
	v_add_nc_u16 v19, 0xf800, v19
	s_delay_alu instid0(VALU_DEP_3) | instskip(NEXT) | instid1(VALU_DEP_1)
	v_add_nc_u16 v103, 0xf800, v103
	v_lshrrev_b16 v103, 8, v103
	s_delay_alu instid0(VALU_DEP_1) | instskip(SKIP_2) | instid1(VALU_DEP_3)
	v_or_b32_e32 v100, v100, v103
	v_lshrrev_b32_e32 v103, 8, v96
	v_bfe_i32 v96, v96, 0, 8
	v_add_nc_u16 v100, 0xf800, v100
	s_delay_alu instid0(VALU_DEP_3) | instskip(NEXT) | instid1(VALU_DEP_3)
	v_bfe_i32 v103, v103, 0, 8
	v_cvt_f16_i16_e32 v96, v96
	s_delay_alu instid0(VALU_DEP_2) | instskip(NEXT) | instid1(VALU_DEP_1)
	v_cvt_f16_i16_e32 v103, v103
	v_pack_b32_f16 v96, v96, v103
	v_lshrrev_b32_e32 v103, 8, v102
	v_bfe_i32 v102, v102, 0, 8
	s_delay_alu instid0(VALU_DEP_2) | instskip(NEXT) | instid1(VALU_DEP_2)
	v_bfe_i32 v103, v103, 0, 8
	v_cvt_f16_i16_e32 v102, v102
	s_delay_alu instid0(VALU_DEP_2) | instskip(NEXT) | instid1(VALU_DEP_1)
	v_cvt_f16_i16_e32 v103, v103
	v_pack_b32_f16 v102, v102, v103
	v_lshrrev_b32_e32 v103, 8, v19
	v_bfe_i32 v19, v19, 0, 8
	s_delay_alu instid0(VALU_DEP_2) | instskip(NEXT) | instid1(VALU_DEP_2)
	;; [unrolled: 8-line block ×3, first 2 shown]
	v_bfe_i32 v103, v103, 0, 8
	v_cvt_f16_i16_e32 v100, v100
	s_delay_alu instid0(VALU_DEP_2) | instskip(NEXT) | instid1(VALU_DEP_1)
	v_cvt_f16_i16_e32 v103, v103
	v_pack_b32_f16 v100, v100, v103
	s_wait_loadcnt 0x1
	v_mul_u32_u24_e32 v101, 0x10001, v101
	s_delay_alu instid0(VALU_DEP_1) | instskip(SKIP_3) | instid1(VALU_DEP_3)
	v_pk_mul_f16 v96, v96, v101
	v_pk_mul_f16 v19, v19, v101
	s_wait_loadcnt 0x0
	v_mul_u32_u24_e32 v18, 0x10001, v18
	v_pk_fma_f16 v91, v96, v92, v91
	s_delay_alu instid0(VALU_DEP_3) | instskip(NEXT) | instid1(VALU_DEP_3)
	v_pk_fma_f16 v23, v19, v92, v23
	v_pk_mul_f16 v101, v102, v18
	v_pk_mul_f16 v18, v100, v18
	s_delay_alu instid0(VALU_DEP_2) | instskip(NEXT) | instid1(VALU_DEP_2)
	v_pk_fma_f16 v96, v101, v92, v99
	v_pk_fma_f16 v92, v18, v92, v94
	v_add_co_u32 v18, vcc_lo, v145, s6
	s_wait_alu 0xfffd
	v_add_co_ci_u32_e64 v19, null, 0, v112, vcc_lo
	v_mov_b32_e32 v145, v144
	global_load_b32 v94, v[18:19], off
	v_add_co_u32 v18, vcc_lo, v129, s6
	s_wait_alu 0xfffd
	v_add_co_ci_u32_e64 v19, null, 0, v143, vcc_lo
	global_load_b32 v99, v[18:19], off
	v_add_co_u32 v18, vcc_lo, v117, s6
	s_wait_alu 0xfffd
	v_add_co_ci_u32_e64 v19, null, 0, v156, vcc_lo
	global_load_u16 v100, v[18:19], off
	v_add_co_u32 v18, vcc_lo, v107, s6
	s_wait_alu 0xfffd
	v_add_co_ci_u32_e64 v19, null, 0, v145, vcc_lo
	global_load_u16 v18, v[18:19], off
	s_wait_loadcnt 0x3
	v_ashrrev_i32_e32 v19, v89, v94
	s_delay_alu instid0(VALU_DEP_1) | instskip(SKIP_2) | instid1(VALU_DEP_2)
	v_and_b32_e32 v19, 0xf0f0f0f, v19
	s_wait_loadcnt 0x2
	v_ashrrev_i32_e32 v99, v89, v99
	v_lshlrev_b16 v94, 8, v19
	v_and_b32_e32 v101, 0xf00, v19
	v_lshrrev_b32_e32 v19, 16, v19
	s_delay_alu instid0(VALU_DEP_4) | instskip(NEXT) | instid1(VALU_DEP_4)
	v_and_b32_e32 v99, 0xf0f0f0f, v99
	v_add_nc_u16 v94, 0xf800, v94
	s_wait_loadcnt 0x1
	v_mul_u32_u24_e32 v100, 0x10001, v100
	s_delay_alu instid0(VALU_DEP_3) | instskip(NEXT) | instid1(VALU_DEP_3)
	v_and_b32_e32 v102, 0xf00, v99
	v_lshrrev_b16 v94, 8, v94
	s_wait_loadcnt 0x0
	v_mul_u32_u24_e32 v18, 0x10001, v18
	s_delay_alu instid0(VALU_DEP_2) | instskip(SKIP_2) | instid1(VALU_DEP_3)
	v_or_b32_e32 v94, v101, v94
	v_lshlrev_b16 v101, 8, v99
	v_lshrrev_b32_e32 v99, 16, v99
	v_add_nc_u16 v94, 0xf800, v94
	s_delay_alu instid0(VALU_DEP_3) | instskip(NEXT) | instid1(VALU_DEP_1)
	v_add_nc_u16 v101, 0xf800, v101
	v_lshrrev_b16 v101, 8, v101
	s_delay_alu instid0(VALU_DEP_1) | instskip(SKIP_2) | instid1(VALU_DEP_2)
	v_or_b32_e32 v101, v102, v101
	v_lshlrev_b16 v102, 8, v19
	v_and_b32_e32 v19, 0xf00, v19
	v_add_nc_u16 v102, 0xf800, v102
	s_delay_alu instid0(VALU_DEP_1) | instskip(NEXT) | instid1(VALU_DEP_1)
	v_lshrrev_b16 v102, 8, v102
	v_or_b32_e32 v19, v19, v102
	v_lshrrev_b32_e32 v102, 8, v94
	v_bfe_i32 v94, v94, 0, 8
	s_delay_alu instid0(VALU_DEP_3) | instskip(NEXT) | instid1(VALU_DEP_3)
	v_add_nc_u16 v19, 0xf800, v19
	v_bfe_i32 v102, v102, 0, 8
	s_delay_alu instid0(VALU_DEP_3) | instskip(NEXT) | instid1(VALU_DEP_2)
	v_cvt_f16_i16_e32 v94, v94
	v_cvt_f16_i16_e32 v102, v102
	s_delay_alu instid0(VALU_DEP_1) | instskip(SKIP_2) | instid1(VALU_DEP_3)
	v_pack_b32_f16 v94, v94, v102
	v_lshrrev_b32_e32 v102, 8, v19
	v_bfe_i32 v19, v19, 0, 8
	v_pk_mul_f16 v94, v94, v100
	s_delay_alu instid0(VALU_DEP_3) | instskip(NEXT) | instid1(VALU_DEP_3)
	v_bfe_i32 v102, v102, 0, 8
	v_cvt_f16_i16_e32 v19, v19
	s_delay_alu instid0(VALU_DEP_2) | instskip(NEXT) | instid1(VALU_DEP_1)
	v_cvt_f16_i16_e32 v102, v102
	v_pack_b32_f16 v19, v19, v102
	v_mov_b32_e32 v102, v111
	s_delay_alu instid0(VALU_DEP_2) | instskip(SKIP_2) | instid1(VALU_DEP_2)
	v_pk_mul_f16 v19, v19, v100
	v_lshlrev_b16 v100, 8, v99
	v_and_b32_e32 v99, 0xf00, v99
	v_add_nc_u16 v100, 0xf800, v100
	s_delay_alu instid0(VALU_DEP_1) | instskip(NEXT) | instid1(VALU_DEP_1)
	v_lshrrev_b16 v100, 8, v100
	v_or_b32_e32 v99, v99, v100
	v_add_nc_u16 v100, 0xf800, v101
	s_delay_alu instid0(VALU_DEP_2) | instskip(NEXT) | instid1(VALU_DEP_2)
	v_add_nc_u16 v99, 0xf800, v99
	v_lshrrev_b32_e32 v101, 8, v100
	v_bfe_i32 v100, v100, 0, 8
	s_delay_alu instid0(VALU_DEP_2) | instskip(NEXT) | instid1(VALU_DEP_2)
	v_bfe_i32 v101, v101, 0, 8
	v_cvt_f16_i16_e32 v100, v100
	s_delay_alu instid0(VALU_DEP_2) | instskip(NEXT) | instid1(VALU_DEP_1)
	v_cvt_f16_i16_e32 v101, v101
	v_pack_b32_f16 v100, v100, v101
	v_lshrrev_b32_e32 v101, 8, v99
	v_bfe_i32 v99, v99, 0, 8
	s_delay_alu instid0(VALU_DEP_3) | instskip(NEXT) | instid1(VALU_DEP_3)
	v_pk_mul_f16 v100, v100, v18
	v_bfe_i32 v101, v101, 0, 8
	s_delay_alu instid0(VALU_DEP_3) | instskip(NEXT) | instid1(VALU_DEP_2)
	v_cvt_f16_i16_e32 v99, v99
	v_cvt_f16_i16_e32 v101, v101
	s_delay_alu instid0(VALU_DEP_1) | instskip(NEXT) | instid1(VALU_DEP_1)
	v_pack_b32_f16 v99, v99, v101
	v_pk_mul_f16 v18, v99, v18
	v_mul_u32_u24_e32 v99, 0x10001, v56
	scratch_load_b32 v56, off, off offset:452 th:TH_LOAD_LU ; 4-byte Folded Reload
	v_pk_fma_f16 v92, v18, v99, v92
	v_add_co_u32 v18, vcc_lo, v84, s6
	v_pk_fma_f16 v23, v19, v99, v23
	s_wait_alu 0xfffd
	v_add_co_ci_u32_e64 v19, null, 0, v86, vcc_lo
	v_pk_fma_f16 v91, v94, v99, v91
	v_pk_fma_f16 v94, v100, v99, v96
	v_mov_b32_e32 v86, v79
	global_load_b32 v96, v[18:19], off
	v_add_co_u32 v18, vcc_lo, v87, s6
	s_wait_alu 0xfffd
	v_add_co_ci_u32_e64 v19, null, 0, v57, vcc_lo
	global_load_u16 v99, v[18:19], off
	v_add_co_u32 v18, vcc_lo, v81, s6
	s_wait_alu 0xfffd
	v_add_co_ci_u32_e64 v19, null, 0, v82, vcc_lo
	global_load_b32 v100, v[18:19], off
	v_add_co_u32 v18, vcc_lo, v83, s6
	s_wait_alu 0xfffd
	v_add_co_ci_u32_e64 v19, null, 0, v11, vcc_lo
	global_load_u16 v18, v[18:19], off
	s_wait_loadcnt 0x3
	v_ashrrev_i32_e32 v19, v89, v96
	s_delay_alu instid0(VALU_DEP_1) | instskip(SKIP_2) | instid1(VALU_DEP_2)
	v_and_b32_e32 v19, 0xf0f0f0f, v19
	s_wait_loadcnt 0x2
	v_mul_u32_u24_e32 v99, 0x10001, v99
	v_lshlrev_b16 v96, 8, v19
	v_and_b32_e32 v101, 0xf00, v19
	v_lshrrev_b32_e32 v19, 16, v19
	s_delay_alu instid0(VALU_DEP_3) | instskip(NEXT) | instid1(VALU_DEP_1)
	v_add_nc_u16 v96, 0xf800, v96
	v_lshrrev_b16 v96, 8, v96
	s_wait_loadcnt 0x0
	v_mul_u32_u24_e32 v18, 0x10001, v18
	s_delay_alu instid0(VALU_DEP_2) | instskip(SKIP_2) | instid1(VALU_DEP_3)
	v_or_b32_e32 v96, v101, v96
	v_lshlrev_b16 v101, 8, v19
	v_and_b32_e32 v19, 0xf00, v19
	v_add_nc_u16 v96, 0xf800, v96
	s_delay_alu instid0(VALU_DEP_3) | instskip(NEXT) | instid1(VALU_DEP_1)
	v_add_nc_u16 v101, 0xf800, v101
	v_lshrrev_b16 v101, 8, v101
	s_delay_alu instid0(VALU_DEP_1) | instskip(NEXT) | instid1(VALU_DEP_4)
	v_or_b32_e32 v19, v19, v101
	v_lshrrev_b32_e32 v101, 8, v96
	v_bfe_i32 v96, v96, 0, 8
	s_delay_alu instid0(VALU_DEP_3) | instskip(NEXT) | instid1(VALU_DEP_3)
	v_add_nc_u16 v19, 0xf800, v19
	v_bfe_i32 v101, v101, 0, 8
	s_delay_alu instid0(VALU_DEP_3) | instskip(NEXT) | instid1(VALU_DEP_2)
	v_cvt_f16_i16_e32 v96, v96
	v_cvt_f16_i16_e32 v101, v101
	s_delay_alu instid0(VALU_DEP_1) | instskip(SKIP_2) | instid1(VALU_DEP_3)
	v_pack_b32_f16 v96, v96, v101
	v_lshrrev_b32_e32 v101, 8, v19
	v_bfe_i32 v19, v19, 0, 8
	v_pk_mul_f16 v96, v96, v99
	s_delay_alu instid0(VALU_DEP_3) | instskip(NEXT) | instid1(VALU_DEP_3)
	v_bfe_i32 v101, v101, 0, 8
	v_cvt_f16_i16_e32 v19, v19
	s_delay_alu instid0(VALU_DEP_2) | instskip(NEXT) | instid1(VALU_DEP_1)
	v_cvt_f16_i16_e32 v101, v101
	v_pack_b32_f16 v19, v19, v101
	s_delay_alu instid0(VALU_DEP_1) | instskip(SKIP_1) | instid1(VALU_DEP_1)
	v_pk_mul_f16 v19, v19, v99
	v_ashrrev_i32_e32 v99, v89, v100
	v_and_b32_e32 v99, 0xf0f0f0f, v99
	s_delay_alu instid0(VALU_DEP_1) | instskip(SKIP_2) | instid1(VALU_DEP_3)
	v_lshlrev_b16 v100, 8, v99
	v_and_b32_e32 v101, 0xf00, v99
	v_lshrrev_b32_e32 v99, 16, v99
	v_add_nc_u16 v100, 0xf800, v100
	s_delay_alu instid0(VALU_DEP_1) | instskip(NEXT) | instid1(VALU_DEP_1)
	v_lshrrev_b16 v100, 8, v100
	v_or_b32_e32 v100, v101, v100
	s_delay_alu instid0(VALU_DEP_4) | instskip(SKIP_1) | instid1(VALU_DEP_3)
	v_lshlrev_b16 v101, 8, v99
	v_and_b32_e32 v99, 0xf00, v99
	v_add_nc_u16 v100, 0xf800, v100
	s_delay_alu instid0(VALU_DEP_3) | instskip(NEXT) | instid1(VALU_DEP_1)
	v_add_nc_u16 v101, 0xf800, v101
	v_lshrrev_b16 v101, 8, v101
	s_delay_alu instid0(VALU_DEP_1) | instskip(NEXT) | instid1(VALU_DEP_4)
	v_or_b32_e32 v99, v99, v101
	v_lshrrev_b32_e32 v101, 8, v100
	v_bfe_i32 v100, v100, 0, 8
	s_delay_alu instid0(VALU_DEP_3) | instskip(NEXT) | instid1(VALU_DEP_3)
	v_add_nc_u16 v99, 0xf800, v99
	v_bfe_i32 v101, v101, 0, 8
	s_delay_alu instid0(VALU_DEP_3) | instskip(NEXT) | instid1(VALU_DEP_2)
	v_cvt_f16_i16_e32 v100, v100
	v_cvt_f16_i16_e32 v101, v101
	s_delay_alu instid0(VALU_DEP_1) | instskip(SKIP_2) | instid1(VALU_DEP_3)
	v_pack_b32_f16 v100, v100, v101
	v_lshrrev_b32_e32 v101, 8, v99
	v_bfe_i32 v99, v99, 0, 8
	v_pk_mul_f16 v100, v100, v18
	s_delay_alu instid0(VALU_DEP_3) | instskip(NEXT) | instid1(VALU_DEP_3)
	v_bfe_i32 v101, v101, 0, 8
	v_cvt_f16_i16_e32 v99, v99
	s_delay_alu instid0(VALU_DEP_2) | instskip(NEXT) | instid1(VALU_DEP_1)
	v_cvt_f16_i16_e32 v101, v101
	v_pack_b32_f16 v99, v99, v101
	s_delay_alu instid0(VALU_DEP_1)
	v_pk_mul_f16 v18, v99, v18
	v_mul_u32_u24_e32 v99, 0x10001, v56
	scratch_load_b32 v56, off, off offset:368 th:TH_LOAD_LU ; 4-byte Folded Reload
	v_pk_fma_f16 v92, v18, v99, v92
	v_add_co_u32 v18, vcc_lo, v15, s6
	v_pk_fma_f16 v23, v19, v99, v23
	s_wait_alu 0xfffd
	v_add_co_ci_u32_e64 v19, null, 0, v78, vcc_lo
	v_pk_fma_f16 v91, v96, v99, v91
	v_pk_fma_f16 v94, v100, v99, v94
	global_load_b32 v96, v[18:19], off
	v_add_co_u32 v18, vcc_lo, v79, s6
	s_wait_alu 0xfffd
	v_add_co_ci_u32_e64 v19, null, 0, v80, vcc_lo
	v_mov_b32_e32 v79, v74
	global_load_u16 v99, v[18:19], off
	v_add_co_u32 v18, vcc_lo, v75, s6
	s_wait_alu 0xfffd
	v_add_co_ci_u32_e64 v19, null, 0, v12, vcc_lo
	global_load_b32 v100, v[18:19], off
	v_add_co_u32 v18, vcc_lo, v76, s6
	s_wait_alu 0xfffd
	v_add_co_ci_u32_e64 v19, null, 0, v77, vcc_lo
	global_load_u16 v18, v[18:19], off
	s_wait_loadcnt 0x3
	v_ashrrev_i32_e32 v19, v89, v96
	s_delay_alu instid0(VALU_DEP_1) | instskip(SKIP_2) | instid1(VALU_DEP_2)
	v_and_b32_e32 v19, 0xf0f0f0f, v19
	s_wait_loadcnt 0x2
	v_mul_u32_u24_e32 v99, 0x10001, v99
	v_lshlrev_b16 v96, 8, v19
	v_and_b32_e32 v101, 0xf00, v19
	v_lshrrev_b32_e32 v19, 16, v19
	s_delay_alu instid0(VALU_DEP_3) | instskip(NEXT) | instid1(VALU_DEP_1)
	v_add_nc_u16 v96, 0xf800, v96
	v_lshrrev_b16 v96, 8, v96
	s_wait_loadcnt 0x0
	v_mul_u32_u24_e32 v18, 0x10001, v18
	s_delay_alu instid0(VALU_DEP_2) | instskip(SKIP_2) | instid1(VALU_DEP_3)
	v_or_b32_e32 v96, v101, v96
	v_lshlrev_b16 v101, 8, v19
	v_and_b32_e32 v19, 0xf00, v19
	v_add_nc_u16 v96, 0xf800, v96
	s_delay_alu instid0(VALU_DEP_3) | instskip(NEXT) | instid1(VALU_DEP_1)
	v_add_nc_u16 v101, 0xf800, v101
	v_lshrrev_b16 v101, 8, v101
	s_delay_alu instid0(VALU_DEP_1) | instskip(NEXT) | instid1(VALU_DEP_4)
	v_or_b32_e32 v19, v19, v101
	v_lshrrev_b32_e32 v101, 8, v96
	v_bfe_i32 v96, v96, 0, 8
	s_delay_alu instid0(VALU_DEP_3) | instskip(NEXT) | instid1(VALU_DEP_3)
	v_add_nc_u16 v19, 0xf800, v19
	v_bfe_i32 v101, v101, 0, 8
	s_delay_alu instid0(VALU_DEP_3) | instskip(NEXT) | instid1(VALU_DEP_2)
	v_cvt_f16_i16_e32 v96, v96
	v_cvt_f16_i16_e32 v101, v101
	s_delay_alu instid0(VALU_DEP_1) | instskip(SKIP_2) | instid1(VALU_DEP_3)
	v_pack_b32_f16 v96, v96, v101
	v_lshrrev_b32_e32 v101, 8, v19
	v_bfe_i32 v19, v19, 0, 8
	v_pk_mul_f16 v96, v96, v99
	s_delay_alu instid0(VALU_DEP_3) | instskip(NEXT) | instid1(VALU_DEP_3)
	v_bfe_i32 v101, v101, 0, 8
	v_cvt_f16_i16_e32 v19, v19
	s_delay_alu instid0(VALU_DEP_2) | instskip(NEXT) | instid1(VALU_DEP_1)
	v_cvt_f16_i16_e32 v101, v101
	v_pack_b32_f16 v19, v19, v101
	s_delay_alu instid0(VALU_DEP_1) | instskip(SKIP_1) | instid1(VALU_DEP_1)
	v_pk_mul_f16 v19, v19, v99
	v_ashrrev_i32_e32 v99, v89, v100
	v_and_b32_e32 v99, 0xf0f0f0f, v99
	s_delay_alu instid0(VALU_DEP_1) | instskip(SKIP_2) | instid1(VALU_DEP_3)
	v_lshlrev_b16 v100, 8, v99
	v_and_b32_e32 v101, 0xf00, v99
	v_lshrrev_b32_e32 v99, 16, v99
	v_add_nc_u16 v100, 0xf800, v100
	s_delay_alu instid0(VALU_DEP_1) | instskip(NEXT) | instid1(VALU_DEP_1)
	v_lshrrev_b16 v100, 8, v100
	v_or_b32_e32 v100, v101, v100
	s_delay_alu instid0(VALU_DEP_4) | instskip(SKIP_1) | instid1(VALU_DEP_3)
	v_lshlrev_b16 v101, 8, v99
	v_and_b32_e32 v99, 0xf00, v99
	v_add_nc_u16 v100, 0xf800, v100
	s_delay_alu instid0(VALU_DEP_3) | instskip(NEXT) | instid1(VALU_DEP_1)
	v_add_nc_u16 v101, 0xf800, v101
	v_lshrrev_b16 v101, 8, v101
	s_delay_alu instid0(VALU_DEP_1) | instskip(NEXT) | instid1(VALU_DEP_4)
	v_or_b32_e32 v99, v99, v101
	v_lshrrev_b32_e32 v101, 8, v100
	v_bfe_i32 v100, v100, 0, 8
	s_delay_alu instid0(VALU_DEP_3) | instskip(NEXT) | instid1(VALU_DEP_3)
	v_add_nc_u16 v99, 0xf800, v99
	v_bfe_i32 v101, v101, 0, 8
	s_delay_alu instid0(VALU_DEP_3) | instskip(NEXT) | instid1(VALU_DEP_2)
	v_cvt_f16_i16_e32 v100, v100
	v_cvt_f16_i16_e32 v101, v101
	s_delay_alu instid0(VALU_DEP_1) | instskip(SKIP_2) | instid1(VALU_DEP_3)
	v_pack_b32_f16 v100, v100, v101
	v_lshrrev_b32_e32 v101, 8, v99
	v_bfe_i32 v99, v99, 0, 8
	v_pk_mul_f16 v100, v100, v18
	s_delay_alu instid0(VALU_DEP_3) | instskip(NEXT) | instid1(VALU_DEP_3)
	v_bfe_i32 v101, v101, 0, 8
	v_cvt_f16_i16_e32 v99, v99
	s_delay_alu instid0(VALU_DEP_2) | instskip(NEXT) | instid1(VALU_DEP_1)
	v_cvt_f16_i16_e32 v101, v101
	v_pack_b32_f16 v99, v99, v101
	s_delay_alu instid0(VALU_DEP_1)
	v_pk_mul_f16 v18, v99, v18
	v_mul_u32_u24_e32 v99, 0x10001, v56
	scratch_load_b32 v56, off, off offset:352 th:TH_LOAD_LU ; 4-byte Folded Reload
	scratch_store_b32 off, v141, off offset:352 ; 4-byte Folded Spill
	v_pk_fma_f16 v92, v18, v99, v92
	v_add_co_u32 v18, vcc_lo, v7, s6
	v_pk_fma_f16 v23, v19, v99, v23
	s_wait_alu 0xfffd
	v_add_co_ci_u32_e64 v19, null, 0, v8, vcc_lo
	v_pk_fma_f16 v91, v96, v99, v91
	v_pk_fma_f16 v94, v100, v99, v94
	global_load_b32 v96, v[18:19], off
	v_add_co_u32 v18, vcc_lo, v73, s6
	s_wait_alu 0xfffd
	v_add_co_ci_u32_e64 v19, null, 0, v74, vcc_lo
	v_mov_b32_e32 v74, v71
	global_load_u16 v99, v[18:19], off
	v_add_co_u32 v18, vcc_lo, v3, s6
	s_wait_alu 0xfffd
	v_add_co_ci_u32_e64 v19, null, 0, v4, vcc_lo
	global_load_b32 v100, v[18:19], off
	v_add_co_u32 v18, vcc_lo, v71, s6
	s_wait_alu 0xfffd
	v_add_co_ci_u32_e64 v19, null, 0, v72, vcc_lo
	v_mov_b32_e32 v71, v14
	global_load_u16 v18, v[18:19], off
	s_wait_loadcnt 0x3
	v_ashrrev_i32_e32 v19, v89, v96
	s_delay_alu instid0(VALU_DEP_1) | instskip(SKIP_2) | instid1(VALU_DEP_2)
	v_and_b32_e32 v19, 0xf0f0f0f, v19
	s_wait_loadcnt 0x2
	v_mul_u32_u24_e32 v99, 0x10001, v99
	v_lshlrev_b16 v96, 8, v19
	v_and_b32_e32 v101, 0xf00, v19
	v_lshrrev_b32_e32 v19, 16, v19
	s_delay_alu instid0(VALU_DEP_3) | instskip(NEXT) | instid1(VALU_DEP_1)
	v_add_nc_u16 v96, 0xf800, v96
	v_lshrrev_b16 v96, 8, v96
	s_wait_loadcnt 0x0
	v_mul_u32_u24_e32 v18, 0x10001, v18
	s_delay_alu instid0(VALU_DEP_2) | instskip(SKIP_2) | instid1(VALU_DEP_3)
	v_or_b32_e32 v96, v101, v96
	v_lshlrev_b16 v101, 8, v19
	v_and_b32_e32 v19, 0xf00, v19
	v_add_nc_u16 v96, 0xf800, v96
	s_delay_alu instid0(VALU_DEP_3) | instskip(NEXT) | instid1(VALU_DEP_1)
	v_add_nc_u16 v101, 0xf800, v101
	v_lshrrev_b16 v101, 8, v101
	s_delay_alu instid0(VALU_DEP_1) | instskip(NEXT) | instid1(VALU_DEP_4)
	v_or_b32_e32 v19, v19, v101
	v_lshrrev_b32_e32 v101, 8, v96
	v_bfe_i32 v96, v96, 0, 8
	s_delay_alu instid0(VALU_DEP_3) | instskip(NEXT) | instid1(VALU_DEP_3)
	v_add_nc_u16 v19, 0xf800, v19
	v_bfe_i32 v101, v101, 0, 8
	s_delay_alu instid0(VALU_DEP_3) | instskip(NEXT) | instid1(VALU_DEP_2)
	v_cvt_f16_i16_e32 v96, v96
	v_cvt_f16_i16_e32 v101, v101
	s_delay_alu instid0(VALU_DEP_1) | instskip(SKIP_2) | instid1(VALU_DEP_3)
	v_pack_b32_f16 v96, v96, v101
	v_lshrrev_b32_e32 v101, 8, v19
	v_bfe_i32 v19, v19, 0, 8
	v_pk_mul_f16 v96, v96, v99
	s_delay_alu instid0(VALU_DEP_3) | instskip(NEXT) | instid1(VALU_DEP_3)
	v_bfe_i32 v101, v101, 0, 8
	v_cvt_f16_i16_e32 v19, v19
	s_delay_alu instid0(VALU_DEP_2) | instskip(NEXT) | instid1(VALU_DEP_1)
	v_cvt_f16_i16_e32 v101, v101
	v_pack_b32_f16 v19, v19, v101
	s_delay_alu instid0(VALU_DEP_1) | instskip(SKIP_1) | instid1(VALU_DEP_1)
	v_pk_mul_f16 v19, v19, v99
	v_ashrrev_i32_e32 v99, v89, v100
	v_and_b32_e32 v99, 0xf0f0f0f, v99
	s_delay_alu instid0(VALU_DEP_1) | instskip(SKIP_2) | instid1(VALU_DEP_3)
	v_lshlrev_b16 v100, 8, v99
	v_and_b32_e32 v101, 0xf00, v99
	v_lshrrev_b32_e32 v99, 16, v99
	v_add_nc_u16 v100, 0xf800, v100
	s_delay_alu instid0(VALU_DEP_1) | instskip(NEXT) | instid1(VALU_DEP_1)
	v_lshrrev_b16 v100, 8, v100
	v_or_b32_e32 v100, v101, v100
	s_delay_alu instid0(VALU_DEP_4) | instskip(SKIP_1) | instid1(VALU_DEP_3)
	v_lshlrev_b16 v101, 8, v99
	v_and_b32_e32 v99, 0xf00, v99
	v_add_nc_u16 v100, 0xf800, v100
	s_delay_alu instid0(VALU_DEP_3) | instskip(NEXT) | instid1(VALU_DEP_1)
	v_add_nc_u16 v101, 0xf800, v101
	v_lshrrev_b16 v101, 8, v101
	s_delay_alu instid0(VALU_DEP_1) | instskip(NEXT) | instid1(VALU_DEP_4)
	v_or_b32_e32 v99, v99, v101
	v_lshrrev_b32_e32 v101, 8, v100
	v_bfe_i32 v100, v100, 0, 8
	s_delay_alu instid0(VALU_DEP_3) | instskip(NEXT) | instid1(VALU_DEP_3)
	v_add_nc_u16 v99, 0xf800, v99
	v_bfe_i32 v101, v101, 0, 8
	s_delay_alu instid0(VALU_DEP_3) | instskip(NEXT) | instid1(VALU_DEP_2)
	v_cvt_f16_i16_e32 v100, v100
	v_cvt_f16_i16_e32 v101, v101
	s_delay_alu instid0(VALU_DEP_1) | instskip(SKIP_2) | instid1(VALU_DEP_3)
	v_pack_b32_f16 v100, v100, v101
	v_lshrrev_b32_e32 v101, 8, v99
	v_bfe_i32 v99, v99, 0, 8
	v_pk_mul_f16 v100, v100, v18
	s_delay_alu instid0(VALU_DEP_3) | instskip(NEXT) | instid1(VALU_DEP_3)
	v_bfe_i32 v101, v101, 0, 8
	v_cvt_f16_i16_e32 v99, v99
	s_delay_alu instid0(VALU_DEP_2) | instskip(NEXT) | instid1(VALU_DEP_1)
	v_cvt_f16_i16_e32 v101, v101
	v_pack_b32_f16 v99, v99, v101
	s_delay_alu instid0(VALU_DEP_1)
	v_pk_mul_f16 v18, v99, v18
	v_mul_u32_u24_e32 v99, 0x10001, v56
	scratch_load_b32 v56, off, off offset:340 th:TH_LOAD_LU ; 4-byte Folded Reload
	s_clause 0x1
	scratch_store_b32 off, v139, off offset:340
	scratch_store_b32 off, v143, off offset:368
	v_mov_b32_e32 v143, v142
	v_pk_fma_f16 v92, v18, v99, v92
	v_add_co_u32 v18, vcc_lo, v0, s6
	v_pk_fma_f16 v23, v19, v99, v23
	s_wait_alu 0xfffd
	v_add_co_ci_u32_e64 v19, null, 0, v153, vcc_lo
	v_pk_fma_f16 v91, v96, v99, v91
	v_pk_fma_f16 v94, v100, v99, v94
	global_load_b32 v96, v[18:19], off
	v_add_co_u32 v18, vcc_lo, v13, s6
	s_wait_alu 0xfffd
	v_add_co_ci_u32_e64 v19, null, 0, v14, vcc_lo
	v_mov_b32_e32 v14, v0
	v_mov_b32_e32 v0, v70
	global_load_u16 v99, v[18:19], off
	v_add_co_u32 v18, vcc_lo, v139, s6
	s_wait_alu 0xfffd
	v_add_co_ci_u32_e64 v19, null, 0, v141, vcc_lo
	v_mov_b32_e32 v139, v138
	v_mov_b32_e32 v141, v140
	global_load_b32 v100, v[18:19], off
	v_add_co_u32 v18, vcc_lo, v146, s6
	s_wait_alu 0xfffd
	v_add_co_ci_u32_e64 v19, null, 0, v143, vcc_lo
	global_load_u16 v18, v[18:19], off
	s_wait_loadcnt 0x3
	v_ashrrev_i32_e32 v19, v89, v96
	s_delay_alu instid0(VALU_DEP_1) | instskip(SKIP_2) | instid1(VALU_DEP_2)
	v_and_b32_e32 v19, 0xf0f0f0f, v19
	s_wait_loadcnt 0x2
	v_mul_u32_u24_e32 v99, 0x10001, v99
	v_lshlrev_b16 v96, 8, v19
	v_and_b32_e32 v101, 0xf00, v19
	v_lshrrev_b32_e32 v19, 16, v19
	s_delay_alu instid0(VALU_DEP_3) | instskip(NEXT) | instid1(VALU_DEP_1)
	v_add_nc_u16 v96, 0xf800, v96
	v_lshrrev_b16 v96, 8, v96
	s_wait_loadcnt 0x0
	v_mul_u32_u24_e32 v18, 0x10001, v18
	s_delay_alu instid0(VALU_DEP_2) | instskip(SKIP_2) | instid1(VALU_DEP_3)
	v_or_b32_e32 v96, v101, v96
	v_lshlrev_b16 v101, 8, v19
	v_and_b32_e32 v19, 0xf00, v19
	v_add_nc_u16 v96, 0xf800, v96
	s_delay_alu instid0(VALU_DEP_3) | instskip(NEXT) | instid1(VALU_DEP_1)
	v_add_nc_u16 v101, 0xf800, v101
	v_lshrrev_b16 v101, 8, v101
	s_delay_alu instid0(VALU_DEP_1) | instskip(NEXT) | instid1(VALU_DEP_4)
	v_or_b32_e32 v19, v19, v101
	v_lshrrev_b32_e32 v101, 8, v96
	v_bfe_i32 v96, v96, 0, 8
	s_delay_alu instid0(VALU_DEP_3) | instskip(NEXT) | instid1(VALU_DEP_3)
	v_add_nc_u16 v19, 0xf800, v19
	v_bfe_i32 v101, v101, 0, 8
	s_delay_alu instid0(VALU_DEP_3) | instskip(NEXT) | instid1(VALU_DEP_2)
	v_cvt_f16_i16_e32 v96, v96
	v_cvt_f16_i16_e32 v101, v101
	s_delay_alu instid0(VALU_DEP_1) | instskip(SKIP_2) | instid1(VALU_DEP_3)
	v_pack_b32_f16 v96, v96, v101
	v_lshrrev_b32_e32 v101, 8, v19
	v_bfe_i32 v19, v19, 0, 8
	v_pk_mul_f16 v96, v96, v99
	s_delay_alu instid0(VALU_DEP_3) | instskip(NEXT) | instid1(VALU_DEP_3)
	v_bfe_i32 v101, v101, 0, 8
	v_cvt_f16_i16_e32 v19, v19
	s_delay_alu instid0(VALU_DEP_2) | instskip(NEXT) | instid1(VALU_DEP_1)
	v_cvt_f16_i16_e32 v101, v101
	v_pack_b32_f16 v19, v19, v101
	s_delay_alu instid0(VALU_DEP_1) | instskip(SKIP_1) | instid1(VALU_DEP_1)
	v_pk_mul_f16 v19, v19, v99
	v_ashrrev_i32_e32 v99, v89, v100
	v_and_b32_e32 v99, 0xf0f0f0f, v99
	s_delay_alu instid0(VALU_DEP_1) | instskip(SKIP_2) | instid1(VALU_DEP_3)
	v_lshlrev_b16 v100, 8, v99
	v_and_b32_e32 v101, 0xf00, v99
	v_lshrrev_b32_e32 v99, 16, v99
	v_add_nc_u16 v100, 0xf800, v100
	s_delay_alu instid0(VALU_DEP_1) | instskip(NEXT) | instid1(VALU_DEP_1)
	v_lshrrev_b16 v100, 8, v100
	v_or_b32_e32 v100, v101, v100
	s_delay_alu instid0(VALU_DEP_4) | instskip(SKIP_1) | instid1(VALU_DEP_3)
	v_lshlrev_b16 v101, 8, v99
	v_and_b32_e32 v99, 0xf00, v99
	v_add_nc_u16 v100, 0xf800, v100
	s_delay_alu instid0(VALU_DEP_3) | instskip(NEXT) | instid1(VALU_DEP_1)
	v_add_nc_u16 v101, 0xf800, v101
	v_lshrrev_b16 v101, 8, v101
	s_delay_alu instid0(VALU_DEP_1) | instskip(NEXT) | instid1(VALU_DEP_4)
	v_or_b32_e32 v99, v99, v101
	v_lshrrev_b32_e32 v101, 8, v100
	v_bfe_i32 v100, v100, 0, 8
	s_delay_alu instid0(VALU_DEP_3) | instskip(NEXT) | instid1(VALU_DEP_3)
	v_add_nc_u16 v99, 0xf800, v99
	v_bfe_i32 v101, v101, 0, 8
	s_delay_alu instid0(VALU_DEP_3) | instskip(NEXT) | instid1(VALU_DEP_2)
	v_cvt_f16_i16_e32 v100, v100
	v_cvt_f16_i16_e32 v101, v101
	s_delay_alu instid0(VALU_DEP_1) | instskip(SKIP_2) | instid1(VALU_DEP_3)
	v_pack_b32_f16 v100, v100, v101
	v_lshrrev_b32_e32 v101, 8, v99
	v_bfe_i32 v99, v99, 0, 8
	v_pk_mul_f16 v100, v100, v18
	s_delay_alu instid0(VALU_DEP_3) | instskip(NEXT) | instid1(VALU_DEP_3)
	v_bfe_i32 v101, v101, 0, 8
	v_cvt_f16_i16_e32 v99, v99
	s_delay_alu instid0(VALU_DEP_2) | instskip(NEXT) | instid1(VALU_DEP_1)
	v_cvt_f16_i16_e32 v101, v101
	v_pack_b32_f16 v99, v99, v101
	s_delay_alu instid0(VALU_DEP_1)
	v_pk_mul_f16 v18, v99, v18
	v_mul_u32_u24_e32 v99, 0x10001, v56
	scratch_load_b32 v56, off, off offset:360 th:TH_LOAD_LU ; 4-byte Folded Reload
	v_pk_fma_f16 v92, v18, v99, v92
	v_add_co_u32 v18, vcc_lo, v139, s6
	v_pk_fma_f16 v23, v19, v99, v23
	s_wait_alu 0xfffd
	v_add_co_ci_u32_e64 v19, null, 0, v141, vcc_lo
	v_pk_fma_f16 v91, v96, v99, v91
	v_pk_fma_f16 v94, v100, v99, v94
	global_load_b32 v96, v[18:19], off
	v_add_co_u32 v18, vcc_lo, v9, s6
	s_wait_alu 0xfffd
	v_add_co_ci_u32_e64 v19, null, 0, v10, vcc_lo
	global_load_u16 v99, v[18:19], off
	v_add_co_u32 v18, vcc_lo, v254, s6
	s_wait_alu 0xfffd
	v_add_co_ci_u32_e64 v19, null, 0, v255, vcc_lo
	global_load_b32 v100, v[18:19], off
	v_add_co_u32 v18, vcc_lo, v5, s6
	s_wait_alu 0xfffd
	v_add_co_ci_u32_e64 v19, null, 0, v6, vcc_lo
	global_load_u16 v18, v[18:19], off
	s_wait_loadcnt 0x3
	v_ashrrev_i32_e32 v19, v89, v96
	s_delay_alu instid0(VALU_DEP_1) | instskip(SKIP_2) | instid1(VALU_DEP_2)
	v_and_b32_e32 v19, 0xf0f0f0f, v19
	s_wait_loadcnt 0x2
	v_mul_u32_u24_e32 v99, 0x10001, v99
	v_lshlrev_b16 v96, 8, v19
	v_and_b32_e32 v101, 0xf00, v19
	v_lshrrev_b32_e32 v19, 16, v19
	s_delay_alu instid0(VALU_DEP_3) | instskip(NEXT) | instid1(VALU_DEP_1)
	v_add_nc_u16 v96, 0xf800, v96
	v_lshrrev_b16 v96, 8, v96
	s_wait_loadcnt 0x0
	v_mul_u32_u24_e32 v18, 0x10001, v18
	s_delay_alu instid0(VALU_DEP_2) | instskip(SKIP_2) | instid1(VALU_DEP_3)
	v_or_b32_e32 v96, v101, v96
	v_lshlrev_b16 v101, 8, v19
	v_and_b32_e32 v19, 0xf00, v19
	v_add_nc_u16 v96, 0xf800, v96
	s_delay_alu instid0(VALU_DEP_3) | instskip(NEXT) | instid1(VALU_DEP_1)
	v_add_nc_u16 v101, 0xf800, v101
	v_lshrrev_b16 v101, 8, v101
	s_delay_alu instid0(VALU_DEP_1) | instskip(NEXT) | instid1(VALU_DEP_4)
	v_or_b32_e32 v19, v19, v101
	v_lshrrev_b32_e32 v101, 8, v96
	v_bfe_i32 v96, v96, 0, 8
	s_delay_alu instid0(VALU_DEP_3) | instskip(NEXT) | instid1(VALU_DEP_3)
	v_add_nc_u16 v19, 0xf800, v19
	v_bfe_i32 v101, v101, 0, 8
	s_delay_alu instid0(VALU_DEP_3) | instskip(NEXT) | instid1(VALU_DEP_2)
	v_cvt_f16_i16_e32 v96, v96
	v_cvt_f16_i16_e32 v101, v101
	s_delay_alu instid0(VALU_DEP_1) | instskip(SKIP_2) | instid1(VALU_DEP_3)
	v_pack_b32_f16 v96, v96, v101
	v_lshrrev_b32_e32 v101, 8, v19
	v_bfe_i32 v19, v19, 0, 8
	v_pk_mul_f16 v96, v96, v99
	s_delay_alu instid0(VALU_DEP_3) | instskip(NEXT) | instid1(VALU_DEP_3)
	v_bfe_i32 v101, v101, 0, 8
	v_cvt_f16_i16_e32 v19, v19
	s_delay_alu instid0(VALU_DEP_2) | instskip(NEXT) | instid1(VALU_DEP_1)
	v_cvt_f16_i16_e32 v101, v101
	v_pack_b32_f16 v19, v19, v101
	s_delay_alu instid0(VALU_DEP_1) | instskip(SKIP_1) | instid1(VALU_DEP_1)
	v_pk_mul_f16 v19, v19, v99
	v_ashrrev_i32_e32 v99, v89, v100
	v_and_b32_e32 v99, 0xf0f0f0f, v99
	s_delay_alu instid0(VALU_DEP_1) | instskip(SKIP_2) | instid1(VALU_DEP_3)
	v_lshlrev_b16 v100, 8, v99
	v_and_b32_e32 v101, 0xf00, v99
	v_lshrrev_b32_e32 v99, 16, v99
	v_add_nc_u16 v100, 0xf800, v100
	s_delay_alu instid0(VALU_DEP_1) | instskip(NEXT) | instid1(VALU_DEP_1)
	v_lshrrev_b16 v100, 8, v100
	v_or_b32_e32 v100, v101, v100
	s_delay_alu instid0(VALU_DEP_4) | instskip(SKIP_1) | instid1(VALU_DEP_3)
	v_lshlrev_b16 v101, 8, v99
	v_and_b32_e32 v99, 0xf00, v99
	v_add_nc_u16 v100, 0xf800, v100
	s_delay_alu instid0(VALU_DEP_3) | instskip(NEXT) | instid1(VALU_DEP_1)
	v_add_nc_u16 v101, 0xf800, v101
	v_lshrrev_b16 v101, 8, v101
	s_delay_alu instid0(VALU_DEP_1) | instskip(NEXT) | instid1(VALU_DEP_4)
	v_or_b32_e32 v99, v99, v101
	v_lshrrev_b32_e32 v101, 8, v100
	v_bfe_i32 v100, v100, 0, 8
	s_delay_alu instid0(VALU_DEP_3) | instskip(NEXT) | instid1(VALU_DEP_3)
	v_add_nc_u16 v99, 0xf800, v99
	v_bfe_i32 v101, v101, 0, 8
	s_delay_alu instid0(VALU_DEP_3) | instskip(NEXT) | instid1(VALU_DEP_2)
	v_cvt_f16_i16_e32 v100, v100
	v_cvt_f16_i16_e32 v101, v101
	s_delay_alu instid0(VALU_DEP_1) | instskip(SKIP_2) | instid1(VALU_DEP_3)
	v_pack_b32_f16 v100, v100, v101
	v_lshrrev_b32_e32 v101, 8, v99
	v_bfe_i32 v99, v99, 0, 8
	v_pk_mul_f16 v100, v100, v18
	s_delay_alu instid0(VALU_DEP_3) | instskip(NEXT) | instid1(VALU_DEP_3)
	v_bfe_i32 v101, v101, 0, 8
	v_cvt_f16_i16_e32 v99, v99
	s_delay_alu instid0(VALU_DEP_2) | instskip(NEXT) | instid1(VALU_DEP_1)
	v_cvt_f16_i16_e32 v101, v101
	v_pack_b32_f16 v99, v99, v101
	s_delay_alu instid0(VALU_DEP_1)
	v_pk_mul_f16 v18, v99, v18
	v_mul_u32_u24_e32 v99, 0x10001, v56
	scratch_load_b32 v56, off, off offset:356 th:TH_LOAD_LU ; 4-byte Folded Reload
	v_pk_fma_f16 v92, v18, v99, v92
	v_add_co_u32 v18, vcc_lo, v70, s6
	v_pk_fma_f16 v23, v19, v99, v23
	s_wait_alu 0xfffd
	v_add_co_ci_u32_e64 v19, null, 0, v154, vcc_lo
	v_pk_fma_f16 v91, v96, v99, v91
	v_pk_fma_f16 v94, v100, v99, v94
	v_mov_b32_e32 v70, v55
	global_load_b32 v96, v[18:19], off
	v_add_co_u32 v18, vcc_lo, v251, s6
	s_wait_alu 0xfffd
	v_add_co_ci_u32_e64 v19, null, 0, v2, vcc_lo
	global_load_u16 v99, v[18:19], off
	v_add_co_u32 v18, vcc_lo, v52, s6
	s_wait_alu 0xfffd
	v_add_co_ci_u32_e64 v19, null, 0, v53, vcc_lo
	global_load_b32 v100, v[18:19], off
	v_add_co_u32 v18, vcc_lo, v54, s6
	s_wait_alu 0xfffd
	v_add_co_ci_u32_e64 v19, null, 0, v55, vcc_lo
	v_dual_mov_b32 v55, v54 :: v_dual_mov_b32 v54, v53
	v_mov_b32_e32 v53, v52
	global_load_u16 v18, v[18:19], off
	v_mov_b32_e32 v52, v51
	s_wait_loadcnt 0x3
	v_ashrrev_i32_e32 v19, v89, v96
	s_delay_alu instid0(VALU_DEP_1) | instskip(SKIP_2) | instid1(VALU_DEP_2)
	v_and_b32_e32 v19, 0xf0f0f0f, v19
	s_wait_loadcnt 0x2
	v_mul_u32_u24_e32 v99, 0x10001, v99
	v_lshlrev_b16 v96, 8, v19
	v_and_b32_e32 v101, 0xf00, v19
	v_lshrrev_b32_e32 v19, 16, v19
	s_delay_alu instid0(VALU_DEP_3) | instskip(NEXT) | instid1(VALU_DEP_1)
	v_add_nc_u16 v96, 0xf800, v96
	v_lshrrev_b16 v96, 8, v96
	s_wait_loadcnt 0x0
	v_mul_u32_u24_e32 v18, 0x10001, v18
	s_delay_alu instid0(VALU_DEP_2) | instskip(SKIP_2) | instid1(VALU_DEP_3)
	v_or_b32_e32 v96, v101, v96
	v_lshlrev_b16 v101, 8, v19
	v_and_b32_e32 v19, 0xf00, v19
	v_add_nc_u16 v96, 0xf800, v96
	s_delay_alu instid0(VALU_DEP_3) | instskip(NEXT) | instid1(VALU_DEP_1)
	v_add_nc_u16 v101, 0xf800, v101
	v_lshrrev_b16 v101, 8, v101
	s_delay_alu instid0(VALU_DEP_1) | instskip(NEXT) | instid1(VALU_DEP_4)
	v_or_b32_e32 v19, v19, v101
	v_lshrrev_b32_e32 v101, 8, v96
	v_bfe_i32 v96, v96, 0, 8
	s_delay_alu instid0(VALU_DEP_3) | instskip(NEXT) | instid1(VALU_DEP_3)
	v_add_nc_u16 v19, 0xf800, v19
	v_bfe_i32 v101, v101, 0, 8
	s_delay_alu instid0(VALU_DEP_3) | instskip(NEXT) | instid1(VALU_DEP_2)
	v_cvt_f16_i16_e32 v96, v96
	v_cvt_f16_i16_e32 v101, v101
	s_delay_alu instid0(VALU_DEP_1) | instskip(SKIP_2) | instid1(VALU_DEP_3)
	v_pack_b32_f16 v96, v96, v101
	v_lshrrev_b32_e32 v101, 8, v19
	v_bfe_i32 v19, v19, 0, 8
	v_pk_mul_f16 v96, v96, v99
	s_delay_alu instid0(VALU_DEP_3) | instskip(NEXT) | instid1(VALU_DEP_3)
	v_bfe_i32 v101, v101, 0, 8
	v_cvt_f16_i16_e32 v19, v19
	s_delay_alu instid0(VALU_DEP_2) | instskip(NEXT) | instid1(VALU_DEP_1)
	v_cvt_f16_i16_e32 v101, v101
	v_pack_b32_f16 v19, v19, v101
	s_delay_alu instid0(VALU_DEP_1) | instskip(SKIP_1) | instid1(VALU_DEP_1)
	v_pk_mul_f16 v19, v19, v99
	v_ashrrev_i32_e32 v99, v89, v100
	v_and_b32_e32 v99, 0xf0f0f0f, v99
	s_delay_alu instid0(VALU_DEP_1) | instskip(SKIP_2) | instid1(VALU_DEP_3)
	v_lshlrev_b16 v100, 8, v99
	v_and_b32_e32 v101, 0xf00, v99
	v_lshrrev_b32_e32 v99, 16, v99
	v_add_nc_u16 v100, 0xf800, v100
	s_delay_alu instid0(VALU_DEP_1) | instskip(NEXT) | instid1(VALU_DEP_1)
	v_lshrrev_b16 v100, 8, v100
	v_or_b32_e32 v100, v101, v100
	s_delay_alu instid0(VALU_DEP_4) | instskip(SKIP_1) | instid1(VALU_DEP_3)
	v_lshlrev_b16 v101, 8, v99
	v_and_b32_e32 v99, 0xf00, v99
	v_add_nc_u16 v100, 0xf800, v100
	s_delay_alu instid0(VALU_DEP_3) | instskip(NEXT) | instid1(VALU_DEP_1)
	v_add_nc_u16 v101, 0xf800, v101
	v_lshrrev_b16 v101, 8, v101
	s_delay_alu instid0(VALU_DEP_1) | instskip(NEXT) | instid1(VALU_DEP_4)
	v_or_b32_e32 v99, v99, v101
	v_lshrrev_b32_e32 v101, 8, v100
	v_bfe_i32 v100, v100, 0, 8
	s_delay_alu instid0(VALU_DEP_3) | instskip(NEXT) | instid1(VALU_DEP_3)
	v_add_nc_u16 v99, 0xf800, v99
	v_bfe_i32 v101, v101, 0, 8
	s_delay_alu instid0(VALU_DEP_3) | instskip(NEXT) | instid1(VALU_DEP_2)
	v_cvt_f16_i16_e32 v100, v100
	v_cvt_f16_i16_e32 v101, v101
	s_delay_alu instid0(VALU_DEP_1) | instskip(SKIP_2) | instid1(VALU_DEP_3)
	v_pack_b32_f16 v100, v100, v101
	v_lshrrev_b32_e32 v101, 8, v99
	v_bfe_i32 v99, v99, 0, 8
	v_pk_mul_f16 v100, v100, v18
	s_delay_alu instid0(VALU_DEP_3) | instskip(NEXT) | instid1(VALU_DEP_3)
	v_bfe_i32 v101, v101, 0, 8
	v_cvt_f16_i16_e32 v99, v99
	s_delay_alu instid0(VALU_DEP_2) | instskip(NEXT) | instid1(VALU_DEP_1)
	v_cvt_f16_i16_e32 v101, v101
	v_pack_b32_f16 v99, v99, v101
	s_delay_alu instid0(VALU_DEP_1)
	v_pk_mul_f16 v18, v99, v18
	v_mul_u32_u24_e32 v99, 0x10001, v56
	scratch_load_b32 v56, off, off offset:364 th:TH_LOAD_LU ; 4-byte Folded Reload
	v_pk_fma_f16 v92, v18, v99, v92
	v_add_co_u32 v18, vcc_lo, v48, s6
	v_pk_fma_f16 v23, v19, v99, v23
	s_wait_alu 0xfffd
	v_add_co_ci_u32_e64 v19, null, 0, v49, vcc_lo
	v_pk_fma_f16 v91, v96, v99, v91
	v_pk_fma_f16 v94, v100, v99, v94
	global_load_b32 v96, v[18:19], off
	v_add_co_u32 v18, vcc_lo, v50, s6
	s_wait_alu 0xfffd
	v_add_co_ci_u32_e64 v19, null, 0, v51, vcc_lo
	v_dual_mov_b32 v51, v50 :: v_dual_mov_b32 v50, v49
	v_mov_b32_e32 v49, v48
	global_load_u16 v99, v[18:19], off
	v_add_co_u32 v18, vcc_lo, v44, s6
	s_wait_alu 0xfffd
	v_add_co_ci_u32_e64 v19, null, 0, v45, vcc_lo
	v_mov_b32_e32 v48, v47
	global_load_b32 v100, v[18:19], off
	v_add_co_u32 v18, vcc_lo, v46, s6
	s_wait_alu 0xfffd
	v_add_co_ci_u32_e64 v19, null, 0, v47, vcc_lo
	v_dual_mov_b32 v47, v46 :: v_dual_mov_b32 v46, v45
	v_mov_b32_e32 v45, v44
	global_load_u16 v18, v[18:19], off
	v_mov_b32_e32 v44, v43
	s_wait_loadcnt 0x3
	v_ashrrev_i32_e32 v19, v89, v96
	s_delay_alu instid0(VALU_DEP_1) | instskip(SKIP_2) | instid1(VALU_DEP_2)
	v_and_b32_e32 v19, 0xf0f0f0f, v19
	s_wait_loadcnt 0x2
	v_mul_u32_u24_e32 v99, 0x10001, v99
	v_lshlrev_b16 v96, 8, v19
	v_and_b32_e32 v101, 0xf00, v19
	v_lshrrev_b32_e32 v19, 16, v19
	s_delay_alu instid0(VALU_DEP_3) | instskip(NEXT) | instid1(VALU_DEP_1)
	v_add_nc_u16 v96, 0xf800, v96
	v_lshrrev_b16 v96, 8, v96
	s_wait_loadcnt 0x0
	v_mul_u32_u24_e32 v18, 0x10001, v18
	s_delay_alu instid0(VALU_DEP_2) | instskip(SKIP_2) | instid1(VALU_DEP_3)
	v_or_b32_e32 v96, v101, v96
	v_lshlrev_b16 v101, 8, v19
	v_and_b32_e32 v19, 0xf00, v19
	v_add_nc_u16 v96, 0xf800, v96
	s_delay_alu instid0(VALU_DEP_3) | instskip(NEXT) | instid1(VALU_DEP_1)
	v_add_nc_u16 v101, 0xf800, v101
	v_lshrrev_b16 v101, 8, v101
	s_delay_alu instid0(VALU_DEP_1) | instskip(NEXT) | instid1(VALU_DEP_4)
	v_or_b32_e32 v19, v19, v101
	v_lshrrev_b32_e32 v101, 8, v96
	v_bfe_i32 v96, v96, 0, 8
	s_delay_alu instid0(VALU_DEP_3) | instskip(NEXT) | instid1(VALU_DEP_3)
	v_add_nc_u16 v19, 0xf800, v19
	v_bfe_i32 v101, v101, 0, 8
	s_delay_alu instid0(VALU_DEP_3) | instskip(NEXT) | instid1(VALU_DEP_2)
	v_cvt_f16_i16_e32 v96, v96
	v_cvt_f16_i16_e32 v101, v101
	s_delay_alu instid0(VALU_DEP_1) | instskip(SKIP_2) | instid1(VALU_DEP_3)
	v_pack_b32_f16 v96, v96, v101
	v_lshrrev_b32_e32 v101, 8, v19
	v_bfe_i32 v19, v19, 0, 8
	v_pk_mul_f16 v96, v96, v99
	s_delay_alu instid0(VALU_DEP_3) | instskip(NEXT) | instid1(VALU_DEP_3)
	v_bfe_i32 v101, v101, 0, 8
	v_cvt_f16_i16_e32 v19, v19
	s_delay_alu instid0(VALU_DEP_2) | instskip(NEXT) | instid1(VALU_DEP_1)
	v_cvt_f16_i16_e32 v101, v101
	v_pack_b32_f16 v19, v19, v101
	s_delay_alu instid0(VALU_DEP_1) | instskip(SKIP_1) | instid1(VALU_DEP_1)
	v_pk_mul_f16 v19, v19, v99
	v_ashrrev_i32_e32 v99, v89, v100
	v_and_b32_e32 v99, 0xf0f0f0f, v99
	s_delay_alu instid0(VALU_DEP_1) | instskip(SKIP_2) | instid1(VALU_DEP_3)
	v_lshlrev_b16 v100, 8, v99
	v_and_b32_e32 v101, 0xf00, v99
	v_lshrrev_b32_e32 v99, 16, v99
	v_add_nc_u16 v100, 0xf800, v100
	s_delay_alu instid0(VALU_DEP_1) | instskip(NEXT) | instid1(VALU_DEP_1)
	v_lshrrev_b16 v100, 8, v100
	v_or_b32_e32 v100, v101, v100
	s_delay_alu instid0(VALU_DEP_4) | instskip(SKIP_1) | instid1(VALU_DEP_3)
	v_lshlrev_b16 v101, 8, v99
	v_and_b32_e32 v99, 0xf00, v99
	v_add_nc_u16 v100, 0xf800, v100
	s_delay_alu instid0(VALU_DEP_3) | instskip(NEXT) | instid1(VALU_DEP_1)
	v_add_nc_u16 v101, 0xf800, v101
	v_lshrrev_b16 v101, 8, v101
	s_delay_alu instid0(VALU_DEP_1) | instskip(NEXT) | instid1(VALU_DEP_4)
	v_or_b32_e32 v99, v99, v101
	v_lshrrev_b32_e32 v101, 8, v100
	v_bfe_i32 v100, v100, 0, 8
	s_delay_alu instid0(VALU_DEP_3) | instskip(NEXT) | instid1(VALU_DEP_3)
	v_add_nc_u16 v99, 0xf800, v99
	v_bfe_i32 v101, v101, 0, 8
	s_delay_alu instid0(VALU_DEP_3) | instskip(NEXT) | instid1(VALU_DEP_2)
	v_cvt_f16_i16_e32 v100, v100
	v_cvt_f16_i16_e32 v101, v101
	s_delay_alu instid0(VALU_DEP_1) | instskip(SKIP_2) | instid1(VALU_DEP_3)
	v_pack_b32_f16 v100, v100, v101
	v_lshrrev_b32_e32 v101, 8, v99
	v_bfe_i32 v99, v99, 0, 8
	v_pk_mul_f16 v100, v100, v18
	s_delay_alu instid0(VALU_DEP_3) | instskip(NEXT) | instid1(VALU_DEP_3)
	v_bfe_i32 v101, v101, 0, 8
	v_cvt_f16_i16_e32 v99, v99
	s_delay_alu instid0(VALU_DEP_2) | instskip(NEXT) | instid1(VALU_DEP_1)
	v_cvt_f16_i16_e32 v101, v101
	v_pack_b32_f16 v99, v99, v101
	s_delay_alu instid0(VALU_DEP_1)
	v_pk_mul_f16 v18, v99, v18
	v_mul_u32_u24_e32 v99, 0x10001, v56
	scratch_load_b32 v56, off, off offset:428 th:TH_LOAD_LU ; 4-byte Folded Reload
	v_pk_fma_f16 v92, v18, v99, v92
	v_add_co_u32 v18, vcc_lo, v40, s6
	v_pk_fma_f16 v23, v19, v99, v23
	s_wait_alu 0xfffd
	v_add_co_ci_u32_e64 v19, null, 0, v41, vcc_lo
	v_pk_fma_f16 v91, v96, v99, v91
	v_pk_fma_f16 v94, v100, v99, v94
	global_load_b32 v96, v[18:19], off
	v_add_co_u32 v18, vcc_lo, v42, s6
	s_wait_alu 0xfffd
	v_add_co_ci_u32_e64 v19, null, 0, v43, vcc_lo
	v_dual_mov_b32 v43, v42 :: v_dual_mov_b32 v42, v41
	v_mov_b32_e32 v41, v40
	global_load_u16 v99, v[18:19], off
	v_add_co_u32 v18, vcc_lo, v36, s6
	s_wait_alu 0xfffd
	v_add_co_ci_u32_e64 v19, null, 0, v37, vcc_lo
	v_mov_b32_e32 v40, v39
	global_load_b32 v100, v[18:19], off
	v_add_co_u32 v18, vcc_lo, v38, s6
	s_wait_alu 0xfffd
	v_add_co_ci_u32_e64 v19, null, 0, v39, vcc_lo
	v_dual_mov_b32 v39, v38 :: v_dual_mov_b32 v38, v37
	v_mov_b32_e32 v37, v36
	global_load_u16 v18, v[18:19], off
	v_mov_b32_e32 v36, v35
	s_wait_loadcnt 0x3
	v_ashrrev_i32_e32 v19, v89, v96
	s_delay_alu instid0(VALU_DEP_1) | instskip(SKIP_2) | instid1(VALU_DEP_2)
	v_and_b32_e32 v19, 0xf0f0f0f, v19
	s_wait_loadcnt 0x2
	v_mul_u32_u24_e32 v99, 0x10001, v99
	v_lshlrev_b16 v96, 8, v19
	v_and_b32_e32 v101, 0xf00, v19
	v_lshrrev_b32_e32 v19, 16, v19
	s_delay_alu instid0(VALU_DEP_3) | instskip(NEXT) | instid1(VALU_DEP_1)
	v_add_nc_u16 v96, 0xf800, v96
	v_lshrrev_b16 v96, 8, v96
	s_wait_loadcnt 0x0
	v_mul_u32_u24_e32 v18, 0x10001, v18
	s_delay_alu instid0(VALU_DEP_2) | instskip(SKIP_2) | instid1(VALU_DEP_3)
	v_or_b32_e32 v96, v101, v96
	v_lshlrev_b16 v101, 8, v19
	v_and_b32_e32 v19, 0xf00, v19
	v_add_nc_u16 v96, 0xf800, v96
	s_delay_alu instid0(VALU_DEP_3) | instskip(NEXT) | instid1(VALU_DEP_1)
	v_add_nc_u16 v101, 0xf800, v101
	v_lshrrev_b16 v101, 8, v101
	s_delay_alu instid0(VALU_DEP_1) | instskip(NEXT) | instid1(VALU_DEP_4)
	v_or_b32_e32 v19, v19, v101
	v_lshrrev_b32_e32 v101, 8, v96
	v_bfe_i32 v96, v96, 0, 8
	s_delay_alu instid0(VALU_DEP_3) | instskip(NEXT) | instid1(VALU_DEP_3)
	v_add_nc_u16 v19, 0xf800, v19
	v_bfe_i32 v101, v101, 0, 8
	s_delay_alu instid0(VALU_DEP_3) | instskip(NEXT) | instid1(VALU_DEP_2)
	v_cvt_f16_i16_e32 v96, v96
	v_cvt_f16_i16_e32 v101, v101
	s_delay_alu instid0(VALU_DEP_1) | instskip(SKIP_2) | instid1(VALU_DEP_3)
	v_pack_b32_f16 v96, v96, v101
	v_lshrrev_b32_e32 v101, 8, v19
	v_bfe_i32 v19, v19, 0, 8
	v_pk_mul_f16 v96, v96, v99
	s_delay_alu instid0(VALU_DEP_3) | instskip(NEXT) | instid1(VALU_DEP_3)
	v_bfe_i32 v101, v101, 0, 8
	v_cvt_f16_i16_e32 v19, v19
	s_delay_alu instid0(VALU_DEP_2) | instskip(NEXT) | instid1(VALU_DEP_1)
	v_cvt_f16_i16_e32 v101, v101
	v_pack_b32_f16 v19, v19, v101
	s_delay_alu instid0(VALU_DEP_1) | instskip(SKIP_1) | instid1(VALU_DEP_1)
	v_pk_mul_f16 v19, v19, v99
	v_ashrrev_i32_e32 v99, v89, v100
	v_and_b32_e32 v99, 0xf0f0f0f, v99
	s_delay_alu instid0(VALU_DEP_1) | instskip(SKIP_2) | instid1(VALU_DEP_3)
	v_lshlrev_b16 v100, 8, v99
	v_and_b32_e32 v101, 0xf00, v99
	v_lshrrev_b32_e32 v99, 16, v99
	v_add_nc_u16 v100, 0xf800, v100
	s_delay_alu instid0(VALU_DEP_1) | instskip(NEXT) | instid1(VALU_DEP_1)
	v_lshrrev_b16 v100, 8, v100
	v_or_b32_e32 v100, v101, v100
	s_delay_alu instid0(VALU_DEP_4) | instskip(SKIP_1) | instid1(VALU_DEP_3)
	v_lshlrev_b16 v101, 8, v99
	v_and_b32_e32 v99, 0xf00, v99
	v_add_nc_u16 v100, 0xf800, v100
	s_delay_alu instid0(VALU_DEP_3) | instskip(NEXT) | instid1(VALU_DEP_1)
	v_add_nc_u16 v101, 0xf800, v101
	v_lshrrev_b16 v101, 8, v101
	s_delay_alu instid0(VALU_DEP_1) | instskip(NEXT) | instid1(VALU_DEP_4)
	v_or_b32_e32 v99, v99, v101
	v_lshrrev_b32_e32 v101, 8, v100
	v_bfe_i32 v100, v100, 0, 8
	s_delay_alu instid0(VALU_DEP_3) | instskip(NEXT) | instid1(VALU_DEP_3)
	v_add_nc_u16 v99, 0xf800, v99
	v_bfe_i32 v101, v101, 0, 8
	s_delay_alu instid0(VALU_DEP_3) | instskip(NEXT) | instid1(VALU_DEP_2)
	v_cvt_f16_i16_e32 v100, v100
	v_cvt_f16_i16_e32 v101, v101
	s_delay_alu instid0(VALU_DEP_1) | instskip(SKIP_2) | instid1(VALU_DEP_3)
	v_pack_b32_f16 v100, v100, v101
	v_lshrrev_b32_e32 v101, 8, v99
	v_bfe_i32 v99, v99, 0, 8
	v_pk_mul_f16 v100, v100, v18
	s_delay_alu instid0(VALU_DEP_3) | instskip(NEXT) | instid1(VALU_DEP_3)
	v_bfe_i32 v101, v101, 0, 8
	v_cvt_f16_i16_e32 v99, v99
	s_delay_alu instid0(VALU_DEP_2) | instskip(NEXT) | instid1(VALU_DEP_1)
	v_cvt_f16_i16_e32 v101, v101
	v_pack_b32_f16 v99, v99, v101
	s_delay_alu instid0(VALU_DEP_1) | instskip(SKIP_2) | instid1(VALU_DEP_2)
	v_pk_mul_f16 v18, v99, v18
	v_mul_u32_u24_e32 v99, 0x10001, v121
	v_mov_b32_e32 v121, v110
	v_pk_fma_f16 v92, v18, v99, v92
	v_add_co_u32 v18, vcc_lo, v32, s6
	v_pk_fma_f16 v23, v19, v99, v23
	s_wait_alu 0xfffd
	v_add_co_ci_u32_e64 v19, null, 0, v33, vcc_lo
	v_pk_fma_f16 v91, v96, v99, v91
	v_pk_fma_f16 v94, v100, v99, v94
	global_load_b32 v96, v[18:19], off
	v_add_co_u32 v18, vcc_lo, v34, s6
	s_wait_alu 0xfffd
	v_add_co_ci_u32_e64 v19, null, 0, v35, vcc_lo
	v_dual_mov_b32 v35, v34 :: v_dual_mov_b32 v34, v33
	v_mov_b32_e32 v33, v32
	global_load_u16 v99, v[18:19], off
	v_add_co_u32 v18, vcc_lo, v28, s6
	s_wait_alu 0xfffd
	v_add_co_ci_u32_e64 v19, null, 0, v29, vcc_lo
	v_mov_b32_e32 v32, v31
	global_load_b32 v100, v[18:19], off
	v_add_co_u32 v18, vcc_lo, v30, s6
	s_wait_alu 0xfffd
	v_add_co_ci_u32_e64 v19, null, 0, v31, vcc_lo
	v_dual_mov_b32 v31, v30 :: v_dual_mov_b32 v30, v29
	v_mov_b32_e32 v29, v28
	global_load_u16 v18, v[18:19], off
	v_mov_b32_e32 v28, v27
	s_wait_loadcnt 0x3
	v_ashrrev_i32_e32 v19, v89, v96
	s_delay_alu instid0(VALU_DEP_1) | instskip(SKIP_2) | instid1(VALU_DEP_2)
	v_and_b32_e32 v19, 0xf0f0f0f, v19
	s_wait_loadcnt 0x2
	v_mul_u32_u24_e32 v99, 0x10001, v99
	v_lshlrev_b16 v96, 8, v19
	v_and_b32_e32 v101, 0xf00, v19
	v_lshrrev_b32_e32 v19, 16, v19
	s_delay_alu instid0(VALU_DEP_3) | instskip(NEXT) | instid1(VALU_DEP_1)
	v_add_nc_u16 v96, 0xf800, v96
	v_lshrrev_b16 v96, 8, v96
	s_wait_loadcnt 0x0
	v_mul_u32_u24_e32 v18, 0x10001, v18
	s_delay_alu instid0(VALU_DEP_2) | instskip(SKIP_2) | instid1(VALU_DEP_3)
	v_or_b32_e32 v96, v101, v96
	v_lshlrev_b16 v101, 8, v19
	v_and_b32_e32 v19, 0xf00, v19
	v_add_nc_u16 v96, 0xf800, v96
	s_delay_alu instid0(VALU_DEP_3) | instskip(NEXT) | instid1(VALU_DEP_1)
	v_add_nc_u16 v101, 0xf800, v101
	v_lshrrev_b16 v101, 8, v101
	s_delay_alu instid0(VALU_DEP_1) | instskip(NEXT) | instid1(VALU_DEP_4)
	v_or_b32_e32 v19, v19, v101
	v_lshrrev_b32_e32 v101, 8, v96
	v_bfe_i32 v96, v96, 0, 8
	s_delay_alu instid0(VALU_DEP_3) | instskip(NEXT) | instid1(VALU_DEP_3)
	v_add_nc_u16 v19, 0xf800, v19
	v_bfe_i32 v101, v101, 0, 8
	s_delay_alu instid0(VALU_DEP_3) | instskip(NEXT) | instid1(VALU_DEP_2)
	v_cvt_f16_i16_e32 v96, v96
	v_cvt_f16_i16_e32 v101, v101
	s_delay_alu instid0(VALU_DEP_1) | instskip(SKIP_2) | instid1(VALU_DEP_3)
	v_pack_b32_f16 v96, v96, v101
	v_lshrrev_b32_e32 v101, 8, v19
	v_bfe_i32 v19, v19, 0, 8
	v_pk_mul_f16 v96, v96, v99
	s_delay_alu instid0(VALU_DEP_3) | instskip(NEXT) | instid1(VALU_DEP_3)
	v_bfe_i32 v101, v101, 0, 8
	v_cvt_f16_i16_e32 v19, v19
	s_delay_alu instid0(VALU_DEP_2) | instskip(NEXT) | instid1(VALU_DEP_1)
	v_cvt_f16_i16_e32 v101, v101
	v_pack_b32_f16 v19, v19, v101
	s_delay_alu instid0(VALU_DEP_1) | instskip(SKIP_1) | instid1(VALU_DEP_1)
	v_pk_mul_f16 v19, v19, v99
	v_ashrrev_i32_e32 v99, v89, v100
	v_and_b32_e32 v99, 0xf0f0f0f, v99
	s_delay_alu instid0(VALU_DEP_1) | instskip(SKIP_2) | instid1(VALU_DEP_3)
	v_lshlrev_b16 v100, 8, v99
	v_and_b32_e32 v101, 0xf00, v99
	v_lshrrev_b32_e32 v99, 16, v99
	v_add_nc_u16 v100, 0xf800, v100
	s_delay_alu instid0(VALU_DEP_1) | instskip(NEXT) | instid1(VALU_DEP_1)
	v_lshrrev_b16 v100, 8, v100
	v_or_b32_e32 v100, v101, v100
	s_delay_alu instid0(VALU_DEP_4) | instskip(SKIP_1) | instid1(VALU_DEP_3)
	v_lshlrev_b16 v101, 8, v99
	v_and_b32_e32 v99, 0xf00, v99
	v_add_nc_u16 v100, 0xf800, v100
	s_delay_alu instid0(VALU_DEP_3) | instskip(NEXT) | instid1(VALU_DEP_1)
	v_add_nc_u16 v101, 0xf800, v101
	v_lshrrev_b16 v101, 8, v101
	s_delay_alu instid0(VALU_DEP_1) | instskip(NEXT) | instid1(VALU_DEP_4)
	v_or_b32_e32 v99, v99, v101
	v_lshrrev_b32_e32 v101, 8, v100
	v_bfe_i32 v100, v100, 0, 8
	s_delay_alu instid0(VALU_DEP_3) | instskip(NEXT) | instid1(VALU_DEP_3)
	v_add_nc_u16 v99, 0xf800, v99
	v_bfe_i32 v101, v101, 0, 8
	s_delay_alu instid0(VALU_DEP_3) | instskip(NEXT) | instid1(VALU_DEP_2)
	v_cvt_f16_i16_e32 v100, v100
	v_cvt_f16_i16_e32 v101, v101
	s_delay_alu instid0(VALU_DEP_1) | instskip(SKIP_2) | instid1(VALU_DEP_3)
	v_pack_b32_f16 v100, v100, v101
	v_lshrrev_b32_e32 v101, 8, v99
	v_bfe_i32 v99, v99, 0, 8
	v_pk_mul_f16 v100, v100, v18
	s_delay_alu instid0(VALU_DEP_3) | instskip(NEXT) | instid1(VALU_DEP_3)
	v_bfe_i32 v101, v101, 0, 8
	v_cvt_f16_i16_e32 v99, v99
	s_delay_alu instid0(VALU_DEP_2) | instskip(NEXT) | instid1(VALU_DEP_1)
	v_cvt_f16_i16_e32 v101, v101
	v_pack_b32_f16 v99, v99, v101
	s_delay_alu instid0(VALU_DEP_1)
	v_pk_mul_f16 v18, v99, v18
	v_mul_u32_u24_e32 v99, 0x10001, v56
	scratch_load_b32 v56, off, off offset:432 th:TH_LOAD_LU ; 4-byte Folded Reload
	v_pk_fma_f16 v92, v18, v99, v92
	v_add_co_u32 v18, vcc_lo, v24, s6
	v_pk_fma_f16 v23, v19, v99, v23
	s_wait_alu 0xfffd
	v_add_co_ci_u32_e64 v19, null, 0, v25, vcc_lo
	v_pk_fma_f16 v91, v96, v99, v91
	v_pk_fma_f16 v94, v100, v99, v94
	global_load_b32 v96, v[18:19], off
	v_add_co_u32 v18, vcc_lo, v26, s6
	s_wait_alu 0xfffd
	v_add_co_ci_u32_e64 v19, null, 0, v27, vcc_lo
	v_dual_mov_b32 v27, v26 :: v_dual_mov_b32 v26, v25
	v_mov_b32_e32 v25, v24
	global_load_u16 v99, v[18:19], off
	v_add_co_u32 v18, vcc_lo, v68, s6
	s_wait_alu 0xfffd
	v_add_co_ci_u32_e64 v19, null, 0, v69, vcc_lo
	v_mov_b32_e32 v24, v65
	global_load_b32 v100, v[18:19], off
	v_add_co_u32 v18, vcc_lo, v61, s6
	s_wait_alu 0xfffd
	v_add_co_ci_u32_e64 v19, null, 0, v65, vcc_lo
	v_mov_b32_e32 v65, v61
	v_mov_b32_e32 v61, v69
	;; [unrolled: 1-line block ×3, first 2 shown]
	global_load_u16 v18, v[18:19], off
	v_mov_b32_e32 v68, v67
	s_wait_loadcnt 0x3
	v_ashrrev_i32_e32 v19, v89, v96
	s_delay_alu instid0(VALU_DEP_1) | instskip(SKIP_2) | instid1(VALU_DEP_2)
	v_and_b32_e32 v19, 0xf0f0f0f, v19
	s_wait_loadcnt 0x2
	v_mul_u32_u24_e32 v99, 0x10001, v99
	v_lshlrev_b16 v96, 8, v19
	v_and_b32_e32 v101, 0xf00, v19
	v_lshrrev_b32_e32 v19, 16, v19
	s_delay_alu instid0(VALU_DEP_3) | instskip(NEXT) | instid1(VALU_DEP_1)
	v_add_nc_u16 v96, 0xf800, v96
	v_lshrrev_b16 v96, 8, v96
	s_wait_loadcnt 0x0
	v_mul_u32_u24_e32 v18, 0x10001, v18
	s_delay_alu instid0(VALU_DEP_2) | instskip(SKIP_2) | instid1(VALU_DEP_3)
	v_or_b32_e32 v96, v101, v96
	v_lshlrev_b16 v101, 8, v19
	v_and_b32_e32 v19, 0xf00, v19
	v_add_nc_u16 v96, 0xf800, v96
	s_delay_alu instid0(VALU_DEP_3) | instskip(NEXT) | instid1(VALU_DEP_1)
	v_add_nc_u16 v101, 0xf800, v101
	v_lshrrev_b16 v101, 8, v101
	s_delay_alu instid0(VALU_DEP_1) | instskip(NEXT) | instid1(VALU_DEP_4)
	v_or_b32_e32 v19, v19, v101
	v_lshrrev_b32_e32 v101, 8, v96
	v_bfe_i32 v96, v96, 0, 8
	s_delay_alu instid0(VALU_DEP_3) | instskip(NEXT) | instid1(VALU_DEP_3)
	v_add_nc_u16 v19, 0xf800, v19
	v_bfe_i32 v101, v101, 0, 8
	s_delay_alu instid0(VALU_DEP_3) | instskip(NEXT) | instid1(VALU_DEP_2)
	v_cvt_f16_i16_e32 v96, v96
	v_cvt_f16_i16_e32 v101, v101
	s_delay_alu instid0(VALU_DEP_1) | instskip(SKIP_2) | instid1(VALU_DEP_3)
	v_pack_b32_f16 v96, v96, v101
	v_lshrrev_b32_e32 v101, 8, v19
	v_bfe_i32 v19, v19, 0, 8
	v_pk_mul_f16 v96, v96, v99
	s_delay_alu instid0(VALU_DEP_3) | instskip(NEXT) | instid1(VALU_DEP_3)
	v_bfe_i32 v101, v101, 0, 8
	v_cvt_f16_i16_e32 v19, v19
	s_delay_alu instid0(VALU_DEP_2) | instskip(NEXT) | instid1(VALU_DEP_1)
	v_cvt_f16_i16_e32 v101, v101
	v_pack_b32_f16 v19, v19, v101
	s_delay_alu instid0(VALU_DEP_1) | instskip(SKIP_1) | instid1(VALU_DEP_1)
	v_pk_mul_f16 v19, v19, v99
	v_ashrrev_i32_e32 v99, v89, v100
	v_and_b32_e32 v99, 0xf0f0f0f, v99
	s_delay_alu instid0(VALU_DEP_1) | instskip(SKIP_2) | instid1(VALU_DEP_3)
	v_lshlrev_b16 v100, 8, v99
	v_and_b32_e32 v101, 0xf00, v99
	v_lshrrev_b32_e32 v99, 16, v99
	v_add_nc_u16 v100, 0xf800, v100
	s_delay_alu instid0(VALU_DEP_1) | instskip(NEXT) | instid1(VALU_DEP_1)
	v_lshrrev_b16 v100, 8, v100
	v_or_b32_e32 v100, v101, v100
	s_delay_alu instid0(VALU_DEP_4) | instskip(SKIP_1) | instid1(VALU_DEP_3)
	v_lshlrev_b16 v101, 8, v99
	v_and_b32_e32 v99, 0xf00, v99
	v_add_nc_u16 v100, 0xf800, v100
	s_delay_alu instid0(VALU_DEP_3) | instskip(NEXT) | instid1(VALU_DEP_1)
	v_add_nc_u16 v101, 0xf800, v101
	v_lshrrev_b16 v101, 8, v101
	s_delay_alu instid0(VALU_DEP_1) | instskip(NEXT) | instid1(VALU_DEP_4)
	v_or_b32_e32 v99, v99, v101
	v_lshrrev_b32_e32 v101, 8, v100
	v_bfe_i32 v100, v100, 0, 8
	s_delay_alu instid0(VALU_DEP_3) | instskip(NEXT) | instid1(VALU_DEP_3)
	v_add_nc_u16 v99, 0xf800, v99
	v_bfe_i32 v101, v101, 0, 8
	s_delay_alu instid0(VALU_DEP_3) | instskip(NEXT) | instid1(VALU_DEP_2)
	v_cvt_f16_i16_e32 v100, v100
	v_cvt_f16_i16_e32 v101, v101
	s_delay_alu instid0(VALU_DEP_1) | instskip(SKIP_2) | instid1(VALU_DEP_3)
	v_pack_b32_f16 v100, v100, v101
	v_lshrrev_b32_e32 v101, 8, v99
	v_bfe_i32 v99, v99, 0, 8
	v_pk_mul_f16 v100, v100, v18
	s_delay_alu instid0(VALU_DEP_3) | instskip(NEXT) | instid1(VALU_DEP_3)
	v_bfe_i32 v101, v101, 0, 8
	v_cvt_f16_i16_e32 v99, v99
	s_delay_alu instid0(VALU_DEP_2) | instskip(NEXT) | instid1(VALU_DEP_1)
	v_cvt_f16_i16_e32 v101, v101
	v_pack_b32_f16 v99, v99, v101
	s_delay_alu instid0(VALU_DEP_1) | instskip(SKIP_2) | instid1(VALU_DEP_2)
	v_pk_mul_f16 v18, v99, v18
	v_mul_u32_u24_e32 v99, 0x10001, v118
	v_mov_b32_e32 v118, v109
	v_pk_fma_f16 v92, v18, v99, v92
	v_add_co_u32 v18, vcc_lo, v59, s6
	v_pk_fma_f16 v23, v19, v99, v23
	s_wait_alu 0xfffd
	v_add_co_ci_u32_e64 v19, null, 0, v63, vcc_lo
	v_pk_fma_f16 v91, v96, v99, v91
	v_pk_fma_f16 v94, v100, v99, v94
	global_load_b32 v96, v[18:19], off
	v_add_co_u32 v18, vcc_lo, v66, s6
	s_wait_alu 0xfffd
	v_add_co_ci_u32_e64 v19, null, 0, v67, vcc_lo
	v_dual_mov_b32 v67, v66 :: v_dual_mov_b32 v66, v63
	v_mov_b32_e32 v63, v59
	global_load_u16 v99, v[18:19], off
	v_add_co_u32 v18, vcc_lo, v62, s6
	s_wait_alu 0xfffd
	v_add_co_ci_u32_e64 v19, null, 0, v64, vcc_lo
	v_mov_b32_e32 v59, v60
	global_load_b32 v100, v[18:19], off
	v_add_co_u32 v18, vcc_lo, v58, s6
	s_wait_alu 0xfffd
	v_add_co_ci_u32_e64 v19, null, 0, v60, vcc_lo
	v_mov_b32_e32 v60, v58
	v_mov_b32_e32 v58, v64
	;; [unrolled: 1-line block ×3, first 2 shown]
	global_load_u16 v18, v[18:19], off
	v_mov_b32_e32 v62, v232
	s_clause 0x1
	scratch_store_b32 off, v78, off offset:360
	scratch_store_b32 off, v73, off offset:364
	v_mov_b32_e32 v78, v254
	v_mov_b32_e32 v254, v252
	v_mul_u32_u24_e32 v95, 0x10001, v95
	v_dual_mov_b32 v73, v4 :: v_dual_mov_b32 v4, v246
	v_mov_b32_e32 v252, v242
	s_wait_loadcnt 0x3
	v_ashrrev_i32_e32 v19, v89, v96
	s_delay_alu instid0(VALU_DEP_1) | instskip(SKIP_2) | instid1(VALU_DEP_2)
	v_and_b32_e32 v19, 0xf0f0f0f, v19
	s_wait_loadcnt 0x2
	v_mul_u32_u24_e32 v99, 0x10001, v99
	v_lshlrev_b16 v96, 8, v19
	v_and_b32_e32 v101, 0xf00, v19
	v_lshrrev_b32_e32 v19, 16, v19
	s_delay_alu instid0(VALU_DEP_3) | instskip(NEXT) | instid1(VALU_DEP_1)
	v_add_nc_u16 v96, 0xf800, v96
	v_lshrrev_b16 v96, 8, v96
	s_wait_loadcnt 0x0
	v_mul_u32_u24_e32 v18, 0x10001, v18
	s_delay_alu instid0(VALU_DEP_2) | instskip(SKIP_2) | instid1(VALU_DEP_3)
	v_or_b32_e32 v96, v101, v96
	v_lshlrev_b16 v101, 8, v19
	v_and_b32_e32 v19, 0xf00, v19
	v_add_nc_u16 v96, 0xf800, v96
	s_delay_alu instid0(VALU_DEP_3) | instskip(NEXT) | instid1(VALU_DEP_1)
	v_add_nc_u16 v101, 0xf800, v101
	v_lshrrev_b16 v101, 8, v101
	s_delay_alu instid0(VALU_DEP_1) | instskip(NEXT) | instid1(VALU_DEP_4)
	v_or_b32_e32 v19, v19, v101
	v_lshrrev_b32_e32 v101, 8, v96
	v_bfe_i32 v96, v96, 0, 8
	s_delay_alu instid0(VALU_DEP_3) | instskip(NEXT) | instid1(VALU_DEP_3)
	v_add_nc_u16 v19, 0xf800, v19
	v_bfe_i32 v101, v101, 0, 8
	s_delay_alu instid0(VALU_DEP_3) | instskip(NEXT) | instid1(VALU_DEP_2)
	v_cvt_f16_i16_e32 v96, v96
	v_cvt_f16_i16_e32 v101, v101
	s_delay_alu instid0(VALU_DEP_1) | instskip(SKIP_2) | instid1(VALU_DEP_3)
	v_pack_b32_f16 v96, v96, v101
	v_lshrrev_b32_e32 v101, 8, v19
	v_bfe_i32 v19, v19, 0, 8
	v_pk_mul_f16 v96, v96, v99
	s_delay_alu instid0(VALU_DEP_3) | instskip(NEXT) | instid1(VALU_DEP_3)
	v_bfe_i32 v101, v101, 0, 8
	v_cvt_f16_i16_e32 v19, v19
	s_delay_alu instid0(VALU_DEP_2) | instskip(NEXT) | instid1(VALU_DEP_1)
	v_cvt_f16_i16_e32 v101, v101
	v_pack_b32_f16 v19, v19, v101
	s_delay_alu instid0(VALU_DEP_1) | instskip(SKIP_1) | instid1(VALU_DEP_1)
	v_pk_mul_f16 v19, v19, v99
	v_ashrrev_i32_e32 v99, v89, v100
	v_and_b32_e32 v99, 0xf0f0f0f, v99
	s_delay_alu instid0(VALU_DEP_1) | instskip(SKIP_2) | instid1(VALU_DEP_3)
	v_lshlrev_b16 v100, 8, v99
	v_and_b32_e32 v101, 0xf00, v99
	v_lshrrev_b32_e32 v99, 16, v99
	v_add_nc_u16 v100, 0xf800, v100
	s_delay_alu instid0(VALU_DEP_1) | instskip(NEXT) | instid1(VALU_DEP_1)
	v_lshrrev_b16 v100, 8, v100
	v_or_b32_e32 v100, v101, v100
	s_delay_alu instid0(VALU_DEP_4) | instskip(SKIP_1) | instid1(VALU_DEP_3)
	v_lshlrev_b16 v101, 8, v99
	v_and_b32_e32 v99, 0xf00, v99
	v_add_nc_u16 v100, 0xf800, v100
	s_delay_alu instid0(VALU_DEP_3) | instskip(NEXT) | instid1(VALU_DEP_1)
	v_add_nc_u16 v101, 0xf800, v101
	v_lshrrev_b16 v101, 8, v101
	s_delay_alu instid0(VALU_DEP_1) | instskip(NEXT) | instid1(VALU_DEP_4)
	v_or_b32_e32 v99, v99, v101
	v_lshrrev_b32_e32 v101, 8, v100
	v_bfe_i32 v100, v100, 0, 8
	s_delay_alu instid0(VALU_DEP_3) | instskip(NEXT) | instid1(VALU_DEP_3)
	v_add_nc_u16 v99, 0xf800, v99
	v_bfe_i32 v101, v101, 0, 8
	s_delay_alu instid0(VALU_DEP_3) | instskip(NEXT) | instid1(VALU_DEP_2)
	v_cvt_f16_i16_e32 v100, v100
	v_cvt_f16_i16_e32 v101, v101
	s_delay_alu instid0(VALU_DEP_1) | instskip(SKIP_2) | instid1(VALU_DEP_3)
	v_pack_b32_f16 v100, v100, v101
	v_lshrrev_b32_e32 v101, 8, v99
	v_bfe_i32 v99, v99, 0, 8
	v_pk_mul_f16 v100, v100, v18
	s_delay_alu instid0(VALU_DEP_3) | instskip(NEXT) | instid1(VALU_DEP_3)
	v_bfe_i32 v101, v101, 0, 8
	v_cvt_f16_i16_e32 v99, v99
	s_delay_alu instid0(VALU_DEP_2) | instskip(NEXT) | instid1(VALU_DEP_1)
	v_cvt_f16_i16_e32 v101, v101
	v_pack_b32_f16 v99, v99, v101
	s_delay_alu instid0(VALU_DEP_1) | instskip(SKIP_1) | instid1(VALU_DEP_1)
	v_pk_mul_f16 v18, v99, v18
	v_mul_u32_u24_e32 v99, 0x10001, v56
	v_pk_fma_f16 v92, v18, v99, v92
	v_add_co_u32 v18, vcc_lo, v250, s6
	v_pk_fma_f16 v23, v19, v99, v23
	s_wait_alu 0xfffd
	v_add_co_ci_u32_e64 v19, null, 0, v254, vcc_lo
	v_pk_fma_f16 v91, v96, v99, v91
	v_pk_fma_f16 v94, v100, v99, v94
	global_load_b32 v96, v[18:19], off
	s_clause 0x2
	scratch_store_b32 off, v82, off offset:428
	scratch_store_b32 off, v76, off offset:356
	;; [unrolled: 1-line block ×3, first 2 shown]
	v_mov_b32_e32 v7, v255
	v_dual_mov_b32 v255, v253 :: v_dual_mov_b32 v82, v6
	v_mov_b32_e32 v6, v84
	v_mov_b32_e32 v84, v15
	;; [unrolled: 1-line block ×3, first 2 shown]
	s_delay_alu instid0(VALU_DEP_4)
	v_add_co_u32 v18, vcc_lo, v255, s6
	s_wait_alu 0xfffd
	v_add_co_ci_u32_e64 v19, null, 0, v248, vcc_lo
	s_clause 0x2
	scratch_load_b32 v56, off, off offset:464 th:TH_LOAD_LU
	scratch_load_b32 v111, off, off offset:316
	scratch_load_b32 v88, off, off offset:448 th:TH_LOAD_LU
	global_load_u16 v99, v[18:19], off
	v_add_co_u32 v18, vcc_lo, v246, s6
	s_wait_alu 0xfffd
	v_add_co_ci_u32_e64 v19, null, 0, v247, vcc_lo
	v_mov_b32_e32 v15, v153
	v_dual_mov_b32 v5, v154 :: v_dual_mov_b32 v246, v243
	global_load_b32 v100, v[18:19], off
	v_add_co_u32 v18, vcc_lo, v237, s6
	s_wait_alu 0xfffd
	v_add_co_ci_u32_e64 v19, null, 0, v242, vcc_lo
	v_mov_b32_e32 v242, v239
	scratch_load_b32 v154, off, off offset:320 ; 4-byte Folded Reload
	v_mul_u32_u24_e32 v17, 0x10001, v17
	global_load_u16 v18, v[18:19], off
	v_mul_u32_u24_e32 v21, 0x10001, v21
	v_mov_b32_e32 v253, v135
	s_wait_loadcnt 0x7
	v_ashrrev_i32_e32 v19, v89, v96
	s_delay_alu instid0(VALU_DEP_1) | instskip(NEXT) | instid1(VALU_DEP_1)
	v_and_b32_e32 v19, 0xf0f0f0f, v19
	v_lshlrev_b16 v96, 8, v19
	v_and_b32_e32 v101, 0xf00, v19
	v_lshrrev_b32_e32 v19, 16, v19
	s_delay_alu instid0(VALU_DEP_3) | instskip(SKIP_2) | instid1(VALU_DEP_2)
	v_add_nc_u16 v96, 0xf800, v96
	s_wait_loadcnt 0x3
	v_mul_u32_u24_e32 v99, 0x10001, v99
	v_lshrrev_b16 v96, 8, v96
	s_delay_alu instid0(VALU_DEP_1) | instskip(SKIP_2) | instid1(VALU_DEP_3)
	v_or_b32_e32 v96, v101, v96
	v_lshlrev_b16 v101, 8, v19
	v_and_b32_e32 v19, 0xf00, v19
	v_add_nc_u16 v96, 0xf800, v96
	s_delay_alu instid0(VALU_DEP_3) | instskip(SKIP_2) | instid1(VALU_DEP_2)
	v_add_nc_u16 v101, 0xf800, v101
	s_wait_loadcnt 0x0
	v_mul_u32_u24_e32 v18, 0x10001, v18
	v_lshrrev_b16 v101, 8, v101
	s_delay_alu instid0(VALU_DEP_1) | instskip(SKIP_2) | instid1(VALU_DEP_3)
	v_or_b32_e32 v19, v19, v101
	v_lshrrev_b32_e32 v101, 8, v96
	v_bfe_i32 v96, v96, 0, 8
	v_add_nc_u16 v19, 0xf800, v19
	s_delay_alu instid0(VALU_DEP_3) | instskip(NEXT) | instid1(VALU_DEP_3)
	v_bfe_i32 v101, v101, 0, 8
	v_cvt_f16_i16_e32 v96, v96
	s_delay_alu instid0(VALU_DEP_2) | instskip(NEXT) | instid1(VALU_DEP_1)
	v_cvt_f16_i16_e32 v101, v101
	v_pack_b32_f16 v96, v96, v101
	v_lshrrev_b32_e32 v101, 8, v19
	v_bfe_i32 v19, v19, 0, 8
	s_delay_alu instid0(VALU_DEP_3) | instskip(NEXT) | instid1(VALU_DEP_3)
	v_pk_mul_f16 v96, v96, v99
	v_bfe_i32 v101, v101, 0, 8
	s_delay_alu instid0(VALU_DEP_3) | instskip(NEXT) | instid1(VALU_DEP_2)
	v_cvt_f16_i16_e32 v19, v19
	v_cvt_f16_i16_e32 v101, v101
	s_delay_alu instid0(VALU_DEP_1) | instskip(NEXT) | instid1(VALU_DEP_1)
	v_pack_b32_f16 v19, v19, v101
	v_pk_mul_f16 v19, v19, v99
	v_ashrrev_i32_e32 v99, v89, v100
	s_delay_alu instid0(VALU_DEP_1) | instskip(NEXT) | instid1(VALU_DEP_1)
	v_and_b32_e32 v99, 0xf0f0f0f, v99
	v_lshlrev_b16 v100, 8, v99
	v_and_b32_e32 v101, 0xf00, v99
	v_lshrrev_b32_e32 v99, 16, v99
	s_delay_alu instid0(VALU_DEP_3) | instskip(NEXT) | instid1(VALU_DEP_1)
	v_add_nc_u16 v100, 0xf800, v100
	v_lshrrev_b16 v100, 8, v100
	s_delay_alu instid0(VALU_DEP_1) | instskip(NEXT) | instid1(VALU_DEP_4)
	v_or_b32_e32 v100, v101, v100
	v_lshlrev_b16 v101, 8, v99
	v_and_b32_e32 v99, 0xf00, v99
	s_delay_alu instid0(VALU_DEP_3) | instskip(NEXT) | instid1(VALU_DEP_3)
	v_add_nc_u16 v100, 0xf800, v100
	v_add_nc_u16 v101, 0xf800, v101
	s_delay_alu instid0(VALU_DEP_1) | instskip(NEXT) | instid1(VALU_DEP_1)
	v_lshrrev_b16 v101, 8, v101
	v_or_b32_e32 v99, v99, v101
	s_delay_alu instid0(VALU_DEP_4) | instskip(SKIP_1) | instid1(VALU_DEP_3)
	v_lshrrev_b32_e32 v101, 8, v100
	v_bfe_i32 v100, v100, 0, 8
	v_add_nc_u16 v99, 0xf800, v99
	s_delay_alu instid0(VALU_DEP_3) | instskip(NEXT) | instid1(VALU_DEP_3)
	v_bfe_i32 v101, v101, 0, 8
	v_cvt_f16_i16_e32 v100, v100
	s_delay_alu instid0(VALU_DEP_2) | instskip(NEXT) | instid1(VALU_DEP_1)
	v_cvt_f16_i16_e32 v101, v101
	v_pack_b32_f16 v100, v100, v101
	v_lshrrev_b32_e32 v101, 8, v99
	v_bfe_i32 v99, v99, 0, 8
	s_delay_alu instid0(VALU_DEP_3) | instskip(NEXT) | instid1(VALU_DEP_3)
	v_pk_mul_f16 v100, v100, v18
	v_bfe_i32 v101, v101, 0, 8
	s_delay_alu instid0(VALU_DEP_3) | instskip(NEXT) | instid1(VALU_DEP_2)
	v_cvt_f16_i16_e32 v99, v99
	v_cvt_f16_i16_e32 v101, v101
	s_delay_alu instid0(VALU_DEP_1) | instskip(NEXT) | instid1(VALU_DEP_1)
	v_pack_b32_f16 v99, v99, v101
	v_pk_mul_f16 v18, v99, v18
	v_mul_u32_u24_e32 v99, 0x10001, v115
	v_dual_mov_b32 v115, v106 :: v_dual_mov_b32 v106, v129
	v_mov_b32_e32 v129, v13
	s_delay_alu instid0(VALU_DEP_3)
	v_pk_fma_f16 v92, v18, v99, v92
	v_add_co_u32 v18, vcc_lo, v244, s6
	v_pk_fma_f16 v23, v19, v99, v23
	s_wait_alu 0xfffd
	v_add_co_ci_u32_e64 v19, null, 0, v245, vcc_lo
	v_pk_fma_f16 v91, v96, v99, v91
	v_pk_fma_f16 v94, v100, v99, v94
	global_load_b32 v96, v[18:19], off
	v_add_co_u32 v18, vcc_lo, v233, s6
	s_wait_alu 0xfffd
	v_add_co_ci_u32_e64 v19, null, 0, v232, vcc_lo
	v_mov_b32_e32 v232, v216
	global_load_u16 v99, v[18:19], off
	v_add_co_u32 v18, vcc_lo, v240, s6
	s_wait_alu 0xfffd
	v_add_co_ci_u32_e64 v19, null, 0, v241, vcc_lo
	global_load_b32 v100, v[18:19], off
	v_add_co_u32 v18, vcc_lo, v229, s6
	s_wait_alu 0xfffd
	v_add_co_ci_u32_e64 v19, null, 0, v243, vcc_lo
	v_mov_b32_e32 v243, v229
	v_mov_b32_e32 v229, v227
	global_load_u16 v18, v[18:19], off
	s_wait_loadcnt 0x3
	v_ashrrev_i32_e32 v19, v89, v96
	s_delay_alu instid0(VALU_DEP_1) | instskip(SKIP_2) | instid1(VALU_DEP_2)
	v_and_b32_e32 v19, 0xf0f0f0f, v19
	s_wait_loadcnt 0x2
	v_mul_u32_u24_e32 v99, 0x10001, v99
	v_lshlrev_b16 v96, 8, v19
	v_and_b32_e32 v101, 0xf00, v19
	v_lshrrev_b32_e32 v19, 16, v19
	s_delay_alu instid0(VALU_DEP_3) | instskip(NEXT) | instid1(VALU_DEP_1)
	v_add_nc_u16 v96, 0xf800, v96
	v_lshrrev_b16 v96, 8, v96
	s_wait_loadcnt 0x0
	v_mul_u32_u24_e32 v18, 0x10001, v18
	s_delay_alu instid0(VALU_DEP_2) | instskip(SKIP_2) | instid1(VALU_DEP_3)
	v_or_b32_e32 v96, v101, v96
	v_lshlrev_b16 v101, 8, v19
	v_and_b32_e32 v19, 0xf00, v19
	v_add_nc_u16 v96, 0xf800, v96
	s_delay_alu instid0(VALU_DEP_3) | instskip(NEXT) | instid1(VALU_DEP_1)
	v_add_nc_u16 v101, 0xf800, v101
	v_lshrrev_b16 v101, 8, v101
	s_delay_alu instid0(VALU_DEP_1) | instskip(NEXT) | instid1(VALU_DEP_4)
	v_or_b32_e32 v19, v19, v101
	v_lshrrev_b32_e32 v101, 8, v96
	v_bfe_i32 v96, v96, 0, 8
	s_delay_alu instid0(VALU_DEP_3) | instskip(NEXT) | instid1(VALU_DEP_3)
	v_add_nc_u16 v19, 0xf800, v19
	v_bfe_i32 v101, v101, 0, 8
	s_delay_alu instid0(VALU_DEP_3) | instskip(NEXT) | instid1(VALU_DEP_2)
	v_cvt_f16_i16_e32 v96, v96
	v_cvt_f16_i16_e32 v101, v101
	s_delay_alu instid0(VALU_DEP_1) | instskip(SKIP_2) | instid1(VALU_DEP_3)
	v_pack_b32_f16 v96, v96, v101
	v_lshrrev_b32_e32 v101, 8, v19
	v_bfe_i32 v19, v19, 0, 8
	v_pk_mul_f16 v96, v96, v99
	s_delay_alu instid0(VALU_DEP_3) | instskip(NEXT) | instid1(VALU_DEP_3)
	v_bfe_i32 v101, v101, 0, 8
	v_cvt_f16_i16_e32 v19, v19
	s_delay_alu instid0(VALU_DEP_3) | instskip(NEXT) | instid1(VALU_DEP_3)
	v_pk_fma_f16 v91, v96, v98, v91
	v_cvt_f16_i16_e32 v101, v101
	s_delay_alu instid0(VALU_DEP_1) | instskip(NEXT) | instid1(VALU_DEP_1)
	v_pack_b32_f16 v19, v19, v101
	v_pk_mul_f16 v19, v19, v99
	v_ashrrev_i32_e32 v99, v89, v100
	s_delay_alu instid0(VALU_DEP_2) | instskip(NEXT) | instid1(VALU_DEP_2)
	v_pk_fma_f16 v23, v19, v98, v23
	v_and_b32_e32 v99, 0xf0f0f0f, v99
	s_delay_alu instid0(VALU_DEP_1) | instskip(SKIP_2) | instid1(VALU_DEP_3)
	v_lshlrev_b16 v100, 8, v99
	v_and_b32_e32 v101, 0xf00, v99
	v_lshrrev_b32_e32 v99, 16, v99
	v_add_nc_u16 v100, 0xf800, v100
	s_delay_alu instid0(VALU_DEP_1) | instskip(NEXT) | instid1(VALU_DEP_1)
	v_lshrrev_b16 v100, 8, v100
	v_or_b32_e32 v100, v101, v100
	s_delay_alu instid0(VALU_DEP_4) | instskip(SKIP_1) | instid1(VALU_DEP_3)
	v_lshlrev_b16 v101, 8, v99
	v_and_b32_e32 v99, 0xf00, v99
	v_add_nc_u16 v100, 0xf800, v100
	s_delay_alu instid0(VALU_DEP_3) | instskip(NEXT) | instid1(VALU_DEP_1)
	v_add_nc_u16 v101, 0xf800, v101
	v_lshrrev_b16 v101, 8, v101
	s_delay_alu instid0(VALU_DEP_1) | instskip(NEXT) | instid1(VALU_DEP_4)
	v_or_b32_e32 v99, v99, v101
	v_lshrrev_b32_e32 v101, 8, v100
	v_bfe_i32 v100, v100, 0, 8
	s_delay_alu instid0(VALU_DEP_3) | instskip(NEXT) | instid1(VALU_DEP_3)
	v_add_nc_u16 v99, 0xf800, v99
	v_bfe_i32 v101, v101, 0, 8
	s_delay_alu instid0(VALU_DEP_3) | instskip(NEXT) | instid1(VALU_DEP_2)
	v_cvt_f16_i16_e32 v100, v100
	v_cvt_f16_i16_e32 v101, v101
	s_delay_alu instid0(VALU_DEP_1) | instskip(SKIP_2) | instid1(VALU_DEP_3)
	v_pack_b32_f16 v100, v100, v101
	v_lshrrev_b32_e32 v101, 8, v99
	v_bfe_i32 v99, v99, 0, 8
	v_pk_mul_f16 v100, v100, v18
	s_delay_alu instid0(VALU_DEP_3) | instskip(NEXT) | instid1(VALU_DEP_3)
	v_bfe_i32 v101, v101, 0, 8
	v_cvt_f16_i16_e32 v99, v99
	s_delay_alu instid0(VALU_DEP_3) | instskip(NEXT) | instid1(VALU_DEP_3)
	v_pk_fma_f16 v94, v100, v98, v94
	v_cvt_f16_i16_e32 v101, v101
	s_delay_alu instid0(VALU_DEP_1) | instskip(SKIP_1) | instid1(VALU_DEP_2)
	v_pack_b32_f16 v99, v99, v101
	v_mov_b32_e32 v101, v108
	v_pk_mul_f16 v18, v99, v18
	s_delay_alu instid0(VALU_DEP_1)
	v_pk_fma_f16 v92, v18, v98, v92
	v_add_co_u32 v18, vcc_lo, v235, s6
	s_wait_alu 0xfffd
	v_add_co_ci_u32_e64 v19, null, 0, v236, vcc_lo
	global_load_b32 v96, v[18:19], off
	v_add_co_u32 v18, vcc_lo, v238, s6
	s_wait_alu 0xfffd
	v_add_co_ci_u32_e64 v19, null, 0, v239, vcc_lo
	v_dual_mov_b32 v239, v238 :: v_dual_mov_b32 v238, v234
	global_load_u16 v98, v[18:19], off
	v_add_co_u32 v18, vcc_lo, v230, s6
	s_wait_alu 0xfffd
	v_add_co_ci_u32_e64 v19, null, 0, v231, vcc_lo
	global_load_b32 v99, v[18:19], off
	v_add_co_u32 v18, vcc_lo, v221, s6
	s_wait_alu 0xfffd
	v_add_co_ci_u32_e64 v19, null, 0, v234, vcc_lo
	v_dual_mov_b32 v234, v231 :: v_dual_mov_b32 v231, v217
	global_load_u16 v18, v[18:19], off
	s_wait_loadcnt 0x3
	v_ashrrev_i32_e32 v19, v89, v96
	s_delay_alu instid0(VALU_DEP_1) | instskip(SKIP_2) | instid1(VALU_DEP_2)
	v_and_b32_e32 v19, 0xf0f0f0f, v19
	s_wait_loadcnt 0x2
	v_mul_u32_u24_e32 v98, 0x10001, v98
	v_lshlrev_b16 v96, 8, v19
	v_and_b32_e32 v100, 0xf00, v19
	v_lshrrev_b32_e32 v19, 16, v19
	s_delay_alu instid0(VALU_DEP_3) | instskip(NEXT) | instid1(VALU_DEP_1)
	v_add_nc_u16 v96, 0xf800, v96
	v_lshrrev_b16 v96, 8, v96
	s_wait_loadcnt 0x0
	v_mul_u32_u24_e32 v18, 0x10001, v18
	s_delay_alu instid0(VALU_DEP_2) | instskip(SKIP_2) | instid1(VALU_DEP_3)
	v_or_b32_e32 v96, v100, v96
	v_lshlrev_b16 v100, 8, v19
	v_and_b32_e32 v19, 0xf00, v19
	v_add_nc_u16 v96, 0xf800, v96
	s_delay_alu instid0(VALU_DEP_3) | instskip(NEXT) | instid1(VALU_DEP_1)
	v_add_nc_u16 v100, 0xf800, v100
	v_lshrrev_b16 v100, 8, v100
	s_delay_alu instid0(VALU_DEP_1) | instskip(NEXT) | instid1(VALU_DEP_4)
	v_or_b32_e32 v19, v19, v100
	v_lshrrev_b32_e32 v100, 8, v96
	v_bfe_i32 v96, v96, 0, 8
	s_delay_alu instid0(VALU_DEP_3) | instskip(NEXT) | instid1(VALU_DEP_3)
	v_add_nc_u16 v19, 0xf800, v19
	v_bfe_i32 v100, v100, 0, 8
	s_delay_alu instid0(VALU_DEP_3) | instskip(NEXT) | instid1(VALU_DEP_2)
	v_cvt_f16_i16_e32 v96, v96
	v_cvt_f16_i16_e32 v100, v100
	s_delay_alu instid0(VALU_DEP_1) | instskip(SKIP_2) | instid1(VALU_DEP_3)
	v_pack_b32_f16 v96, v96, v100
	v_lshrrev_b32_e32 v100, 8, v19
	v_bfe_i32 v19, v19, 0, 8
	v_pk_mul_f16 v96, v96, v98
	s_delay_alu instid0(VALU_DEP_3) | instskip(NEXT) | instid1(VALU_DEP_3)
	v_bfe_i32 v100, v100, 0, 8
	v_cvt_f16_i16_e32 v19, v19
	s_delay_alu instid0(VALU_DEP_3) | instskip(NEXT) | instid1(VALU_DEP_3)
	v_pk_fma_f16 v91, v96, v97, v91
	v_cvt_f16_i16_e32 v100, v100
	s_delay_alu instid0(VALU_DEP_1) | instskip(NEXT) | instid1(VALU_DEP_1)
	v_pack_b32_f16 v19, v19, v100
	v_pk_mul_f16 v19, v19, v98
	v_ashrrev_i32_e32 v98, v89, v99
	s_delay_alu instid0(VALU_DEP_2) | instskip(NEXT) | instid1(VALU_DEP_2)
	v_pk_fma_f16 v23, v19, v97, v23
	v_and_b32_e32 v98, 0xf0f0f0f, v98
	s_delay_alu instid0(VALU_DEP_1) | instskip(SKIP_2) | instid1(VALU_DEP_3)
	v_lshlrev_b16 v99, 8, v98
	v_and_b32_e32 v100, 0xf00, v98
	v_lshrrev_b32_e32 v98, 16, v98
	v_add_nc_u16 v99, 0xf800, v99
	s_delay_alu instid0(VALU_DEP_1) | instskip(NEXT) | instid1(VALU_DEP_1)
	v_lshrrev_b16 v99, 8, v99
	v_or_b32_e32 v99, v100, v99
	s_delay_alu instid0(VALU_DEP_4) | instskip(SKIP_1) | instid1(VALU_DEP_3)
	v_lshlrev_b16 v100, 8, v98
	v_and_b32_e32 v98, 0xf00, v98
	v_add_nc_u16 v99, 0xf800, v99
	s_delay_alu instid0(VALU_DEP_3) | instskip(NEXT) | instid1(VALU_DEP_1)
	v_add_nc_u16 v100, 0xf800, v100
	v_lshrrev_b16 v100, 8, v100
	s_delay_alu instid0(VALU_DEP_1) | instskip(NEXT) | instid1(VALU_DEP_4)
	v_or_b32_e32 v98, v98, v100
	v_lshrrev_b32_e32 v100, 8, v99
	v_bfe_i32 v99, v99, 0, 8
	s_delay_alu instid0(VALU_DEP_3) | instskip(NEXT) | instid1(VALU_DEP_3)
	v_add_nc_u16 v98, 0xf800, v98
	v_bfe_i32 v100, v100, 0, 8
	s_delay_alu instid0(VALU_DEP_3) | instskip(NEXT) | instid1(VALU_DEP_2)
	v_cvt_f16_i16_e32 v99, v99
	v_cvt_f16_i16_e32 v100, v100
	s_delay_alu instid0(VALU_DEP_1) | instskip(SKIP_2) | instid1(VALU_DEP_3)
	v_pack_b32_f16 v99, v99, v100
	v_lshrrev_b32_e32 v100, 8, v98
	v_bfe_i32 v98, v98, 0, 8
	v_pk_mul_f16 v99, v99, v18
	s_delay_alu instid0(VALU_DEP_3) | instskip(NEXT) | instid1(VALU_DEP_3)
	v_bfe_i32 v100, v100, 0, 8
	v_cvt_f16_i16_e32 v98, v98
	s_delay_alu instid0(VALU_DEP_3) | instskip(NEXT) | instid1(VALU_DEP_3)
	v_pk_fma_f16 v94, v99, v97, v94
	v_cvt_f16_i16_e32 v100, v100
	s_delay_alu instid0(VALU_DEP_1) | instskip(NEXT) | instid1(VALU_DEP_1)
	v_pack_b32_f16 v98, v98, v100
	v_pk_mul_f16 v18, v98, v18
	s_delay_alu instid0(VALU_DEP_1)
	v_pk_fma_f16 v92, v18, v97, v92
	v_add_co_u32 v18, vcc_lo, v227, s6
	s_wait_alu 0xfffd
	v_add_co_ci_u32_e64 v19, null, 0, v228, vcc_lo
	v_mov_b32_e32 v227, v211
	global_load_b32 v96, v[18:19], off
	v_add_co_u32 v18, vcc_lo, v217, s6
	s_wait_alu 0xfffd
	v_add_co_ci_u32_e64 v19, null, 0, v216, vcc_lo
	v_dual_mov_b32 v216, v203 :: v_dual_mov_b32 v217, v213
	global_load_u16 v97, v[18:19], off
	v_add_co_u32 v18, vcc_lo, v224, s6
	s_wait_alu 0xfffd
	v_add_co_ci_u32_e64 v19, null, 0, v225, vcc_lo
	global_load_b32 v98, v[18:19], off
	v_add_co_u32 v18, vcc_lo, v211, s6
	s_wait_alu 0xfffd
	v_add_co_ci_u32_e64 v19, null, 0, v226, vcc_lo
	v_mov_b32_e32 v211, v209
	global_load_u16 v18, v[18:19], off
	s_wait_loadcnt 0x3
	v_ashrrev_i32_e32 v19, v89, v96
	s_delay_alu instid0(VALU_DEP_1) | instskip(SKIP_2) | instid1(VALU_DEP_2)
	v_and_b32_e32 v19, 0xf0f0f0f, v19
	s_wait_loadcnt 0x2
	v_mul_u32_u24_e32 v97, 0x10001, v97
	v_lshlrev_b16 v96, 8, v19
	v_and_b32_e32 v99, 0xf00, v19
	v_lshrrev_b32_e32 v19, 16, v19
	s_delay_alu instid0(VALU_DEP_3) | instskip(NEXT) | instid1(VALU_DEP_1)
	v_add_nc_u16 v96, 0xf800, v96
	v_lshrrev_b16 v96, 8, v96
	s_wait_loadcnt 0x0
	v_mul_u32_u24_e32 v18, 0x10001, v18
	s_delay_alu instid0(VALU_DEP_2) | instskip(SKIP_2) | instid1(VALU_DEP_3)
	v_or_b32_e32 v96, v99, v96
	v_lshlrev_b16 v99, 8, v19
	v_and_b32_e32 v19, 0xf00, v19
	v_add_nc_u16 v96, 0xf800, v96
	s_delay_alu instid0(VALU_DEP_3) | instskip(NEXT) | instid1(VALU_DEP_1)
	v_add_nc_u16 v99, 0xf800, v99
	v_lshrrev_b16 v99, 8, v99
	s_delay_alu instid0(VALU_DEP_1) | instskip(NEXT) | instid1(VALU_DEP_4)
	v_or_b32_e32 v19, v19, v99
	v_lshrrev_b32_e32 v99, 8, v96
	v_bfe_i32 v96, v96, 0, 8
	s_delay_alu instid0(VALU_DEP_3) | instskip(NEXT) | instid1(VALU_DEP_3)
	v_add_nc_u16 v19, 0xf800, v19
	v_bfe_i32 v99, v99, 0, 8
	s_delay_alu instid0(VALU_DEP_3) | instskip(NEXT) | instid1(VALU_DEP_2)
	v_cvt_f16_i16_e32 v96, v96
	v_cvt_f16_i16_e32 v99, v99
	s_delay_alu instid0(VALU_DEP_1) | instskip(SKIP_2) | instid1(VALU_DEP_3)
	v_pack_b32_f16 v96, v96, v99
	v_lshrrev_b32_e32 v99, 8, v19
	v_bfe_i32 v19, v19, 0, 8
	v_pk_mul_f16 v96, v96, v97
	s_delay_alu instid0(VALU_DEP_3) | instskip(NEXT) | instid1(VALU_DEP_3)
	v_bfe_i32 v99, v99, 0, 8
	v_cvt_f16_i16_e32 v19, v19
	s_delay_alu instid0(VALU_DEP_3) | instskip(NEXT) | instid1(VALU_DEP_3)
	v_pk_fma_f16 v91, v96, v95, v91
	v_cvt_f16_i16_e32 v99, v99
	s_delay_alu instid0(VALU_DEP_1) | instskip(NEXT) | instid1(VALU_DEP_1)
	v_pack_b32_f16 v19, v19, v99
	v_pk_mul_f16 v19, v19, v97
	v_ashrrev_i32_e32 v97, v89, v98
	s_delay_alu instid0(VALU_DEP_2) | instskip(NEXT) | instid1(VALU_DEP_2)
	v_pk_fma_f16 v23, v19, v95, v23
	v_and_b32_e32 v97, 0xf0f0f0f, v97
	s_delay_alu instid0(VALU_DEP_1) | instskip(SKIP_2) | instid1(VALU_DEP_3)
	v_lshlrev_b16 v98, 8, v97
	v_and_b32_e32 v99, 0xf00, v97
	v_lshrrev_b32_e32 v97, 16, v97
	v_add_nc_u16 v98, 0xf800, v98
	s_delay_alu instid0(VALU_DEP_1) | instskip(NEXT) | instid1(VALU_DEP_1)
	v_lshrrev_b16 v98, 8, v98
	v_or_b32_e32 v98, v99, v98
	s_delay_alu instid0(VALU_DEP_4) | instskip(SKIP_1) | instid1(VALU_DEP_3)
	v_lshlrev_b16 v99, 8, v97
	v_and_b32_e32 v97, 0xf00, v97
	v_add_nc_u16 v98, 0xf800, v98
	s_delay_alu instid0(VALU_DEP_3) | instskip(NEXT) | instid1(VALU_DEP_1)
	v_add_nc_u16 v99, 0xf800, v99
	v_lshrrev_b16 v99, 8, v99
	s_delay_alu instid0(VALU_DEP_1) | instskip(NEXT) | instid1(VALU_DEP_4)
	v_or_b32_e32 v97, v97, v99
	v_lshrrev_b32_e32 v99, 8, v98
	v_bfe_i32 v98, v98, 0, 8
	s_delay_alu instid0(VALU_DEP_3) | instskip(NEXT) | instid1(VALU_DEP_3)
	v_add_nc_u16 v97, 0xf800, v97
	v_bfe_i32 v99, v99, 0, 8
	s_delay_alu instid0(VALU_DEP_3) | instskip(NEXT) | instid1(VALU_DEP_2)
	v_cvt_f16_i16_e32 v98, v98
	v_cvt_f16_i16_e32 v99, v99
	s_delay_alu instid0(VALU_DEP_1) | instskip(SKIP_2) | instid1(VALU_DEP_3)
	v_pack_b32_f16 v98, v98, v99
	v_lshrrev_b32_e32 v99, 8, v97
	v_bfe_i32 v97, v97, 0, 8
	v_pk_mul_f16 v98, v98, v18
	s_delay_alu instid0(VALU_DEP_3) | instskip(NEXT) | instid1(VALU_DEP_3)
	v_bfe_i32 v99, v99, 0, 8
	v_cvt_f16_i16_e32 v97, v97
	s_delay_alu instid0(VALU_DEP_3) | instskip(NEXT) | instid1(VALU_DEP_3)
	v_pk_fma_f16 v94, v98, v95, v94
	v_cvt_f16_i16_e32 v99, v99
	s_delay_alu instid0(VALU_DEP_1) | instskip(SKIP_3) | instid1(VALU_DEP_4)
	v_pack_b32_f16 v97, v97, v99
	v_dual_mov_b32 v99, v90 :: v_dual_mov_b32 v90, v11
	v_mov_b32_e32 v11, v83
	v_mov_b32_e32 v83, v77
	v_pk_mul_f16 v18, v97, v18
	v_mov_b32_e32 v77, v8
	s_delay_alu instid0(VALU_DEP_2)
	v_pk_fma_f16 v92, v18, v95, v92
	v_add_co_u32 v18, vcc_lo, v220, s6
	s_wait_alu 0xfffd
	v_add_co_ci_u32_e64 v19, null, 0, v210, vcc_lo
	global_load_b32 v95, v[18:19], off
	v_add_co_u32 v18, vcc_lo, v222, s6
	s_wait_alu 0xfffd
	v_add_co_ci_u32_e64 v19, null, 0, v223, vcc_lo
	global_load_u16 v96, v[18:19], off
	v_add_co_u32 v18, vcc_lo, v214, s6
	s_wait_alu 0xfffd
	v_add_co_ci_u32_e64 v19, null, 0, v215, vcc_lo
	global_load_b32 v97, v[18:19], off
	v_add_co_u32 v18, vcc_lo, v218, s6
	s_wait_alu 0xfffd
	v_add_co_ci_u32_e64 v19, null, 0, v219, vcc_lo
	global_load_u16 v18, v[18:19], off
	s_wait_loadcnt 0x3
	v_ashrrev_i32_e32 v19, v89, v95
	s_delay_alu instid0(VALU_DEP_1) | instskip(SKIP_2) | instid1(VALU_DEP_2)
	v_and_b32_e32 v19, 0xf0f0f0f, v19
	s_wait_loadcnt 0x2
	v_mul_u32_u24_e32 v96, 0x10001, v96
	v_lshlrev_b16 v95, 8, v19
	v_and_b32_e32 v98, 0xf00, v19
	v_lshrrev_b32_e32 v19, 16, v19
	s_delay_alu instid0(VALU_DEP_3) | instskip(NEXT) | instid1(VALU_DEP_1)
	v_add_nc_u16 v95, 0xf800, v95
	v_lshrrev_b16 v95, 8, v95
	s_wait_loadcnt 0x0
	v_mul_u32_u24_e32 v18, 0x10001, v18
	s_delay_alu instid0(VALU_DEP_2) | instskip(SKIP_2) | instid1(VALU_DEP_3)
	v_or_b32_e32 v95, v98, v95
	v_lshlrev_b16 v98, 8, v19
	v_and_b32_e32 v19, 0xf00, v19
	v_add_nc_u16 v95, 0xf800, v95
	s_delay_alu instid0(VALU_DEP_3) | instskip(NEXT) | instid1(VALU_DEP_1)
	v_add_nc_u16 v98, 0xf800, v98
	v_lshrrev_b16 v98, 8, v98
	s_delay_alu instid0(VALU_DEP_1) | instskip(NEXT) | instid1(VALU_DEP_4)
	v_or_b32_e32 v19, v19, v98
	v_lshrrev_b32_e32 v98, 8, v95
	v_bfe_i32 v95, v95, 0, 8
	s_delay_alu instid0(VALU_DEP_3) | instskip(NEXT) | instid1(VALU_DEP_3)
	v_add_nc_u16 v19, 0xf800, v19
	v_bfe_i32 v98, v98, 0, 8
	s_delay_alu instid0(VALU_DEP_3) | instskip(NEXT) | instid1(VALU_DEP_2)
	v_cvt_f16_i16_e32 v95, v95
	v_cvt_f16_i16_e32 v98, v98
	s_delay_alu instid0(VALU_DEP_1) | instskip(SKIP_2) | instid1(VALU_DEP_3)
	v_pack_b32_f16 v95, v95, v98
	v_lshrrev_b32_e32 v98, 8, v19
	v_bfe_i32 v19, v19, 0, 8
	v_pk_mul_f16 v95, v95, v96
	s_delay_alu instid0(VALU_DEP_3) | instskip(NEXT) | instid1(VALU_DEP_3)
	v_bfe_i32 v98, v98, 0, 8
	v_cvt_f16_i16_e32 v19, v19
	s_delay_alu instid0(VALU_DEP_3) | instskip(NEXT) | instid1(VALU_DEP_3)
	v_pk_fma_f16 v91, v95, v93, v91
	v_cvt_f16_i16_e32 v98, v98
	s_delay_alu instid0(VALU_DEP_1) | instskip(NEXT) | instid1(VALU_DEP_1)
	v_pack_b32_f16 v19, v19, v98
	v_pk_mul_f16 v19, v19, v96
	v_ashrrev_i32_e32 v96, v89, v97
	s_delay_alu instid0(VALU_DEP_2) | instskip(NEXT) | instid1(VALU_DEP_2)
	v_pk_fma_f16 v23, v19, v93, v23
	v_and_b32_e32 v96, 0xf0f0f0f, v96
	s_delay_alu instid0(VALU_DEP_1) | instskip(SKIP_2) | instid1(VALU_DEP_3)
	v_lshlrev_b16 v97, 8, v96
	v_and_b32_e32 v98, 0xf00, v96
	v_lshrrev_b32_e32 v96, 16, v96
	v_add_nc_u16 v97, 0xf800, v97
	s_delay_alu instid0(VALU_DEP_1) | instskip(NEXT) | instid1(VALU_DEP_1)
	v_lshrrev_b16 v97, 8, v97
	v_or_b32_e32 v97, v98, v97
	s_delay_alu instid0(VALU_DEP_4) | instskip(SKIP_1) | instid1(VALU_DEP_3)
	v_lshlrev_b16 v98, 8, v96
	v_and_b32_e32 v96, 0xf00, v96
	v_add_nc_u16 v97, 0xf800, v97
	s_delay_alu instid0(VALU_DEP_3) | instskip(NEXT) | instid1(VALU_DEP_1)
	v_add_nc_u16 v98, 0xf800, v98
	v_lshrrev_b16 v98, 8, v98
	s_delay_alu instid0(VALU_DEP_1) | instskip(NEXT) | instid1(VALU_DEP_4)
	v_or_b32_e32 v96, v96, v98
	v_lshrrev_b32_e32 v98, 8, v97
	v_bfe_i32 v97, v97, 0, 8
	s_delay_alu instid0(VALU_DEP_3) | instskip(NEXT) | instid1(VALU_DEP_3)
	v_add_nc_u16 v96, 0xf800, v96
	v_bfe_i32 v98, v98, 0, 8
	s_delay_alu instid0(VALU_DEP_3) | instskip(NEXT) | instid1(VALU_DEP_2)
	v_cvt_f16_i16_e32 v97, v97
	v_cvt_f16_i16_e32 v98, v98
	s_delay_alu instid0(VALU_DEP_1) | instskip(SKIP_2) | instid1(VALU_DEP_3)
	v_pack_b32_f16 v97, v97, v98
	v_lshrrev_b32_e32 v98, 8, v96
	v_bfe_i32 v96, v96, 0, 8
	v_pk_mul_f16 v97, v97, v18
	s_delay_alu instid0(VALU_DEP_3) | instskip(NEXT) | instid1(VALU_DEP_3)
	v_bfe_i32 v98, v98, 0, 8
	v_cvt_f16_i16_e32 v96, v96
	s_delay_alu instid0(VALU_DEP_3) | instskip(NEXT) | instid1(VALU_DEP_3)
	v_pk_fma_f16 v94, v97, v93, v94
	v_cvt_f16_i16_e32 v98, v98
	s_delay_alu instid0(VALU_DEP_1) | instskip(NEXT) | instid1(VALU_DEP_1)
	v_pack_b32_f16 v96, v96, v98
	v_pk_mul_f16 v18, v96, v18
	s_delay_alu instid0(VALU_DEP_1)
	v_pk_fma_f16 v92, v18, v93, v92
	v_add_co_u32 v18, vcc_lo, v212, s6
	s_wait_alu 0xfffd
	v_add_co_ci_u32_e64 v19, null, 0, v213, vcc_lo
	v_dual_mov_b32 v213, v212 :: v_dual_mov_b32 v212, v207
	global_load_b32 v93, v[18:19], off
	v_add_co_u32 v18, vcc_lo, v201, s6
	s_wait_alu 0xfffd
	v_add_co_ci_u32_e64 v19, null, 0, v205, vcc_lo
	global_load_u16 v95, v[18:19], off
	v_add_co_u32 v18, vcc_lo, v206, s6
	s_wait_alu 0xfffd
	v_add_co_ci_u32_e64 v19, null, 0, v208, vcc_lo
	global_load_b32 v96, v[18:19], off
	v_add_co_u32 v18, vcc_lo, v209, s6
	s_wait_alu 0xfffd
	v_add_co_ci_u32_e64 v19, null, 0, v207, vcc_lo
	v_dual_mov_b32 v209, v206 :: v_dual_mov_b32 v206, v202
	v_mov_b32_e32 v202, v198
	global_load_u16 v18, v[18:19], off
	v_dual_mov_b32 v207, v192 :: v_dual_mov_b32 v198, v194
	s_wait_loadcnt 0x3
	v_ashrrev_i32_e32 v19, v89, v93
	s_delay_alu instid0(VALU_DEP_1) | instskip(SKIP_2) | instid1(VALU_DEP_2)
	v_and_b32_e32 v19, 0xf0f0f0f, v19
	s_wait_loadcnt 0x2
	v_mul_u32_u24_e32 v95, 0x10001, v95
	v_lshlrev_b16 v93, 8, v19
	v_and_b32_e32 v97, 0xf00, v19
	v_lshrrev_b32_e32 v19, 16, v19
	s_delay_alu instid0(VALU_DEP_3) | instskip(NEXT) | instid1(VALU_DEP_1)
	v_add_nc_u16 v93, 0xf800, v93
	v_lshrrev_b16 v93, 8, v93
	s_wait_loadcnt 0x0
	v_mul_u32_u24_e32 v18, 0x10001, v18
	s_delay_alu instid0(VALU_DEP_2) | instskip(SKIP_2) | instid1(VALU_DEP_3)
	v_or_b32_e32 v93, v97, v93
	v_lshlrev_b16 v97, 8, v19
	v_and_b32_e32 v19, 0xf00, v19
	v_add_nc_u16 v93, 0xf800, v93
	s_delay_alu instid0(VALU_DEP_3) | instskip(NEXT) | instid1(VALU_DEP_1)
	v_add_nc_u16 v97, 0xf800, v97
	v_lshrrev_b16 v97, 8, v97
	s_delay_alu instid0(VALU_DEP_1) | instskip(NEXT) | instid1(VALU_DEP_4)
	v_or_b32_e32 v19, v19, v97
	v_lshrrev_b32_e32 v97, 8, v93
	v_bfe_i32 v93, v93, 0, 8
	s_delay_alu instid0(VALU_DEP_3) | instskip(NEXT) | instid1(VALU_DEP_3)
	v_add_nc_u16 v19, 0xf800, v19
	v_bfe_i32 v97, v97, 0, 8
	s_delay_alu instid0(VALU_DEP_3) | instskip(NEXT) | instid1(VALU_DEP_2)
	v_cvt_f16_i16_e32 v93, v93
	v_cvt_f16_i16_e32 v97, v97
	s_delay_alu instid0(VALU_DEP_1) | instskip(SKIP_2) | instid1(VALU_DEP_3)
	v_pack_b32_f16 v93, v93, v97
	v_lshrrev_b32_e32 v97, 8, v19
	v_bfe_i32 v19, v19, 0, 8
	v_pk_mul_f16 v93, v93, v95
	s_delay_alu instid0(VALU_DEP_3) | instskip(NEXT) | instid1(VALU_DEP_3)
	v_bfe_i32 v97, v97, 0, 8
	v_cvt_f16_i16_e32 v19, v19
	s_delay_alu instid0(VALU_DEP_3) | instskip(NEXT) | instid1(VALU_DEP_3)
	v_pk_fma_f16 v91, v93, v16, v91
	v_cvt_f16_i16_e32 v97, v97
	s_delay_alu instid0(VALU_DEP_1) | instskip(NEXT) | instid1(VALU_DEP_1)
	v_pack_b32_f16 v19, v19, v97
	v_pk_mul_f16 v19, v19, v95
	v_ashrrev_i32_e32 v95, v89, v96
	s_delay_alu instid0(VALU_DEP_2) | instskip(NEXT) | instid1(VALU_DEP_2)
	v_pk_fma_f16 v23, v19, v16, v23
	v_and_b32_e32 v95, 0xf0f0f0f, v95
	s_delay_alu instid0(VALU_DEP_1) | instskip(SKIP_2) | instid1(VALU_DEP_3)
	v_lshlrev_b16 v96, 8, v95
	v_and_b32_e32 v97, 0xf00, v95
	v_lshrrev_b32_e32 v95, 16, v95
	v_add_nc_u16 v96, 0xf800, v96
	s_delay_alu instid0(VALU_DEP_1) | instskip(NEXT) | instid1(VALU_DEP_1)
	v_lshrrev_b16 v96, 8, v96
	v_or_b32_e32 v96, v97, v96
	s_delay_alu instid0(VALU_DEP_4) | instskip(SKIP_1) | instid1(VALU_DEP_3)
	v_lshlrev_b16 v97, 8, v95
	v_and_b32_e32 v95, 0xf00, v95
	v_add_nc_u16 v96, 0xf800, v96
	s_delay_alu instid0(VALU_DEP_3) | instskip(NEXT) | instid1(VALU_DEP_1)
	v_add_nc_u16 v97, 0xf800, v97
	v_lshrrev_b16 v97, 8, v97
	s_delay_alu instid0(VALU_DEP_1) | instskip(NEXT) | instid1(VALU_DEP_4)
	v_or_b32_e32 v95, v95, v97
	v_lshrrev_b32_e32 v97, 8, v96
	v_bfe_i32 v96, v96, 0, 8
	s_delay_alu instid0(VALU_DEP_3) | instskip(NEXT) | instid1(VALU_DEP_3)
	v_add_nc_u16 v95, 0xf800, v95
	v_bfe_i32 v97, v97, 0, 8
	s_delay_alu instid0(VALU_DEP_3) | instskip(NEXT) | instid1(VALU_DEP_2)
	v_cvt_f16_i16_e32 v96, v96
	v_cvt_f16_i16_e32 v97, v97
	s_delay_alu instid0(VALU_DEP_1) | instskip(SKIP_2) | instid1(VALU_DEP_3)
	v_pack_b32_f16 v96, v96, v97
	v_lshrrev_b32_e32 v97, 8, v95
	v_bfe_i32 v95, v95, 0, 8
	v_pk_mul_f16 v96, v96, v18
	s_delay_alu instid0(VALU_DEP_3) | instskip(NEXT) | instid1(VALU_DEP_3)
	v_bfe_i32 v97, v97, 0, 8
	v_cvt_f16_i16_e32 v95, v95
	s_delay_alu instid0(VALU_DEP_3) | instskip(NEXT) | instid1(VALU_DEP_3)
	v_pk_fma_f16 v93, v96, v16, v94
	v_cvt_f16_i16_e32 v97, v97
	s_delay_alu instid0(VALU_DEP_1) | instskip(NEXT) | instid1(VALU_DEP_1)
	v_pack_b32_f16 v95, v95, v97
	v_pk_mul_f16 v18, v95, v18
	s_delay_alu instid0(VALU_DEP_1)
	v_pk_fma_f16 v16, v18, v16, v92
	v_add_co_u32 v18, vcc_lo, v204, s6
	s_wait_alu 0xfffd
	v_add_co_ci_u32_e64 v19, null, 0, v206, vcc_lo
	global_load_b32 v92, v[18:19], off
	v_add_co_u32 v18, vcc_lo, v192, s6
	s_wait_alu 0xfffd
	v_add_co_ci_u32_e64 v19, null, 0, v193, vcc_lo
	v_mov_b32_e32 v192, v177
	global_load_u16 v94, v[18:19], off
	v_add_co_u32 v18, vcc_lo, v199, s6
	s_wait_alu 0xfffd
	v_add_co_ci_u32_e64 v19, null, 0, v202, vcc_lo
	global_load_b32 v95, v[18:19], off
	v_add_co_u32 v18, vcc_lo, v200, s6
	s_wait_alu 0xfffd
	v_add_co_ci_u32_e64 v19, null, 0, v203, vcc_lo
	v_mov_b32_e32 v203, v185
	global_load_u16 v18, v[18:19], off
	s_wait_loadcnt 0x3
	v_ashrrev_i32_e32 v19, v89, v92
	s_delay_alu instid0(VALU_DEP_1) | instskip(SKIP_2) | instid1(VALU_DEP_2)
	v_and_b32_e32 v19, 0xf0f0f0f, v19
	s_wait_loadcnt 0x2
	v_mul_u32_u24_e32 v94, 0x10001, v94
	v_lshlrev_b16 v92, 8, v19
	v_and_b32_e32 v96, 0xf00, v19
	v_lshrrev_b32_e32 v19, 16, v19
	s_delay_alu instid0(VALU_DEP_3) | instskip(NEXT) | instid1(VALU_DEP_1)
	v_add_nc_u16 v92, 0xf800, v92
	v_lshrrev_b16 v92, 8, v92
	s_wait_loadcnt 0x0
	v_mul_u32_u24_e32 v18, 0x10001, v18
	s_delay_alu instid0(VALU_DEP_2) | instskip(SKIP_2) | instid1(VALU_DEP_3)
	v_or_b32_e32 v92, v96, v92
	v_lshlrev_b16 v96, 8, v19
	v_and_b32_e32 v19, 0xf00, v19
	v_add_nc_u16 v92, 0xf800, v92
	s_delay_alu instid0(VALU_DEP_3) | instskip(NEXT) | instid1(VALU_DEP_1)
	v_add_nc_u16 v96, 0xf800, v96
	v_lshrrev_b16 v96, 8, v96
	s_delay_alu instid0(VALU_DEP_1) | instskip(NEXT) | instid1(VALU_DEP_4)
	v_or_b32_e32 v19, v19, v96
	v_lshrrev_b32_e32 v96, 8, v92
	v_bfe_i32 v92, v92, 0, 8
	s_delay_alu instid0(VALU_DEP_3) | instskip(NEXT) | instid1(VALU_DEP_3)
	v_add_nc_u16 v19, 0xf800, v19
	v_bfe_i32 v96, v96, 0, 8
	s_delay_alu instid0(VALU_DEP_3) | instskip(NEXT) | instid1(VALU_DEP_2)
	v_cvt_f16_i16_e32 v92, v92
	v_cvt_f16_i16_e32 v96, v96
	s_delay_alu instid0(VALU_DEP_1) | instskip(SKIP_2) | instid1(VALU_DEP_3)
	v_pack_b32_f16 v92, v92, v96
	v_lshrrev_b32_e32 v96, 8, v19
	v_bfe_i32 v19, v19, 0, 8
	v_pk_mul_f16 v92, v92, v94
	s_delay_alu instid0(VALU_DEP_3) | instskip(NEXT) | instid1(VALU_DEP_3)
	v_bfe_i32 v96, v96, 0, 8
	v_cvt_f16_i16_e32 v19, v19
	s_delay_alu instid0(VALU_DEP_2) | instskip(NEXT) | instid1(VALU_DEP_1)
	v_cvt_f16_i16_e32 v96, v96
	v_pack_b32_f16 v19, v19, v96
	s_delay_alu instid0(VALU_DEP_1) | instskip(SKIP_1) | instid1(VALU_DEP_1)
	v_pk_mul_f16 v19, v19, v94
	v_ashrrev_i32_e32 v94, v89, v95
	v_and_b32_e32 v94, 0xf0f0f0f, v94
	s_delay_alu instid0(VALU_DEP_1) | instskip(SKIP_2) | instid1(VALU_DEP_3)
	v_lshlrev_b16 v95, 8, v94
	v_and_b32_e32 v96, 0xf00, v94
	v_lshrrev_b32_e32 v94, 16, v94
	v_add_nc_u16 v95, 0xf800, v95
	s_delay_alu instid0(VALU_DEP_1) | instskip(NEXT) | instid1(VALU_DEP_1)
	v_lshrrev_b16 v95, 8, v95
	v_or_b32_e32 v95, v96, v95
	s_delay_alu instid0(VALU_DEP_4) | instskip(SKIP_1) | instid1(VALU_DEP_3)
	v_lshlrev_b16 v96, 8, v94
	v_and_b32_e32 v94, 0xf00, v94
	v_add_nc_u16 v95, 0xf800, v95
	s_delay_alu instid0(VALU_DEP_3) | instskip(NEXT) | instid1(VALU_DEP_1)
	v_add_nc_u16 v96, 0xf800, v96
	v_lshrrev_b16 v96, 8, v96
	s_delay_alu instid0(VALU_DEP_1) | instskip(NEXT) | instid1(VALU_DEP_4)
	v_or_b32_e32 v94, v94, v96
	v_lshrrev_b32_e32 v96, 8, v95
	v_bfe_i32 v95, v95, 0, 8
	s_delay_alu instid0(VALU_DEP_3) | instskip(NEXT) | instid1(VALU_DEP_3)
	v_add_nc_u16 v94, 0xf800, v94
	v_bfe_i32 v96, v96, 0, 8
	s_delay_alu instid0(VALU_DEP_3) | instskip(NEXT) | instid1(VALU_DEP_2)
	v_cvt_f16_i16_e32 v95, v95
	v_cvt_f16_i16_e32 v96, v96
	s_delay_alu instid0(VALU_DEP_1) | instskip(SKIP_2) | instid1(VALU_DEP_3)
	v_pack_b32_f16 v95, v95, v96
	v_lshrrev_b32_e32 v96, 8, v94
	v_bfe_i32 v94, v94, 0, 8
	v_pk_mul_f16 v95, v95, v18
	s_delay_alu instid0(VALU_DEP_3) | instskip(NEXT) | instid1(VALU_DEP_3)
	v_bfe_i32 v96, v96, 0, 8
	v_cvt_f16_i16_e32 v94, v94
	s_delay_alu instid0(VALU_DEP_2) | instskip(NEXT) | instid1(VALU_DEP_1)
	v_cvt_f16_i16_e32 v96, v96
	v_pack_b32_f16 v94, v94, v96
	s_delay_alu instid0(VALU_DEP_1)
	v_pk_mul_f16 v18, v94, v18
	v_mul_u32_u24_e32 v94, 0x10001, v56
	scratch_load_b32 v56, off, off offset:456 th:TH_LOAD_LU ; 4-byte Folded Reload
	v_pk_fma_f16 v16, v18, v94, v16
	v_add_co_u32 v18, vcc_lo, v196, s6
	v_pk_fma_f16 v23, v19, v94, v23
	s_wait_alu 0xfffd
	v_add_co_ci_u32_e64 v19, null, 0, v197, vcc_lo
	v_pk_fma_f16 v91, v92, v94, v91
	v_pk_fma_f16 v92, v95, v94, v93
	global_load_b32 v93, v[18:19], off
	v_add_co_u32 v18, vcc_lo, v184, s6
	s_wait_alu 0xfffd
	v_add_co_ci_u32_e64 v19, null, 0, v185, vcc_lo
	v_mov_b32_e32 v185, v169
	global_load_u16 v94, v[18:19], off
	v_add_co_u32 v18, vcc_lo, v190, s6
	s_wait_alu 0xfffd
	v_add_co_ci_u32_e64 v19, null, 0, v191, vcc_lo
	global_load_b32 v95, v[18:19], off
	v_add_co_u32 v18, vcc_lo, v194, s6
	s_wait_alu 0xfffd
	v_add_co_ci_u32_e64 v19, null, 0, v195, vcc_lo
	v_mov_b32_e32 v194, v176
	global_load_u16 v18, v[18:19], off
	s_wait_loadcnt 0x3
	v_ashrrev_i32_e32 v19, v89, v93
	s_delay_alu instid0(VALU_DEP_1) | instskip(SKIP_2) | instid1(VALU_DEP_2)
	v_and_b32_e32 v19, 0xf0f0f0f, v19
	s_wait_loadcnt 0x2
	v_mul_u32_u24_e32 v94, 0x10001, v94
	v_lshlrev_b16 v93, 8, v19
	v_and_b32_e32 v96, 0xf00, v19
	v_lshrrev_b32_e32 v19, 16, v19
	s_delay_alu instid0(VALU_DEP_3) | instskip(NEXT) | instid1(VALU_DEP_1)
	v_add_nc_u16 v93, 0xf800, v93
	v_lshrrev_b16 v93, 8, v93
	s_wait_loadcnt 0x0
	v_mul_u32_u24_e32 v18, 0x10001, v18
	s_delay_alu instid0(VALU_DEP_2) | instskip(SKIP_2) | instid1(VALU_DEP_3)
	v_or_b32_e32 v93, v96, v93
	v_lshlrev_b16 v96, 8, v19
	v_and_b32_e32 v19, 0xf00, v19
	v_add_nc_u16 v93, 0xf800, v93
	s_delay_alu instid0(VALU_DEP_3) | instskip(NEXT) | instid1(VALU_DEP_1)
	v_add_nc_u16 v96, 0xf800, v96
	v_lshrrev_b16 v96, 8, v96
	s_delay_alu instid0(VALU_DEP_1) | instskip(NEXT) | instid1(VALU_DEP_4)
	v_or_b32_e32 v19, v19, v96
	v_lshrrev_b32_e32 v96, 8, v93
	v_bfe_i32 v93, v93, 0, 8
	s_delay_alu instid0(VALU_DEP_3) | instskip(NEXT) | instid1(VALU_DEP_3)
	v_add_nc_u16 v19, 0xf800, v19
	v_bfe_i32 v96, v96, 0, 8
	s_delay_alu instid0(VALU_DEP_3) | instskip(NEXT) | instid1(VALU_DEP_2)
	v_cvt_f16_i16_e32 v93, v93
	v_cvt_f16_i16_e32 v96, v96
	s_delay_alu instid0(VALU_DEP_1) | instskip(SKIP_2) | instid1(VALU_DEP_3)
	v_pack_b32_f16 v93, v93, v96
	v_lshrrev_b32_e32 v96, 8, v19
	v_bfe_i32 v19, v19, 0, 8
	v_pk_mul_f16 v93, v93, v94
	s_delay_alu instid0(VALU_DEP_3) | instskip(NEXT) | instid1(VALU_DEP_3)
	v_bfe_i32 v96, v96, 0, 8
	v_cvt_f16_i16_e32 v19, v19
	s_delay_alu instid0(VALU_DEP_2) | instskip(NEXT) | instid1(VALU_DEP_1)
	v_cvt_f16_i16_e32 v96, v96
	v_pack_b32_f16 v19, v19, v96
	s_delay_alu instid0(VALU_DEP_1) | instskip(SKIP_1) | instid1(VALU_DEP_1)
	v_pk_mul_f16 v19, v19, v94
	v_ashrrev_i32_e32 v94, v89, v95
	v_and_b32_e32 v94, 0xf0f0f0f, v94
	s_delay_alu instid0(VALU_DEP_1) | instskip(SKIP_2) | instid1(VALU_DEP_3)
	v_lshlrev_b16 v95, 8, v94
	v_and_b32_e32 v96, 0xf00, v94
	v_lshrrev_b32_e32 v94, 16, v94
	v_add_nc_u16 v95, 0xf800, v95
	s_delay_alu instid0(VALU_DEP_1) | instskip(NEXT) | instid1(VALU_DEP_1)
	v_lshrrev_b16 v95, 8, v95
	v_or_b32_e32 v95, v96, v95
	s_delay_alu instid0(VALU_DEP_4) | instskip(SKIP_1) | instid1(VALU_DEP_3)
	v_lshlrev_b16 v96, 8, v94
	v_and_b32_e32 v94, 0xf00, v94
	v_add_nc_u16 v95, 0xf800, v95
	s_delay_alu instid0(VALU_DEP_3) | instskip(NEXT) | instid1(VALU_DEP_1)
	v_add_nc_u16 v96, 0xf800, v96
	v_lshrrev_b16 v96, 8, v96
	s_delay_alu instid0(VALU_DEP_1) | instskip(NEXT) | instid1(VALU_DEP_4)
	v_or_b32_e32 v94, v94, v96
	v_lshrrev_b32_e32 v96, 8, v95
	v_bfe_i32 v95, v95, 0, 8
	s_delay_alu instid0(VALU_DEP_3) | instskip(NEXT) | instid1(VALU_DEP_3)
	v_add_nc_u16 v94, 0xf800, v94
	v_bfe_i32 v96, v96, 0, 8
	s_delay_alu instid0(VALU_DEP_3) | instskip(NEXT) | instid1(VALU_DEP_2)
	v_cvt_f16_i16_e32 v95, v95
	v_cvt_f16_i16_e32 v96, v96
	s_delay_alu instid0(VALU_DEP_1) | instskip(SKIP_2) | instid1(VALU_DEP_3)
	v_pack_b32_f16 v95, v95, v96
	v_lshrrev_b32_e32 v96, 8, v94
	v_bfe_i32 v94, v94, 0, 8
	v_pk_mul_f16 v95, v95, v18
	s_delay_alu instid0(VALU_DEP_3) | instskip(NEXT) | instid1(VALU_DEP_3)
	v_bfe_i32 v96, v96, 0, 8
	v_cvt_f16_i16_e32 v94, v94
	s_delay_alu instid0(VALU_DEP_2) | instskip(NEXT) | instid1(VALU_DEP_1)
	v_cvt_f16_i16_e32 v96, v96
	v_pack_b32_f16 v94, v94, v96
	s_delay_alu instid0(VALU_DEP_1)
	v_pk_mul_f16 v18, v94, v18
	v_mul_u32_u24_e32 v94, 0x10001, v56
	scratch_load_b32 v56, off, off offset:444 th:TH_LOAD_LU ; 4-byte Folded Reload
	v_pk_fma_f16 v16, v18, v94, v16
	v_add_co_u32 v18, vcc_lo, v188, s6
	v_pk_fma_f16 v23, v19, v94, v23
	s_wait_alu 0xfffd
	v_add_co_ci_u32_e64 v19, null, 0, v189, vcc_lo
	v_pk_fma_f16 v91, v93, v94, v91
	v_pk_fma_f16 v92, v95, v94, v92
	global_load_b32 v93, v[18:19], off
	v_add_co_u32 v18, vcc_lo, v176, s6
	s_wait_alu 0xfffd
	v_add_co_ci_u32_e64 v19, null, 0, v177, vcc_lo
	v_dual_mov_b32 v177, v130 :: v_dual_mov_b32 v176, v160
	global_load_u16 v94, v[18:19], off
	v_add_co_u32 v18, vcc_lo, v183, s6
	s_wait_alu 0xfffd
	v_add_co_ci_u32_e64 v19, null, 0, v182, vcc_lo
	global_load_b32 v95, v[18:19], off
	v_add_co_u32 v18, vcc_lo, v186, s6
	s_wait_alu 0xfffd
	v_add_co_ci_u32_e64 v19, null, 0, v187, vcc_lo
	global_load_u16 v18, v[18:19], off
	s_wait_loadcnt 0x3
	v_ashrrev_i32_e32 v19, v89, v93
	s_delay_alu instid0(VALU_DEP_1) | instskip(SKIP_2) | instid1(VALU_DEP_2)
	v_and_b32_e32 v19, 0xf0f0f0f, v19
	s_wait_loadcnt 0x2
	v_mul_u32_u24_e32 v94, 0x10001, v94
	v_lshlrev_b16 v93, 8, v19
	v_and_b32_e32 v96, 0xf00, v19
	v_lshrrev_b32_e32 v19, 16, v19
	s_delay_alu instid0(VALU_DEP_3) | instskip(NEXT) | instid1(VALU_DEP_1)
	v_add_nc_u16 v93, 0xf800, v93
	v_lshrrev_b16 v93, 8, v93
	s_wait_loadcnt 0x0
	v_mul_u32_u24_e32 v18, 0x10001, v18
	s_delay_alu instid0(VALU_DEP_2) | instskip(SKIP_2) | instid1(VALU_DEP_3)
	v_or_b32_e32 v93, v96, v93
	v_lshlrev_b16 v96, 8, v19
	v_and_b32_e32 v19, 0xf00, v19
	v_add_nc_u16 v93, 0xf800, v93
	s_delay_alu instid0(VALU_DEP_3) | instskip(NEXT) | instid1(VALU_DEP_1)
	v_add_nc_u16 v96, 0xf800, v96
	v_lshrrev_b16 v96, 8, v96
	s_delay_alu instid0(VALU_DEP_1) | instskip(NEXT) | instid1(VALU_DEP_4)
	v_or_b32_e32 v19, v19, v96
	v_lshrrev_b32_e32 v96, 8, v93
	v_bfe_i32 v93, v93, 0, 8
	s_delay_alu instid0(VALU_DEP_3) | instskip(NEXT) | instid1(VALU_DEP_3)
	v_add_nc_u16 v19, 0xf800, v19
	v_bfe_i32 v96, v96, 0, 8
	s_delay_alu instid0(VALU_DEP_3) | instskip(NEXT) | instid1(VALU_DEP_2)
	v_cvt_f16_i16_e32 v93, v93
	v_cvt_f16_i16_e32 v96, v96
	s_delay_alu instid0(VALU_DEP_1) | instskip(SKIP_2) | instid1(VALU_DEP_3)
	v_pack_b32_f16 v93, v93, v96
	v_lshrrev_b32_e32 v96, 8, v19
	v_bfe_i32 v19, v19, 0, 8
	v_pk_mul_f16 v93, v93, v94
	s_delay_alu instid0(VALU_DEP_3) | instskip(NEXT) | instid1(VALU_DEP_3)
	v_bfe_i32 v96, v96, 0, 8
	v_cvt_f16_i16_e32 v19, v19
	s_delay_alu instid0(VALU_DEP_2) | instskip(NEXT) | instid1(VALU_DEP_1)
	v_cvt_f16_i16_e32 v96, v96
	v_pack_b32_f16 v19, v19, v96
	s_delay_alu instid0(VALU_DEP_1) | instskip(SKIP_1) | instid1(VALU_DEP_1)
	v_pk_mul_f16 v19, v19, v94
	v_ashrrev_i32_e32 v94, v89, v95
	v_and_b32_e32 v94, 0xf0f0f0f, v94
	s_delay_alu instid0(VALU_DEP_1) | instskip(SKIP_2) | instid1(VALU_DEP_3)
	v_lshlrev_b16 v95, 8, v94
	v_and_b32_e32 v96, 0xf00, v94
	v_lshrrev_b32_e32 v94, 16, v94
	v_add_nc_u16 v95, 0xf800, v95
	s_delay_alu instid0(VALU_DEP_1) | instskip(NEXT) | instid1(VALU_DEP_1)
	v_lshrrev_b16 v95, 8, v95
	v_or_b32_e32 v95, v96, v95
	s_delay_alu instid0(VALU_DEP_4) | instskip(SKIP_1) | instid1(VALU_DEP_3)
	v_lshlrev_b16 v96, 8, v94
	v_and_b32_e32 v94, 0xf00, v94
	v_add_nc_u16 v95, 0xf800, v95
	s_delay_alu instid0(VALU_DEP_3) | instskip(NEXT) | instid1(VALU_DEP_1)
	v_add_nc_u16 v96, 0xf800, v96
	v_lshrrev_b16 v96, 8, v96
	s_delay_alu instid0(VALU_DEP_1) | instskip(NEXT) | instid1(VALU_DEP_4)
	v_or_b32_e32 v94, v94, v96
	v_lshrrev_b32_e32 v96, 8, v95
	v_bfe_i32 v95, v95, 0, 8
	s_delay_alu instid0(VALU_DEP_3) | instskip(NEXT) | instid1(VALU_DEP_3)
	v_add_nc_u16 v94, 0xf800, v94
	v_bfe_i32 v96, v96, 0, 8
	s_delay_alu instid0(VALU_DEP_3) | instskip(NEXT) | instid1(VALU_DEP_2)
	v_cvt_f16_i16_e32 v95, v95
	v_cvt_f16_i16_e32 v96, v96
	s_delay_alu instid0(VALU_DEP_1) | instskip(SKIP_2) | instid1(VALU_DEP_3)
	v_pack_b32_f16 v95, v95, v96
	v_lshrrev_b32_e32 v96, 8, v94
	v_bfe_i32 v94, v94, 0, 8
	v_pk_mul_f16 v95, v95, v18
	s_delay_alu instid0(VALU_DEP_3) | instskip(NEXT) | instid1(VALU_DEP_3)
	v_bfe_i32 v96, v96, 0, 8
	v_cvt_f16_i16_e32 v94, v94
	s_delay_alu instid0(VALU_DEP_2) | instskip(NEXT) | instid1(VALU_DEP_1)
	v_cvt_f16_i16_e32 v96, v96
	v_pack_b32_f16 v94, v94, v96
	s_delay_alu instid0(VALU_DEP_1) | instskip(SKIP_3) | instid1(VALU_DEP_3)
	v_pk_mul_f16 v18, v94, v18
	v_mul_u32_u24_e32 v94, 0x10001, v56
	v_dual_mov_b32 v56, v237 :: v_dual_mov_b32 v237, v235
	v_dual_mov_b32 v235, v184 :: v_dual_mov_b32 v184, v170
	v_pk_fma_f16 v16, v18, v94, v16
	v_add_co_u32 v18, vcc_lo, v180, s6
	v_pk_fma_f16 v23, v19, v94, v23
	s_wait_alu 0xfffd
	v_add_co_ci_u32_e64 v19, null, 0, v181, vcc_lo
	v_pk_fma_f16 v91, v93, v94, v91
	v_pk_fma_f16 v92, v95, v94, v92
	global_load_b32 v93, v[18:19], off
	v_add_co_u32 v18, vcc_lo, v169, s6
	s_wait_alu 0xfffd
	v_add_co_ci_u32_e64 v19, null, 0, v170, vcc_lo
	v_dual_mov_b32 v170, v165 :: v_dual_mov_b32 v165, v162
	v_mov_b32_e32 v162, v159
	global_load_u16 v94, v[18:19], off
	v_add_co_u32 v18, vcc_lo, v175, s6
	s_wait_alu 0xfffd
	v_add_co_ci_u32_e64 v19, null, 0, v174, vcc_lo
	v_mov_b32_e32 v159, v158
	v_dual_mov_b32 v169, v166 :: v_dual_mov_b32 v166, v157
	global_load_b32 v95, v[18:19], off
	v_add_co_u32 v18, vcc_lo, v178, s6
	s_wait_alu 0xfffd
	v_add_co_ci_u32_e64 v19, null, 0, v179, vcc_lo
	v_mov_b32_e32 v157, v155
	global_load_u16 v18, v[18:19], off
	s_wait_loadcnt 0x3
	v_ashrrev_i32_e32 v19, v89, v93
	s_delay_alu instid0(VALU_DEP_1) | instskip(SKIP_2) | instid1(VALU_DEP_2)
	v_and_b32_e32 v19, 0xf0f0f0f, v19
	s_wait_loadcnt 0x2
	v_mul_u32_u24_e32 v94, 0x10001, v94
	v_lshlrev_b16 v93, 8, v19
	v_and_b32_e32 v96, 0xf00, v19
	v_lshrrev_b32_e32 v19, 16, v19
	s_delay_alu instid0(VALU_DEP_3) | instskip(NEXT) | instid1(VALU_DEP_1)
	v_add_nc_u16 v93, 0xf800, v93
	v_lshrrev_b16 v93, 8, v93
	s_wait_loadcnt 0x0
	v_mul_u32_u24_e32 v18, 0x10001, v18
	s_delay_alu instid0(VALU_DEP_2) | instskip(SKIP_2) | instid1(VALU_DEP_3)
	v_or_b32_e32 v93, v96, v93
	v_lshlrev_b16 v96, 8, v19
	v_and_b32_e32 v19, 0xf00, v19
	v_add_nc_u16 v93, 0xf800, v93
	s_delay_alu instid0(VALU_DEP_3) | instskip(NEXT) | instid1(VALU_DEP_1)
	v_add_nc_u16 v96, 0xf800, v96
	v_lshrrev_b16 v96, 8, v96
	s_delay_alu instid0(VALU_DEP_1) | instskip(NEXT) | instid1(VALU_DEP_4)
	v_or_b32_e32 v19, v19, v96
	v_lshrrev_b32_e32 v96, 8, v93
	v_bfe_i32 v93, v93, 0, 8
	s_delay_alu instid0(VALU_DEP_3) | instskip(NEXT) | instid1(VALU_DEP_3)
	v_add_nc_u16 v19, 0xf800, v19
	v_bfe_i32 v96, v96, 0, 8
	s_delay_alu instid0(VALU_DEP_3) | instskip(NEXT) | instid1(VALU_DEP_2)
	v_cvt_f16_i16_e32 v93, v93
	v_cvt_f16_i16_e32 v96, v96
	s_delay_alu instid0(VALU_DEP_1) | instskip(SKIP_2) | instid1(VALU_DEP_3)
	v_pack_b32_f16 v93, v93, v96
	v_lshrrev_b32_e32 v96, 8, v19
	v_bfe_i32 v19, v19, 0, 8
	v_pk_mul_f16 v93, v93, v94
	s_delay_alu instid0(VALU_DEP_3) | instskip(NEXT) | instid1(VALU_DEP_3)
	v_bfe_i32 v96, v96, 0, 8
	v_cvt_f16_i16_e32 v19, v19
	s_delay_alu instid0(VALU_DEP_3) | instskip(NEXT) | instid1(VALU_DEP_3)
	v_pk_fma_f16 v91, v93, v17, v91
	v_cvt_f16_i16_e32 v96, v96
	s_delay_alu instid0(VALU_DEP_1) | instskip(NEXT) | instid1(VALU_DEP_1)
	v_pack_b32_f16 v19, v19, v96
	v_pk_mul_f16 v19, v19, v94
	v_ashrrev_i32_e32 v94, v89, v95
	s_delay_alu instid0(VALU_DEP_2) | instskip(NEXT) | instid1(VALU_DEP_2)
	v_pk_fma_f16 v19, v19, v17, v23
	v_and_b32_e32 v94, 0xf0f0f0f, v94
	s_delay_alu instid0(VALU_DEP_1) | instskip(SKIP_2) | instid1(VALU_DEP_3)
	v_lshlrev_b16 v95, 8, v94
	v_and_b32_e32 v96, 0xf00, v94
	v_lshrrev_b32_e32 v94, 16, v94
	v_add_nc_u16 v95, 0xf800, v95
	s_delay_alu instid0(VALU_DEP_1) | instskip(NEXT) | instid1(VALU_DEP_1)
	v_lshrrev_b16 v95, 8, v95
	v_or_b32_e32 v95, v96, v95
	s_delay_alu instid0(VALU_DEP_4) | instskip(SKIP_1) | instid1(VALU_DEP_3)
	v_lshlrev_b16 v96, 8, v94
	v_and_b32_e32 v94, 0xf00, v94
	v_add_nc_u16 v95, 0xf800, v95
	s_delay_alu instid0(VALU_DEP_3) | instskip(NEXT) | instid1(VALU_DEP_1)
	v_add_nc_u16 v96, 0xf800, v96
	v_lshrrev_b16 v96, 8, v96
	s_delay_alu instid0(VALU_DEP_1) | instskip(NEXT) | instid1(VALU_DEP_4)
	v_or_b32_e32 v94, v94, v96
	v_lshrrev_b32_e32 v96, 8, v95
	v_bfe_i32 v95, v95, 0, 8
	s_delay_alu instid0(VALU_DEP_3) | instskip(NEXT) | instid1(VALU_DEP_3)
	v_add_nc_u16 v94, 0xf800, v94
	v_bfe_i32 v96, v96, 0, 8
	s_delay_alu instid0(VALU_DEP_3) | instskip(NEXT) | instid1(VALU_DEP_2)
	v_cvt_f16_i16_e32 v95, v95
	v_cvt_f16_i16_e32 v96, v96
	s_delay_alu instid0(VALU_DEP_1) | instskip(SKIP_2) | instid1(VALU_DEP_3)
	v_pack_b32_f16 v95, v95, v96
	v_lshrrev_b32_e32 v96, 8, v94
	v_bfe_i32 v94, v94, 0, 8
	v_pk_mul_f16 v95, v95, v18
	s_delay_alu instid0(VALU_DEP_3) | instskip(NEXT) | instid1(VALU_DEP_3)
	v_bfe_i32 v96, v96, 0, 8
	v_cvt_f16_i16_e32 v94, v94
	s_delay_alu instid0(VALU_DEP_3) | instskip(NEXT) | instid1(VALU_DEP_3)
	v_pk_fma_f16 v23, v95, v17, v92
	v_cvt_f16_i16_e32 v96, v96
	s_delay_alu instid0(VALU_DEP_1) | instskip(NEXT) | instid1(VALU_DEP_1)
	v_pack_b32_f16 v94, v94, v96
	v_pk_mul_f16 v18, v94, v18
	s_delay_alu instid0(VALU_DEP_1)
	v_pk_fma_f16 v18, v18, v17, v16
	v_add_co_u32 v16, vcc_lo, v172, s6
	s_wait_alu 0xfffd
	v_add_co_ci_u32_e64 v17, null, 0, v173, vcc_lo
	global_load_b32 v92, v[16:17], off
	v_add_co_u32 v16, vcc_lo, v130, s6
	s_wait_alu 0xfffd
	v_add_co_ci_u32_e64 v17, null, 0, v160, vcc_lo
	v_mov_b32_e32 v130, v152
	v_mov_b32_e32 v152, v137
	global_load_u16 v93, v[16:17], off
	v_add_co_u32 v16, vcc_lo, v169, s6
	s_wait_alu 0xfffd
	v_add_co_ci_u32_e64 v17, null, 0, v170, vcc_lo
	global_load_b32 v94, v[16:17], off
	v_add_co_u32 v16, vcc_lo, v168, s6
	s_wait_alu 0xfffd
	v_add_co_ci_u32_e64 v17, null, 0, v171, vcc_lo
	global_load_u16 v16, v[16:17], off
	s_wait_loadcnt 0x3
	v_ashrrev_i32_e32 v17, v89, v92
	s_delay_alu instid0(VALU_DEP_1) | instskip(SKIP_2) | instid1(VALU_DEP_2)
	v_and_b32_e32 v17, 0xf0f0f0f, v17
	s_wait_loadcnt 0x2
	v_mul_u32_u24_e32 v93, 0x10001, v93
	v_lshlrev_b16 v92, 8, v17
	v_and_b32_e32 v95, 0xf00, v17
	v_lshrrev_b32_e32 v17, 16, v17
	s_delay_alu instid0(VALU_DEP_3) | instskip(NEXT) | instid1(VALU_DEP_1)
	v_add_nc_u16 v92, 0xf800, v92
	v_lshrrev_b16 v92, 8, v92
	s_wait_loadcnt 0x0
	v_mul_u32_u24_e32 v16, 0x10001, v16
	s_delay_alu instid0(VALU_DEP_2) | instskip(SKIP_2) | instid1(VALU_DEP_3)
	v_or_b32_e32 v92, v95, v92
	v_lshlrev_b16 v95, 8, v17
	v_and_b32_e32 v17, 0xf00, v17
	v_add_nc_u16 v92, 0xf800, v92
	s_delay_alu instid0(VALU_DEP_3) | instskip(NEXT) | instid1(VALU_DEP_1)
	v_add_nc_u16 v95, 0xf800, v95
	v_lshrrev_b16 v95, 8, v95
	s_delay_alu instid0(VALU_DEP_1) | instskip(NEXT) | instid1(VALU_DEP_4)
	v_or_b32_e32 v17, v17, v95
	v_lshrrev_b32_e32 v95, 8, v92
	v_bfe_i32 v92, v92, 0, 8
	s_delay_alu instid0(VALU_DEP_3) | instskip(NEXT) | instid1(VALU_DEP_3)
	v_add_nc_u16 v17, 0xf800, v17
	v_bfe_i32 v95, v95, 0, 8
	s_delay_alu instid0(VALU_DEP_3) | instskip(NEXT) | instid1(VALU_DEP_2)
	v_cvt_f16_i16_e32 v92, v92
	v_cvt_f16_i16_e32 v95, v95
	s_delay_alu instid0(VALU_DEP_1) | instskip(SKIP_2) | instid1(VALU_DEP_3)
	v_pack_b32_f16 v92, v92, v95
	v_lshrrev_b32_e32 v95, 8, v17
	v_bfe_i32 v17, v17, 0, 8
	v_pk_mul_f16 v92, v92, v93
	s_delay_alu instid0(VALU_DEP_3) | instskip(NEXT) | instid1(VALU_DEP_3)
	v_bfe_i32 v95, v95, 0, 8
	v_cvt_f16_i16_e32 v17, v17
	s_delay_alu instid0(VALU_DEP_2) | instskip(NEXT) | instid1(VALU_DEP_1)
	v_cvt_f16_i16_e32 v95, v95
	v_pack_b32_f16 v17, v17, v95
	s_delay_alu instid0(VALU_DEP_1) | instskip(SKIP_1) | instid1(VALU_DEP_1)
	v_pk_mul_f16 v17, v17, v93
	v_ashrrev_i32_e32 v93, v89, v94
	v_and_b32_e32 v93, 0xf0f0f0f, v93
	s_delay_alu instid0(VALU_DEP_1) | instskip(SKIP_2) | instid1(VALU_DEP_3)
	v_lshlrev_b16 v94, 8, v93
	v_and_b32_e32 v95, 0xf00, v93
	v_lshrrev_b32_e32 v93, 16, v93
	v_add_nc_u16 v94, 0xf800, v94
	s_delay_alu instid0(VALU_DEP_1) | instskip(NEXT) | instid1(VALU_DEP_1)
	v_lshrrev_b16 v94, 8, v94
	v_or_b32_e32 v94, v95, v94
	s_delay_alu instid0(VALU_DEP_4) | instskip(SKIP_1) | instid1(VALU_DEP_3)
	v_lshlrev_b16 v95, 8, v93
	v_and_b32_e32 v93, 0xf00, v93
	v_add_nc_u16 v94, 0xf800, v94
	s_delay_alu instid0(VALU_DEP_3) | instskip(NEXT) | instid1(VALU_DEP_1)
	v_add_nc_u16 v95, 0xf800, v95
	v_lshrrev_b16 v95, 8, v95
	s_delay_alu instid0(VALU_DEP_1) | instskip(NEXT) | instid1(VALU_DEP_4)
	v_or_b32_e32 v93, v93, v95
	v_lshrrev_b32_e32 v95, 8, v94
	v_bfe_i32 v94, v94, 0, 8
	s_delay_alu instid0(VALU_DEP_3) | instskip(NEXT) | instid1(VALU_DEP_3)
	v_add_nc_u16 v93, 0xf800, v93
	v_bfe_i32 v95, v95, 0, 8
	s_delay_alu instid0(VALU_DEP_3) | instskip(NEXT) | instid1(VALU_DEP_2)
	v_cvt_f16_i16_e32 v94, v94
	v_cvt_f16_i16_e32 v95, v95
	s_delay_alu instid0(VALU_DEP_1) | instskip(SKIP_2) | instid1(VALU_DEP_3)
	v_pack_b32_f16 v94, v94, v95
	v_lshrrev_b32_e32 v95, 8, v93
	v_bfe_i32 v93, v93, 0, 8
	v_pk_mul_f16 v94, v94, v16
	s_delay_alu instid0(VALU_DEP_3) | instskip(NEXT) | instid1(VALU_DEP_3)
	v_bfe_i32 v95, v95, 0, 8
	v_cvt_f16_i16_e32 v93, v93
	s_delay_alu instid0(VALU_DEP_2) | instskip(NEXT) | instid1(VALU_DEP_1)
	v_cvt_f16_i16_e32 v95, v95
	v_pack_b32_f16 v93, v93, v95
	s_delay_alu instid0(VALU_DEP_1) | instskip(SKIP_1) | instid1(VALU_DEP_1)
	v_pk_mul_f16 v16, v93, v16
	v_mul_u32_u24_e32 v93, 0x10001, v88
	v_pk_fma_f16 v18, v16, v93, v18
	v_add_co_u32 v16, vcc_lo, v165, s6
	v_pk_fma_f16 v19, v17, v93, v19
	s_wait_alu 0xfffd
	v_add_co_ci_u32_e64 v17, null, 0, v166, vcc_lo
	v_pk_fma_f16 v91, v92, v93, v91
	v_pk_fma_f16 v23, v94, v93, v23
	global_load_b32 v92, v[16:17], off
	v_add_co_u32 v16, vcc_lo, v164, s6
	s_wait_alu 0xfffd
	v_add_co_ci_u32_e64 v17, null, 0, v167, vcc_lo
	global_load_u16 v93, v[16:17], off
	v_add_co_u32 v16, vcc_lo, v135, s6
	s_wait_alu 0xfffd
	v_add_co_ci_u32_e64 v17, null, 0, v162, vcc_lo
	v_mov_b32_e32 v135, v134
	global_load_b32 v94, v[16:17], off
	v_add_co_u32 v16, vcc_lo, v161, s6
	s_wait_alu 0xfffd
	v_add_co_ci_u32_e64 v17, null, 0, v163, vcc_lo
	global_load_u16 v16, v[16:17], off
	s_wait_loadcnt 0x3
	v_ashrrev_i32_e32 v17, v89, v92
	s_delay_alu instid0(VALU_DEP_1) | instskip(SKIP_2) | instid1(VALU_DEP_2)
	v_and_b32_e32 v17, 0xf0f0f0f, v17
	s_wait_loadcnt 0x2
	v_mul_u32_u24_e32 v93, 0x10001, v93
	v_lshlrev_b16 v92, 8, v17
	v_and_b32_e32 v95, 0xf00, v17
	v_lshrrev_b32_e32 v17, 16, v17
	s_delay_alu instid0(VALU_DEP_3) | instskip(NEXT) | instid1(VALU_DEP_1)
	v_add_nc_u16 v92, 0xf800, v92
	v_lshrrev_b16 v92, 8, v92
	s_wait_loadcnt 0x0
	v_mul_u32_u24_e32 v16, 0x10001, v16
	s_delay_alu instid0(VALU_DEP_2) | instskip(SKIP_2) | instid1(VALU_DEP_3)
	v_or_b32_e32 v92, v95, v92
	v_lshlrev_b16 v95, 8, v17
	v_and_b32_e32 v17, 0xf00, v17
	v_add_nc_u16 v92, 0xf800, v92
	s_delay_alu instid0(VALU_DEP_3) | instskip(NEXT) | instid1(VALU_DEP_1)
	v_add_nc_u16 v95, 0xf800, v95
	v_lshrrev_b16 v95, 8, v95
	s_delay_alu instid0(VALU_DEP_1) | instskip(NEXT) | instid1(VALU_DEP_4)
	v_or_b32_e32 v17, v17, v95
	v_lshrrev_b32_e32 v95, 8, v92
	v_bfe_i32 v92, v92, 0, 8
	s_delay_alu instid0(VALU_DEP_3) | instskip(NEXT) | instid1(VALU_DEP_3)
	v_add_nc_u16 v17, 0xf800, v17
	v_bfe_i32 v95, v95, 0, 8
	s_delay_alu instid0(VALU_DEP_3) | instskip(NEXT) | instid1(VALU_DEP_2)
	v_cvt_f16_i16_e32 v92, v92
	v_cvt_f16_i16_e32 v95, v95
	s_delay_alu instid0(VALU_DEP_1) | instskip(SKIP_2) | instid1(VALU_DEP_3)
	v_pack_b32_f16 v92, v92, v95
	v_lshrrev_b32_e32 v95, 8, v17
	v_bfe_i32 v17, v17, 0, 8
	v_pk_mul_f16 v92, v92, v93
	s_delay_alu instid0(VALU_DEP_3) | instskip(NEXT) | instid1(VALU_DEP_3)
	v_bfe_i32 v95, v95, 0, 8
	v_cvt_f16_i16_e32 v17, v17
	s_delay_alu instid0(VALU_DEP_3) | instskip(NEXT) | instid1(VALU_DEP_3)
	v_pk_fma_f16 v91, v92, v21, v91
	v_cvt_f16_i16_e32 v95, v95
	s_delay_alu instid0(VALU_DEP_1) | instskip(NEXT) | instid1(VALU_DEP_1)
	v_pack_b32_f16 v17, v17, v95
	v_pk_mul_f16 v17, v17, v93
	v_ashrrev_i32_e32 v93, v89, v94
	s_delay_alu instid0(VALU_DEP_2) | instskip(NEXT) | instid1(VALU_DEP_2)
	v_pk_fma_f16 v19, v17, v21, v19
	v_and_b32_e32 v93, 0xf0f0f0f, v93
	s_delay_alu instid0(VALU_DEP_1) | instskip(SKIP_2) | instid1(VALU_DEP_3)
	v_lshlrev_b16 v94, 8, v93
	v_and_b32_e32 v95, 0xf00, v93
	v_lshrrev_b32_e32 v93, 16, v93
	v_add_nc_u16 v94, 0xf800, v94
	s_delay_alu instid0(VALU_DEP_1) | instskip(NEXT) | instid1(VALU_DEP_1)
	v_lshrrev_b16 v94, 8, v94
	v_or_b32_e32 v94, v95, v94
	s_delay_alu instid0(VALU_DEP_4) | instskip(SKIP_1) | instid1(VALU_DEP_3)
	v_lshlrev_b16 v95, 8, v93
	v_and_b32_e32 v93, 0xf00, v93
	v_add_nc_u16 v94, 0xf800, v94
	s_delay_alu instid0(VALU_DEP_3) | instskip(NEXT) | instid1(VALU_DEP_1)
	v_add_nc_u16 v95, 0xf800, v95
	v_lshrrev_b16 v95, 8, v95
	s_delay_alu instid0(VALU_DEP_1) | instskip(NEXT) | instid1(VALU_DEP_4)
	v_or_b32_e32 v93, v93, v95
	v_lshrrev_b32_e32 v95, 8, v94
	v_bfe_i32 v94, v94, 0, 8
	s_delay_alu instid0(VALU_DEP_3) | instskip(NEXT) | instid1(VALU_DEP_3)
	v_add_nc_u16 v93, 0xf800, v93
	v_bfe_i32 v95, v95, 0, 8
	s_delay_alu instid0(VALU_DEP_3) | instskip(NEXT) | instid1(VALU_DEP_2)
	v_cvt_f16_i16_e32 v94, v94
	v_cvt_f16_i16_e32 v95, v95
	s_delay_alu instid0(VALU_DEP_1) | instskip(SKIP_2) | instid1(VALU_DEP_3)
	v_pack_b32_f16 v94, v94, v95
	v_lshrrev_b32_e32 v95, 8, v93
	v_bfe_i32 v93, v93, 0, 8
	v_pk_mul_f16 v94, v94, v16
	s_delay_alu instid0(VALU_DEP_3) | instskip(NEXT) | instid1(VALU_DEP_3)
	v_bfe_i32 v95, v95, 0, 8
	v_cvt_f16_i16_e32 v93, v93
	s_delay_alu instid0(VALU_DEP_3) | instskip(NEXT) | instid1(VALU_DEP_3)
	v_pk_fma_f16 v23, v94, v21, v23
	v_cvt_f16_i16_e32 v95, v95
	s_delay_alu instid0(VALU_DEP_1) | instskip(NEXT) | instid1(VALU_DEP_1)
	v_pack_b32_f16 v93, v93, v95
	v_pk_mul_f16 v16, v93, v16
	s_delay_alu instid0(VALU_DEP_1)
	v_pk_fma_f16 v18, v16, v21, v18
	v_add_co_u32 v16, vcc_lo, v157, s6
	s_wait_alu 0xfffd
	v_add_co_ci_u32_e64 v17, null, 0, v130, vcc_lo
	global_load_b32 v21, v[16:17], off
	v_add_co_u32 v16, vcc_lo, v159, s6
	s_wait_alu 0xfffd
	v_add_co_ci_u32_e64 v17, null, 0, v135, vcc_lo
	global_load_u16 v92, v[16:17], off
	v_add_co_u32 v16, vcc_lo, v111, s6
	s_wait_alu 0xfffd
	v_add_co_ci_u32_e64 v17, null, 0, v154, vcc_lo
	global_load_b32 v93, v[16:17], off
	s_clause 0x4
	scratch_load_b32 v155, off, off offset:324
	scratch_load_b32 v153, off, off offset:312
	scratch_load_b32 v88, off, off offset:436 th:TH_LOAD_LU
	scratch_load_b32 v149, off, off offset:296
	scratch_load_b32 v109, off, off offset:300
	s_wait_loadcnt 0x6
	v_mul_u32_u24_e32 v92, 0x10001, v92
	s_wait_loadcnt 0x4
	v_add_co_u32 v16, vcc_lo, v155, s6
	s_wait_loadcnt 0x3
	s_wait_alu 0xfffd
	v_add_co_ci_u32_e64 v17, null, 0, v153, vcc_lo
	global_load_u16 v16, v[16:17], off
	v_ashrrev_i32_e32 v17, v89, v21
	s_delay_alu instid0(VALU_DEP_1) | instskip(NEXT) | instid1(VALU_DEP_1)
	v_and_b32_e32 v17, 0xf0f0f0f, v17
	v_lshlrev_b16 v21, 8, v17
	v_and_b32_e32 v94, 0xf00, v17
	v_lshrrev_b32_e32 v17, 16, v17
	s_delay_alu instid0(VALU_DEP_3) | instskip(NEXT) | instid1(VALU_DEP_1)
	v_add_nc_u16 v21, 0xf800, v21
	v_lshrrev_b16 v21, 8, v21
	s_delay_alu instid0(VALU_DEP_1) | instskip(NEXT) | instid1(VALU_DEP_4)
	v_or_b32_e32 v21, v94, v21
	v_lshlrev_b16 v94, 8, v17
	v_and_b32_e32 v17, 0xf00, v17
	s_delay_alu instid0(VALU_DEP_3) | instskip(NEXT) | instid1(VALU_DEP_3)
	v_add_nc_u16 v21, 0xf800, v21
	v_add_nc_u16 v94, 0xf800, v94
	s_delay_alu instid0(VALU_DEP_1) | instskip(NEXT) | instid1(VALU_DEP_1)
	v_lshrrev_b16 v94, 8, v94
	v_or_b32_e32 v17, v17, v94
	s_delay_alu instid0(VALU_DEP_4) | instskip(SKIP_1) | instid1(VALU_DEP_3)
	v_lshrrev_b32_e32 v94, 8, v21
	v_bfe_i32 v21, v21, 0, 8
	v_add_nc_u16 v17, 0xf800, v17
	s_delay_alu instid0(VALU_DEP_3) | instskip(NEXT) | instid1(VALU_DEP_3)
	v_bfe_i32 v94, v94, 0, 8
	v_cvt_f16_i16_e32 v21, v21
	s_delay_alu instid0(VALU_DEP_2) | instskip(NEXT) | instid1(VALU_DEP_1)
	v_cvt_f16_i16_e32 v94, v94
	v_pack_b32_f16 v21, v21, v94
	v_lshrrev_b32_e32 v94, 8, v17
	v_bfe_i32 v17, v17, 0, 8
	s_delay_alu instid0(VALU_DEP_3) | instskip(NEXT) | instid1(VALU_DEP_3)
	v_pk_mul_f16 v21, v21, v92
	v_bfe_i32 v94, v94, 0, 8
	s_delay_alu instid0(VALU_DEP_3) | instskip(NEXT) | instid1(VALU_DEP_2)
	v_cvt_f16_i16_e32 v17, v17
	v_cvt_f16_i16_e32 v94, v94
	s_delay_alu instid0(VALU_DEP_1) | instskip(NEXT) | instid1(VALU_DEP_1)
	v_pack_b32_f16 v17, v17, v94
	v_pk_mul_f16 v17, v17, v92
	v_ashrrev_i32_e32 v92, v89, v93
	s_delay_alu instid0(VALU_DEP_1) | instskip(NEXT) | instid1(VALU_DEP_1)
	v_and_b32_e32 v92, 0xf0f0f0f, v92
	v_lshlrev_b16 v93, 8, v92
	v_and_b32_e32 v94, 0xf00, v92
	v_lshrrev_b32_e32 v92, 16, v92
	s_delay_alu instid0(VALU_DEP_3) | instskip(NEXT) | instid1(VALU_DEP_1)
	v_add_nc_u16 v93, 0xf800, v93
	v_lshrrev_b16 v93, 8, v93
	s_delay_alu instid0(VALU_DEP_1) | instskip(NEXT) | instid1(VALU_DEP_4)
	v_or_b32_e32 v93, v94, v93
	v_lshlrev_b16 v94, 8, v92
	v_and_b32_e32 v92, 0xf00, v92
	s_delay_alu instid0(VALU_DEP_3) | instskip(NEXT) | instid1(VALU_DEP_3)
	v_add_nc_u16 v93, 0xf800, v93
	v_add_nc_u16 v94, 0xf800, v94
	s_delay_alu instid0(VALU_DEP_1) | instskip(NEXT) | instid1(VALU_DEP_1)
	v_lshrrev_b16 v94, 8, v94
	v_or_b32_e32 v92, v92, v94
	s_delay_alu instid0(VALU_DEP_4) | instskip(SKIP_1) | instid1(VALU_DEP_3)
	v_lshrrev_b32_e32 v94, 8, v93
	v_bfe_i32 v93, v93, 0, 8
	v_add_nc_u16 v92, 0xf800, v92
	s_delay_alu instid0(VALU_DEP_3) | instskip(NEXT) | instid1(VALU_DEP_3)
	v_bfe_i32 v94, v94, 0, 8
	v_cvt_f16_i16_e32 v93, v93
	s_delay_alu instid0(VALU_DEP_2) | instskip(NEXT) | instid1(VALU_DEP_1)
	v_cvt_f16_i16_e32 v94, v94
	v_pack_b32_f16 v93, v93, v94
	v_lshrrev_b32_e32 v94, 8, v92
	v_bfe_i32 v92, v92, 0, 8
	s_delay_alu instid0(VALU_DEP_2) | instskip(NEXT) | instid1(VALU_DEP_2)
	v_bfe_i32 v94, v94, 0, 8
	v_cvt_f16_i16_e32 v92, v92
	s_delay_alu instid0(VALU_DEP_2) | instskip(NEXT) | instid1(VALU_DEP_1)
	v_cvt_f16_i16_e32 v94, v94
	v_pack_b32_f16 v92, v92, v94
	s_wait_loadcnt 0x0
	v_mul_u32_u24_e32 v16, 0x10001, v16
	s_delay_alu instid0(VALU_DEP_1) | instskip(NEXT) | instid1(VALU_DEP_3)
	v_pk_mul_f16 v93, v93, v16
	v_pk_mul_f16 v16, v92, v16
	v_mul_u32_u24_e32 v92, 0x10001, v88
	v_dual_mov_b32 v88, v81 :: v_dual_mov_b32 v81, v12
	v_mov_b32_e32 v12, v146
	v_mov_b32_e32 v146, v10
	s_delay_alu instid0(VALU_DEP_4)
	v_pk_fma_f16 v18, v16, v92, v18
	v_add_co_u32 v16, vcc_lo, v149, s6
	v_pk_fma_f16 v19, v17, v92, v19
	s_wait_alu 0xfffd
	v_add_co_ci_u32_e64 v17, null, 0, v109, vcc_lo
	v_pk_fma_f16 v21, v21, v92, v91
	global_load_b32 v91, v[16:17], off
	s_clause 0x1
	scratch_load_b32 v151, off, off offset:304
	scratch_load_b32 v110, off, off offset:308
	v_pk_fma_f16 v23, v93, v92, v23
	v_mov_b32_e32 v10, v9
	s_wait_loadcnt 0x1
	v_add_co_u32 v16, vcc_lo, v151, s6
	s_wait_loadcnt 0x0
	s_wait_alu 0xfffd
	v_add_co_ci_u32_e64 v17, null, 0, v110, vcc_lo
	global_load_u16 v92, v[16:17], off
	s_clause 0x1
	scratch_load_b32 v144, off, off offset:280
	scratch_load_b32 v13, off, off offset:284
	s_wait_loadcnt 0x2
	v_mul_u32_u24_e32 v92, 0x10001, v92
	s_wait_loadcnt 0x1
	v_add_co_u32 v16, vcc_lo, v144, s6
	s_wait_loadcnt 0x0
	s_wait_alu 0xfffd
	v_add_co_ci_u32_e64 v17, null, 0, v13, vcc_lo
	global_load_b32 v93, v[16:17], off
	s_clause 0x3
	scratch_load_b32 v147, off, off offset:288
	scratch_load_b32 v108, off, off offset:292
	scratch_load_b32 v140, off, off offset:264
	scratch_load_b32 v8, off, off offset:268
	s_wait_loadcnt 0x3
	v_add_co_u32 v16, vcc_lo, v147, s6
	s_wait_loadcnt 0x2
	s_wait_alu 0xfffd
	v_add_co_ci_u32_e64 v17, null, 0, v108, vcc_lo
	global_load_u16 v16, v[16:17], off
	v_ashrrev_i32_e32 v17, v89, v91
	s_delay_alu instid0(VALU_DEP_1) | instskip(NEXT) | instid1(VALU_DEP_1)
	v_and_b32_e32 v17, 0xf0f0f0f, v17
	v_lshlrev_b16 v91, 8, v17
	v_and_b32_e32 v94, 0xf00, v17
	v_lshrrev_b32_e32 v17, 16, v17
	s_delay_alu instid0(VALU_DEP_3) | instskip(NEXT) | instid1(VALU_DEP_1)
	v_add_nc_u16 v91, 0xf800, v91
	v_lshrrev_b16 v91, 8, v91
	s_delay_alu instid0(VALU_DEP_1) | instskip(NEXT) | instid1(VALU_DEP_4)
	v_or_b32_e32 v91, v94, v91
	v_lshlrev_b16 v94, 8, v17
	v_and_b32_e32 v17, 0xf00, v17
	s_delay_alu instid0(VALU_DEP_3) | instskip(NEXT) | instid1(VALU_DEP_3)
	v_add_nc_u16 v91, 0xf800, v91
	v_add_nc_u16 v94, 0xf800, v94
	s_delay_alu instid0(VALU_DEP_1) | instskip(NEXT) | instid1(VALU_DEP_1)
	v_lshrrev_b16 v94, 8, v94
	v_or_b32_e32 v17, v17, v94
	s_delay_alu instid0(VALU_DEP_4) | instskip(SKIP_1) | instid1(VALU_DEP_3)
	v_lshrrev_b32_e32 v94, 8, v91
	v_bfe_i32 v91, v91, 0, 8
	v_add_nc_u16 v17, 0xf800, v17
	s_delay_alu instid0(VALU_DEP_3) | instskip(NEXT) | instid1(VALU_DEP_3)
	v_bfe_i32 v94, v94, 0, 8
	v_cvt_f16_i16_e32 v91, v91
	s_delay_alu instid0(VALU_DEP_2) | instskip(NEXT) | instid1(VALU_DEP_1)
	v_cvt_f16_i16_e32 v94, v94
	v_pack_b32_f16 v91, v91, v94
	v_lshrrev_b32_e32 v94, 8, v17
	v_bfe_i32 v17, v17, 0, 8
	s_delay_alu instid0(VALU_DEP_3) | instskip(NEXT) | instid1(VALU_DEP_3)
	v_pk_mul_f16 v91, v91, v92
	v_bfe_i32 v94, v94, 0, 8
	s_delay_alu instid0(VALU_DEP_3) | instskip(NEXT) | instid1(VALU_DEP_3)
	v_cvt_f16_i16_e32 v17, v17
	v_pk_fma_f16 v21, v91, v22, v21
	s_delay_alu instid0(VALU_DEP_3) | instskip(NEXT) | instid1(VALU_DEP_1)
	v_cvt_f16_i16_e32 v94, v94
	v_pack_b32_f16 v17, v17, v94
	s_delay_alu instid0(VALU_DEP_1) | instskip(SKIP_1) | instid1(VALU_DEP_2)
	v_pk_mul_f16 v17, v17, v92
	v_ashrrev_i32_e32 v92, v89, v93
	v_pk_fma_f16 v19, v17, v22, v19
	s_delay_alu instid0(VALU_DEP_2) | instskip(NEXT) | instid1(VALU_DEP_1)
	v_and_b32_e32 v92, 0xf0f0f0f, v92
	v_lshlrev_b16 v93, 8, v92
	v_and_b32_e32 v94, 0xf00, v92
	v_lshrrev_b32_e32 v92, 16, v92
	s_delay_alu instid0(VALU_DEP_3) | instskip(NEXT) | instid1(VALU_DEP_1)
	v_add_nc_u16 v93, 0xf800, v93
	v_lshrrev_b16 v93, 8, v93
	s_delay_alu instid0(VALU_DEP_1) | instskip(NEXT) | instid1(VALU_DEP_4)
	v_or_b32_e32 v93, v94, v93
	v_lshlrev_b16 v94, 8, v92
	v_and_b32_e32 v92, 0xf00, v92
	s_delay_alu instid0(VALU_DEP_3) | instskip(NEXT) | instid1(VALU_DEP_3)
	v_add_nc_u16 v93, 0xf800, v93
	v_add_nc_u16 v94, 0xf800, v94
	s_delay_alu instid0(VALU_DEP_1) | instskip(NEXT) | instid1(VALU_DEP_1)
	v_lshrrev_b16 v94, 8, v94
	v_or_b32_e32 v92, v92, v94
	s_delay_alu instid0(VALU_DEP_4) | instskip(SKIP_1) | instid1(VALU_DEP_3)
	v_lshrrev_b32_e32 v94, 8, v93
	v_bfe_i32 v93, v93, 0, 8
	v_add_nc_u16 v92, 0xf800, v92
	s_delay_alu instid0(VALU_DEP_3) | instskip(NEXT) | instid1(VALU_DEP_3)
	v_bfe_i32 v94, v94, 0, 8
	v_cvt_f16_i16_e32 v93, v93
	s_delay_alu instid0(VALU_DEP_2) | instskip(NEXT) | instid1(VALU_DEP_1)
	v_cvt_f16_i16_e32 v94, v94
	v_pack_b32_f16 v93, v93, v94
	v_lshrrev_b32_e32 v94, 8, v92
	v_bfe_i32 v92, v92, 0, 8
	s_delay_alu instid0(VALU_DEP_2) | instskip(NEXT) | instid1(VALU_DEP_2)
	v_bfe_i32 v94, v94, 0, 8
	v_cvt_f16_i16_e32 v92, v92
	s_delay_alu instid0(VALU_DEP_2) | instskip(NEXT) | instid1(VALU_DEP_1)
	v_cvt_f16_i16_e32 v94, v94
	v_pack_b32_f16 v92, v92, v94
	s_wait_loadcnt 0x0
	v_mul_u32_u24_e32 v16, 0x10001, v16
	s_delay_alu instid0(VALU_DEP_1) | instskip(NEXT) | instid1(VALU_DEP_3)
	v_pk_mul_f16 v93, v93, v16
	v_pk_mul_f16 v16, v92, v16
	s_delay_alu instid0(VALU_DEP_2) | instskip(NEXT) | instid1(VALU_DEP_2)
	v_pk_fma_f16 v23, v93, v22, v23
	v_pk_fma_f16 v18, v16, v22, v18
	v_add_co_u32 v16, vcc_lo, v140, s6
	s_wait_alu 0xfffd
	v_add_co_ci_u32_e64 v17, null, 0, v8, vcc_lo
	global_load_b32 v22, v[16:17], off
	s_clause 0x1
	scratch_load_b32 v142, off, off offset:272
	scratch_load_b32 v9, off, off offset:276
	s_wait_loadcnt 0x1
	v_add_co_u32 v16, vcc_lo, v142, s6
	s_wait_loadcnt 0x0
	s_wait_alu 0xfffd
	v_add_co_ci_u32_e64 v17, null, 0, v9, vcc_lo
	global_load_u16 v91, v[16:17], off
	s_clause 0x5
	scratch_load_b32 v138, off, off offset:256
	scratch_load_b32 v160, off, off offset:260
	scratch_load_b32 v97, off, off offset:404 th:TH_LOAD_LU
	scratch_load_b32 v98, off, off offset:408 th:TH_LOAD_LU
	scratch_load_b32 v134, off, off offset:252
	scratch_load_b32 v158, off, off offset:248
	s_wait_loadcnt 0x6
	v_mul_u32_u24_e32 v91, 0x10001, v91
	s_wait_loadcnt 0x5
	v_add_co_u32 v16, vcc_lo, v138, s6
	s_wait_alu 0xfffd
	v_add_co_ci_u32_e64 v17, null, 0, v136, vcc_lo
	global_load_b32 v92, v[16:17], off
	v_add_co_u32 v16, vcc_lo, v137, s6
	s_wait_loadcnt 0x5
	s_wait_alu 0xfffd
	v_add_co_ci_u32_e64 v17, null, 0, v160, vcc_lo
	v_dual_mov_b32 v137, v136 :: v_dual_mov_b32 v136, v133
	global_load_u16 v16, v[16:17], off
	v_ashrrev_i32_e32 v17, v89, v22
	s_delay_alu instid0(VALU_DEP_1) | instskip(NEXT) | instid1(VALU_DEP_1)
	v_and_b32_e32 v17, 0xf0f0f0f, v17
	v_lshlrev_b16 v22, 8, v17
	v_and_b32_e32 v93, 0xf00, v17
	v_lshrrev_b32_e32 v17, 16, v17
	s_delay_alu instid0(VALU_DEP_3) | instskip(NEXT) | instid1(VALU_DEP_1)
	v_add_nc_u16 v22, 0xf800, v22
	v_lshrrev_b16 v22, 8, v22
	s_delay_alu instid0(VALU_DEP_1) | instskip(NEXT) | instid1(VALU_DEP_4)
	v_or_b32_e32 v22, v93, v22
	v_lshlrev_b16 v93, 8, v17
	v_and_b32_e32 v17, 0xf00, v17
	s_delay_alu instid0(VALU_DEP_3) | instskip(NEXT) | instid1(VALU_DEP_3)
	v_add_nc_u16 v22, 0xf800, v22
	v_add_nc_u16 v93, 0xf800, v93
	s_delay_alu instid0(VALU_DEP_1) | instskip(NEXT) | instid1(VALU_DEP_1)
	v_lshrrev_b16 v93, 8, v93
	v_or_b32_e32 v17, v17, v93
	s_delay_alu instid0(VALU_DEP_4) | instskip(SKIP_1) | instid1(VALU_DEP_3)
	v_lshrrev_b32_e32 v93, 8, v22
	v_bfe_i32 v22, v22, 0, 8
	v_add_nc_u16 v17, 0xf800, v17
	s_delay_alu instid0(VALU_DEP_3) | instskip(NEXT) | instid1(VALU_DEP_3)
	v_bfe_i32 v93, v93, 0, 8
	v_cvt_f16_i16_e32 v22, v22
	s_delay_alu instid0(VALU_DEP_2) | instskip(NEXT) | instid1(VALU_DEP_1)
	v_cvt_f16_i16_e32 v93, v93
	v_pack_b32_f16 v22, v22, v93
	v_lshrrev_b32_e32 v93, 8, v17
	v_bfe_i32 v17, v17, 0, 8
	s_delay_alu instid0(VALU_DEP_3) | instskip(NEXT) | instid1(VALU_DEP_3)
	v_pk_mul_f16 v22, v22, v91
	v_bfe_i32 v93, v93, 0, 8
	s_delay_alu instid0(VALU_DEP_3) | instskip(NEXT) | instid1(VALU_DEP_2)
	v_cvt_f16_i16_e32 v17, v17
	v_cvt_f16_i16_e32 v93, v93
	s_delay_alu instid0(VALU_DEP_1) | instskip(NEXT) | instid1(VALU_DEP_1)
	v_pack_b32_f16 v17, v17, v93
	v_pk_mul_f16 v17, v17, v91
	s_wait_loadcnt 0x1
	v_ashrrev_i32_e32 v91, v89, v92
	s_delay_alu instid0(VALU_DEP_1) | instskip(SKIP_2) | instid1(VALU_DEP_2)
	v_and_b32_e32 v91, 0xf0f0f0f, v91
	s_wait_loadcnt 0x0
	v_mul_u32_u24_e32 v16, 0x10001, v16
	v_lshlrev_b16 v92, 8, v91
	v_and_b32_e32 v93, 0xf00, v91
	v_lshrrev_b32_e32 v91, 16, v91
	s_delay_alu instid0(VALU_DEP_3) | instskip(NEXT) | instid1(VALU_DEP_1)
	v_add_nc_u16 v92, 0xf800, v92
	v_lshrrev_b16 v92, 8, v92
	s_delay_alu instid0(VALU_DEP_1) | instskip(NEXT) | instid1(VALU_DEP_4)
	v_or_b32_e32 v92, v93, v92
	v_lshlrev_b16 v93, 8, v91
	v_and_b32_e32 v91, 0xf00, v91
	s_delay_alu instid0(VALU_DEP_3) | instskip(NEXT) | instid1(VALU_DEP_3)
	v_add_nc_u16 v92, 0xf800, v92
	v_add_nc_u16 v93, 0xf800, v93
	s_delay_alu instid0(VALU_DEP_1) | instskip(NEXT) | instid1(VALU_DEP_1)
	v_lshrrev_b16 v93, 8, v93
	v_or_b32_e32 v91, v91, v93
	s_delay_alu instid0(VALU_DEP_4) | instskip(SKIP_1) | instid1(VALU_DEP_3)
	v_lshrrev_b32_e32 v93, 8, v92
	v_bfe_i32 v92, v92, 0, 8
	v_add_nc_u16 v91, 0xf800, v91
	s_delay_alu instid0(VALU_DEP_3) | instskip(NEXT) | instid1(VALU_DEP_3)
	v_bfe_i32 v93, v93, 0, 8
	v_cvt_f16_i16_e32 v92, v92
	s_delay_alu instid0(VALU_DEP_2) | instskip(NEXT) | instid1(VALU_DEP_1)
	v_cvt_f16_i16_e32 v93, v93
	v_pack_b32_f16 v92, v92, v93
	v_lshrrev_b32_e32 v93, 8, v91
	v_bfe_i32 v91, v91, 0, 8
	s_delay_alu instid0(VALU_DEP_3) | instskip(NEXT) | instid1(VALU_DEP_3)
	v_pk_mul_f16 v92, v92, v16
	v_bfe_i32 v93, v93, 0, 8
	s_delay_alu instid0(VALU_DEP_3) | instskip(NEXT) | instid1(VALU_DEP_2)
	v_cvt_f16_i16_e32 v91, v91
	v_cvt_f16_i16_e32 v93, v93
	s_delay_alu instid0(VALU_DEP_1) | instskip(NEXT) | instid1(VALU_DEP_1)
	v_pack_b32_f16 v91, v91, v93
	v_pk_mul_f16 v16, v91, v16
	v_mul_u32_u24_e32 v91, 0x10001, v249
	s_delay_alu instid0(VALU_DEP_1)
	v_pk_fma_f16 v18, v16, v91, v18
	v_add_co_u32 v16, vcc_lo, v131, s6
	v_pk_fma_f16 v19, v17, v91, v19
	s_wait_alu 0xfffd
	v_add_co_ci_u32_e64 v17, null, 0, v132, vcc_lo
	v_pk_fma_f16 v21, v22, v91, v21
	v_pk_fma_f16 v22, v92, v91, v23
	global_load_b32 v23, v[16:17], off
	v_add_co_u32 v16, vcc_lo, v133, s6
	s_wait_alu 0xfffd
	v_add_co_ci_u32_e64 v17, null, 0, v134, vcc_lo
	v_dual_mov_b32 v133, v132 :: v_dual_mov_b32 v132, v131
	v_mov_b32_e32 v131, v128
	global_load_u16 v91, v[16:17], off
	v_add_co_u32 v16, vcc_lo, v126, s6
	s_wait_alu 0xfffd
	v_add_co_ci_u32_e64 v17, null, 0, v127, vcc_lo
	global_load_b32 v92, v[16:17], off
	v_add_co_u32 v16, vcc_lo, v128, s6
	s_wait_alu 0xfffd
	v_add_co_ci_u32_e64 v17, null, 0, v158, vcc_lo
	v_dual_mov_b32 v128, v127 :: v_dual_mov_b32 v127, v126
	global_load_u16 v16, v[16:17], off
	s_wait_loadcnt 0x3
	v_ashrrev_i32_e32 v17, v89, v23
	s_delay_alu instid0(VALU_DEP_1) | instskip(SKIP_2) | instid1(VALU_DEP_2)
	v_and_b32_e32 v17, 0xf0f0f0f, v17
	s_wait_loadcnt 0x2
	v_mul_u32_u24_e32 v91, 0x10001, v91
	v_lshlrev_b16 v23, 8, v17
	v_and_b32_e32 v93, 0xf00, v17
	v_lshrrev_b32_e32 v17, 16, v17
	s_delay_alu instid0(VALU_DEP_3) | instskip(NEXT) | instid1(VALU_DEP_1)
	v_add_nc_u16 v23, 0xf800, v23
	v_lshrrev_b16 v23, 8, v23
	s_wait_loadcnt 0x0
	v_mul_u32_u24_e32 v16, 0x10001, v16
	s_delay_alu instid0(VALU_DEP_2) | instskip(SKIP_2) | instid1(VALU_DEP_3)
	v_or_b32_e32 v23, v93, v23
	v_lshlrev_b16 v93, 8, v17
	v_and_b32_e32 v17, 0xf00, v17
	v_add_nc_u16 v23, 0xf800, v23
	s_delay_alu instid0(VALU_DEP_3) | instskip(NEXT) | instid1(VALU_DEP_1)
	v_add_nc_u16 v93, 0xf800, v93
	v_lshrrev_b16 v93, 8, v93
	s_delay_alu instid0(VALU_DEP_1) | instskip(NEXT) | instid1(VALU_DEP_4)
	v_or_b32_e32 v17, v17, v93
	v_lshrrev_b32_e32 v93, 8, v23
	v_bfe_i32 v23, v23, 0, 8
	s_delay_alu instid0(VALU_DEP_3) | instskip(NEXT) | instid1(VALU_DEP_3)
	v_add_nc_u16 v17, 0xf800, v17
	v_bfe_i32 v93, v93, 0, 8
	s_delay_alu instid0(VALU_DEP_3) | instskip(NEXT) | instid1(VALU_DEP_2)
	v_cvt_f16_i16_e32 v23, v23
	v_cvt_f16_i16_e32 v93, v93
	s_delay_alu instid0(VALU_DEP_1) | instskip(SKIP_2) | instid1(VALU_DEP_3)
	v_pack_b32_f16 v23, v23, v93
	v_lshrrev_b32_e32 v93, 8, v17
	v_bfe_i32 v17, v17, 0, 8
	v_pk_mul_f16 v23, v23, v91
	s_delay_alu instid0(VALU_DEP_3) | instskip(NEXT) | instid1(VALU_DEP_3)
	v_bfe_i32 v93, v93, 0, 8
	v_cvt_f16_i16_e32 v17, v17
	s_delay_alu instid0(VALU_DEP_3) | instskip(NEXT) | instid1(VALU_DEP_3)
	v_pk_fma_f16 v21, v23, v20, v21
	v_cvt_f16_i16_e32 v93, v93
	s_delay_alu instid0(VALU_DEP_1) | instskip(NEXT) | instid1(VALU_DEP_1)
	v_pack_b32_f16 v17, v17, v93
	v_pk_mul_f16 v17, v17, v91
	v_ashrrev_i32_e32 v91, v89, v92
	s_delay_alu instid0(VALU_DEP_2) | instskip(NEXT) | instid1(VALU_DEP_2)
	v_pk_fma_f16 v19, v17, v20, v19
	v_and_b32_e32 v91, 0xf0f0f0f, v91
	s_delay_alu instid0(VALU_DEP_1) | instskip(SKIP_2) | instid1(VALU_DEP_3)
	v_lshlrev_b16 v92, 8, v91
	v_and_b32_e32 v93, 0xf00, v91
	v_lshrrev_b32_e32 v91, 16, v91
	v_add_nc_u16 v92, 0xf800, v92
	s_delay_alu instid0(VALU_DEP_1) | instskip(NEXT) | instid1(VALU_DEP_1)
	v_lshrrev_b16 v92, 8, v92
	v_or_b32_e32 v92, v93, v92
	s_delay_alu instid0(VALU_DEP_4) | instskip(SKIP_1) | instid1(VALU_DEP_3)
	v_lshlrev_b16 v93, 8, v91
	v_and_b32_e32 v91, 0xf00, v91
	v_add_nc_u16 v92, 0xf800, v92
	s_delay_alu instid0(VALU_DEP_3) | instskip(NEXT) | instid1(VALU_DEP_1)
	v_add_nc_u16 v93, 0xf800, v93
	v_lshrrev_b16 v93, 8, v93
	s_delay_alu instid0(VALU_DEP_1) | instskip(NEXT) | instid1(VALU_DEP_4)
	v_or_b32_e32 v91, v91, v93
	v_lshrrev_b32_e32 v93, 8, v92
	v_bfe_i32 v92, v92, 0, 8
	s_delay_alu instid0(VALU_DEP_3) | instskip(NEXT) | instid1(VALU_DEP_3)
	v_add_nc_u16 v91, 0xf800, v91
	v_bfe_i32 v93, v93, 0, 8
	s_delay_alu instid0(VALU_DEP_3) | instskip(NEXT) | instid1(VALU_DEP_2)
	v_cvt_f16_i16_e32 v92, v92
	v_cvt_f16_i16_e32 v93, v93
	s_delay_alu instid0(VALU_DEP_1) | instskip(SKIP_2) | instid1(VALU_DEP_3)
	v_pack_b32_f16 v92, v92, v93
	v_lshrrev_b32_e32 v93, 8, v91
	v_bfe_i32 v91, v91, 0, 8
	v_pk_mul_f16 v92, v92, v16
	s_delay_alu instid0(VALU_DEP_3) | instskip(NEXT) | instid1(VALU_DEP_3)
	v_bfe_i32 v93, v93, 0, 8
	v_cvt_f16_i16_e32 v91, v91
	s_delay_alu instid0(VALU_DEP_3) | instskip(NEXT) | instid1(VALU_DEP_3)
	v_pk_fma_f16 v22, v92, v20, v22
	v_cvt_f16_i16_e32 v93, v93
	s_delay_alu instid0(VALU_DEP_1) | instskip(NEXT) | instid1(VALU_DEP_1)
	v_pack_b32_f16 v91, v91, v93
	v_pk_mul_f16 v16, v91, v16
	s_delay_alu instid0(VALU_DEP_1)
	v_pk_fma_f16 v18, v16, v20, v18
	v_add_co_u32 v16, vcc_lo, v97, s6
	s_wait_alu 0xfffd
	v_add_co_ci_u32_e64 v17, null, 0, v98, vcc_lo
	global_load_b32 v20, v[16:17], off
	s_clause 0x1
	scratch_load_b32 v103, off, off offset:412 th:TH_LOAD_LU
	scratch_load_b32 v126, off, off offset:244
	s_wait_loadcnt 0x1
	v_add_co_u32 v16, vcc_lo, v103, s6
	s_wait_loadcnt 0x0
	s_wait_alu 0xfffd
	v_add_co_ci_u32_e64 v17, null, 0, v126, vcc_lo
	global_load_u16 v23, v[16:17], off
	s_clause 0x1
	scratch_load_b32 v93, off, off offset:388 th:TH_LOAD_LU
	scratch_load_b32 v94, off, off offset:392 th:TH_LOAD_LU
	s_wait_loadcnt 0x2
	v_mul_u32_u24_e32 v23, 0x10001, v23
	s_wait_loadcnt 0x1
	v_add_co_u32 v16, vcc_lo, v93, s6
	s_wait_loadcnt 0x0
	s_wait_alu 0xfffd
	v_add_co_ci_u32_e64 v17, null, 0, v94, vcc_lo
	global_load_b32 v91, v[16:17], off
	s_clause 0x2
	scratch_load_b32 v95, off, off offset:396 th:TH_LOAD_LU
	scratch_load_b32 v96, off, off offset:400 th:TH_LOAD_LU
	;; [unrolled: 1-line block ×3, first 2 shown]
	s_wait_loadcnt 0x2
	v_add_co_u32 v16, vcc_lo, v95, s6
	s_wait_loadcnt 0x1
	s_wait_alu 0xfffd
	v_add_co_ci_u32_e64 v17, null, 0, v96, vcc_lo
	global_load_u16 v16, v[16:17], off
	v_ashrrev_i32_e32 v17, v89, v20
	s_delay_alu instid0(VALU_DEP_1) | instskip(NEXT) | instid1(VALU_DEP_1)
	v_and_b32_e32 v17, 0xf0f0f0f, v17
	v_lshlrev_b16 v20, 8, v17
	v_and_b32_e32 v92, 0xf00, v17
	v_lshrrev_b32_e32 v17, 16, v17
	s_delay_alu instid0(VALU_DEP_3) | instskip(NEXT) | instid1(VALU_DEP_1)
	v_add_nc_u16 v20, 0xf800, v20
	v_lshrrev_b16 v20, 8, v20
	s_delay_alu instid0(VALU_DEP_1) | instskip(NEXT) | instid1(VALU_DEP_4)
	v_or_b32_e32 v20, v92, v20
	v_lshlrev_b16 v92, 8, v17
	v_and_b32_e32 v17, 0xf00, v17
	s_delay_alu instid0(VALU_DEP_3) | instskip(NEXT) | instid1(VALU_DEP_3)
	v_add_nc_u16 v20, 0xf800, v20
	v_add_nc_u16 v92, 0xf800, v92
	s_delay_alu instid0(VALU_DEP_1) | instskip(NEXT) | instid1(VALU_DEP_1)
	v_lshrrev_b16 v92, 8, v92
	v_or_b32_e32 v17, v17, v92
	s_delay_alu instid0(VALU_DEP_4) | instskip(SKIP_1) | instid1(VALU_DEP_3)
	v_lshrrev_b32_e32 v92, 8, v20
	v_bfe_i32 v20, v20, 0, 8
	v_add_nc_u16 v17, 0xf800, v17
	s_delay_alu instid0(VALU_DEP_3) | instskip(NEXT) | instid1(VALU_DEP_3)
	v_bfe_i32 v92, v92, 0, 8
	v_cvt_f16_i16_e32 v20, v20
	s_delay_alu instid0(VALU_DEP_2) | instskip(NEXT) | instid1(VALU_DEP_1)
	v_cvt_f16_i16_e32 v92, v92
	v_pack_b32_f16 v20, v20, v92
	v_lshrrev_b32_e32 v92, 8, v17
	v_bfe_i32 v17, v17, 0, 8
	s_delay_alu instid0(VALU_DEP_3) | instskip(NEXT) | instid1(VALU_DEP_3)
	v_pk_mul_f16 v20, v20, v23
	v_bfe_i32 v92, v92, 0, 8
	s_delay_alu instid0(VALU_DEP_3) | instskip(NEXT) | instid1(VALU_DEP_2)
	v_cvt_f16_i16_e32 v17, v17
	v_cvt_f16_i16_e32 v92, v92
	s_delay_alu instid0(VALU_DEP_1) | instskip(NEXT) | instid1(VALU_DEP_1)
	v_pack_b32_f16 v17, v17, v92
	v_pk_mul_f16 v17, v17, v23
	v_ashrrev_i32_e32 v23, v89, v91
	s_delay_alu instid0(VALU_DEP_1) | instskip(NEXT) | instid1(VALU_DEP_1)
	v_and_b32_e32 v23, 0xf0f0f0f, v23
	v_lshlrev_b16 v91, 8, v23
	v_and_b32_e32 v92, 0xf00, v23
	v_lshrrev_b32_e32 v23, 16, v23
	s_delay_alu instid0(VALU_DEP_3) | instskip(NEXT) | instid1(VALU_DEP_1)
	v_add_nc_u16 v91, 0xf800, v91
	v_lshrrev_b16 v91, 8, v91
	s_delay_alu instid0(VALU_DEP_1) | instskip(NEXT) | instid1(VALU_DEP_4)
	v_or_b32_e32 v91, v92, v91
	v_lshlrev_b16 v92, 8, v23
	v_and_b32_e32 v23, 0xf00, v23
	s_delay_alu instid0(VALU_DEP_3) | instskip(NEXT) | instid1(VALU_DEP_3)
	v_add_nc_u16 v91, 0xf800, v91
	v_add_nc_u16 v92, 0xf800, v92
	s_delay_alu instid0(VALU_DEP_1) | instskip(NEXT) | instid1(VALU_DEP_1)
	v_lshrrev_b16 v92, 8, v92
	v_or_b32_e32 v23, v23, v92
	s_delay_alu instid0(VALU_DEP_4) | instskip(SKIP_1) | instid1(VALU_DEP_3)
	v_lshrrev_b32_e32 v92, 8, v91
	v_bfe_i32 v91, v91, 0, 8
	v_add_nc_u16 v23, 0xf800, v23
	s_delay_alu instid0(VALU_DEP_3) | instskip(NEXT) | instid1(VALU_DEP_3)
	v_bfe_i32 v92, v92, 0, 8
	v_cvt_f16_i16_e32 v91, v91
	s_delay_alu instid0(VALU_DEP_2) | instskip(NEXT) | instid1(VALU_DEP_1)
	v_cvt_f16_i16_e32 v92, v92
	v_pack_b32_f16 v91, v91, v92
	v_lshrrev_b32_e32 v92, 8, v23
	v_bfe_i32 v23, v23, 0, 8
	s_delay_alu instid0(VALU_DEP_2) | instskip(NEXT) | instid1(VALU_DEP_2)
	v_bfe_i32 v92, v92, 0, 8
	v_cvt_f16_i16_e32 v23, v23
	s_delay_alu instid0(VALU_DEP_2) | instskip(NEXT) | instid1(VALU_DEP_1)
	v_cvt_f16_i16_e32 v92, v92
	v_pack_b32_f16 v23, v23, v92
	s_wait_loadcnt 0x0
	v_mul_u32_u24_e32 v16, 0x10001, v16
	s_delay_alu instid0(VALU_DEP_1) | instskip(NEXT) | instid1(VALU_DEP_3)
	v_pk_mul_f16 v91, v91, v16
	v_pk_mul_f16 v16, v23, v16
	scratch_load_b32 v23, off, off offset:440 th:TH_LOAD_LU ; 4-byte Folded Reload
	s_wait_loadcnt 0x0
	v_mul_u32_u24_e32 v23, 0x10001, v23
	s_delay_alu instid0(VALU_DEP_1)
	v_pk_fma_f16 v92, v16, v23, v18
	scratch_load_b32 v16, off, off offset:24 ; 4-byte Folded Reload
	v_pk_fma_f16 v148, v20, v23, v21
	s_clause 0x1
	scratch_load_b32 v20, off, off th:TH_LOAD_LU
	scratch_load_b32 v21, off, off offset:4 th:TH_LOAD_LU
	v_pk_fma_f16 v249, v17, v23, v19
	v_pk_fma_f16 v150, v91, v23, v22
	s_clause 0x2
	scratch_load_b32 v22, off, off offset:8 th:TH_LOAD_LU
	scratch_load_b32 v23, off, off offset:12 th:TH_LOAD_LU
	scratch_load_b32 v91, off, off offset:16 th:TH_LOAD_LU
	s_wait_loadcnt 0x5
	v_add_co_u32 v16, vcc_lo, v16, s8
	scratch_store_b32 off, v16, off offset:24 ; 4-byte Folded Spill
	scratch_load_b32 v16, off, off offset:28 ; 4-byte Folded Reload
	s_wait_loadcnt 0x0
	s_wait_alu 0xfffd
	v_add_co_ci_u32_e64 v16, null, 0, v16, vcc_lo
	v_add_co_u32 v113, vcc_lo, v113, s4
	s_wait_alu 0xfffd
	v_add_co_ci_u32_e64 v114, null, s5, v114, vcc_lo
	scratch_store_b32 off, v16, off offset:28 ; 4-byte Folded Spill
	v_mov_b32_e32 v17, v113
	scratch_load_b32 v16, off, off offset:32 ; 4-byte Folded Reload
	v_mov_b32_e32 v18, v114
	scratch_load_b32 v113, off, off offset:20 th:TH_LOAD_LU ; 4-byte Folded Reload
	v_add_co_u32 v19, vcc_lo, v99, s9
	scratch_load_b32 v99, off, off offset:344 th:TH_LOAD_LU ; 4-byte Folded Reload
	s_wait_alu 0xfffd
	v_add_co_ci_u32_e64 v20, null, 0, v20, vcc_lo
	v_add_co_u32 v21, vcc_lo, v21, s9
	s_wait_alu 0xfffd
	v_add_co_ci_u32_e64 v22, null, 0, v22, vcc_lo
	v_add_co_u32 v23, vcc_lo, v23, s9
	s_wait_alu 0xfffd
	v_add_co_ci_u32_e64 v91, null, 0, v91, vcc_lo
	s_wait_loadcnt 0x1
	v_add_co_u32 v113, vcc_lo, v113, s9
	s_wait_alu 0xfffd
	v_add_co_ci_u32_e64 v114, null, 0, v122, vcc_lo
	v_add_co_u32 v105, vcc_lo, v105, s9
	s_wait_alu 0xfffd
	v_add_co_ci_u32_e64 v115, null, 0, v115, vcc_lo
	v_add_co_u32 v16, vcc_lo, v16, s8
	scratch_store_b32 off, v16, off offset:32 ; 4-byte Folded Spill
	scratch_load_b32 v16, off, off offset:36 ; 4-byte Folded Reload
	s_wait_loadcnt 0x0
	s_wait_alu 0xfffd
	v_add_co_ci_u32_e64 v16, null, 0, v16, vcc_lo
	v_add_co_u32 v99, vcc_lo, v99, s8
	s_wait_alu 0xfffd
	v_add_co_ci_u32_e64 v100, null, 0, v100, vcc_lo
	v_add_co_u32 v116, vcc_lo, v116, s9
	scratch_store_b32 off, v16, off offset:36 ; 4-byte Folded Spill
	s_wait_alu 0xfffd
	v_add_co_ci_u32_e64 v16, null, 0, v101, vcc_lo
	v_add_co_u32 v118, vcc_lo, v118, s9
	s_wait_alu 0xfffd
	v_add_co_ci_u32_e64 v121, null, 0, v121, vcc_lo
	v_add_co_u32 v122, vcc_lo, v102, s9
	;; [unrolled: 3-line block ×5, first 2 shown]
	s_wait_alu 0xfffd
	v_add_co_ci_u32_e64 v125, null, 0, v125, vcc_lo
	s_clause 0x4
	scratch_store_b32 off, v119, off offset:224
	scratch_store_b32 off, v120, off offset:228
	;; [unrolled: 1-line block ×5, first 2 shown]
	s_clause 0x3
	scratch_load_b32 v124, off, off offset:328 th:TH_LOAD_LU
	scratch_load_b32 v125, off, off offset:332 th:TH_LOAD_LU
	;; [unrolled: 1-line block ×4, first 2 shown]
	s_wait_loadcnt 0x3
	v_add_co_u32 v124, vcc_lo, v124, s9
	s_wait_loadcnt 0x2
	s_wait_alu 0xfffd
	v_add_co_ci_u32_e64 v125, null, 0, v125, vcc_lo
	s_wait_loadcnt 0x1
	v_add_co_u32 v101, vcc_lo, v101, s8
	s_wait_loadcnt 0x0
	s_wait_alu 0xfffd
	v_add_co_ci_u32_e64 v102, null, 0, v102, vcc_lo
	v_add_co_u32 v93, vcc_lo, v93, s9
	s_wait_alu 0xfffd
	v_add_co_ci_u32_e64 v94, null, 0, v94, vcc_lo
	v_add_co_u32 v95, vcc_lo, v95, s9
	;; [unrolled: 3-line block ×4, first 2 shown]
	s_wait_alu 0xfffd
	v_add_co_ci_u32_e64 v126, null, 0, v126, vcc_lo
	scratch_store_b32 off, v126, off offset:244 ; 4-byte Folded Spill
	v_dual_mov_b32 v126, v127 :: v_dual_mov_b32 v127, v128
	v_dual_mov_b32 v128, v131 :: v_dual_mov_b32 v131, v132
	v_mov_b32_e32 v132, v133
	s_delay_alu instid0(VALU_DEP_3)
	v_add_co_u32 v126, vcc_lo, v126, s9
	v_mov_b32_e32 v133, v136
	s_wait_alu 0xfffd
	v_add_co_ci_u32_e64 v127, null, 0, v127, vcc_lo
	v_add_co_u32 v128, vcc_lo, v128, s9
	s_wait_alu 0xfffd
	v_add_co_ci_u32_e64 v158, null, 0, v158, vcc_lo
	v_add_co_u32 v131, vcc_lo, v131, s9
	v_dual_mov_b32 v136, v137 :: v_dual_mov_b32 v137, v152
	s_wait_alu 0xfffd
	v_add_co_ci_u32_e64 v132, null, 0, v132, vcc_lo
	v_add_co_u32 v133, vcc_lo, v133, s9
	s_wait_alu 0xfffd
	v_add_co_ci_u32_e64 v134, null, 0, v134, vcc_lo
	v_add_co_u32 v138, vcc_lo, v138, s9
	;; [unrolled: 3-line block ×11, first 2 shown]
	s_wait_alu 0xfffd
	v_add_co_ci_u32_e64 v153, null, 0, v153, vcc_lo
	s_clause 0x3
	scratch_store_b32 off, v111, off offset:316
	scratch_store_b32 off, v154, off offset:320
	;; [unrolled: 1-line block ×4, first 2 shown]
	v_add_co_u32 v155, vcc_lo, v157, s9
	s_clause 0x7
	scratch_store_b32 off, v158, off offset:248
	scratch_store_b32 off, v134, off offset:252
	;; [unrolled: 1-line block ×8, first 2 shown]
	s_wait_alu 0xfffd
	v_add_co_ci_u32_e64 v152, null, 0, v130, vcc_lo
	v_add_co_u32 v158, vcc_lo, v159, s9
	s_wait_alu 0xfffd
	v_add_co_ci_u32_e64 v134, null, 0, v135, vcc_lo
	v_dual_mov_b32 v135, v253 :: v_dual_mov_b32 v130, v177
	v_mov_b32_e32 v160, v176
	v_dual_mov_b32 v176, v194 :: v_dual_mov_b32 v177, v192
	s_delay_alu instid0(VALU_DEP_3)
	v_add_co_u32 v135, vcc_lo, v135, s9
	s_wait_alu 0xfffd
	v_add_co_ci_u32_e64 v159, null, 0, v162, vcc_lo
	v_add_co_u32 v161, vcc_lo, v161, s9
	s_wait_alu 0xfffd
	v_add_co_ci_u32_e64 v163, null, 0, v163, vcc_lo
	;; [unrolled: 3-line block ×8, first 2 shown]
	v_add_co_u32 v175, vcc_lo, v175, s9
	v_mov_b32_e32 v169, v185
	s_wait_alu 0xfffd
	v_add_co_ci_u32_e64 v174, null, 0, v174, vcc_lo
	v_add_co_u32 v178, vcc_lo, v178, s9
	v_mov_b32_e32 v170, v184
	s_wait_alu 0xfffd
	v_add_co_ci_u32_e64 v179, null, 0, v179, vcc_lo
	v_add_co_u32 v180, vcc_lo, v180, s9
	s_wait_alu 0xfffd
	v_add_co_ci_u32_e64 v181, null, 0, v181, vcc_lo
	v_add_co_u32 v169, vcc_lo, v169, s9
	;; [unrolled: 3-line block ×5, first 2 shown]
	v_mov_b32_e32 v194, v198
	s_wait_alu 0xfffd
	v_add_co_ci_u32_e64 v189, null, 0, v189, vcc_lo
	v_add_co_u32 v176, vcc_lo, v176, s9
	s_wait_alu 0xfffd
	v_add_co_ci_u32_e64 v177, null, 0, v177, vcc_lo
	v_add_co_u32 v190, vcc_lo, v190, s9
	v_mov_b32_e32 v184, v235
	s_wait_alu 0xfffd
	v_add_co_ci_u32_e64 v191, null, 0, v191, vcc_lo
	v_add_co_u32 v194, vcc_lo, v194, s9
	v_mov_b32_e32 v185, v203
	s_wait_alu 0xfffd
	v_add_co_ci_u32_e64 v195, null, 0, v195, vcc_lo
	v_add_co_u32 v196, vcc_lo, v196, s9
	s_wait_alu 0xfffd
	v_add_co_ci_u32_e64 v197, null, 0, v197, vcc_lo
	v_add_co_u32 v184, vcc_lo, v184, s9
	v_mov_b32_e32 v203, v216
	s_wait_alu 0xfffd
	v_add_co_ci_u32_e64 v185, null, 0, v185, vcc_lo
	v_add_co_u32 v199, vcc_lo, v199, s9
	;; [unrolled: 7-line block ×3, first 2 shown]
	s_wait_alu 0xfffd
	v_add_co_ci_u32_e64 v202, null, 0, v206, vcc_lo
	v_dual_mov_b32 v206, v209 :: v_dual_mov_b32 v209, v211
	v_add_co_u32 v192, vcc_lo, v192, s9
	v_dual_mov_b32 v207, v212 :: v_dual_mov_b32 v212, v213
	s_wait_alu 0xfffd
	v_add_co_ci_u32_e64 v193, null, 0, v193, vcc_lo
	v_add_co_u32 v206, vcc_lo, v206, s9
	v_mov_b32_e32 v213, v217
	s_wait_alu 0xfffd
	v_add_co_ci_u32_e64 v208, null, 0, v208, vcc_lo
	v_add_co_u32 v209, vcc_lo, v209, s9
	s_wait_alu 0xfffd
	v_add_co_ci_u32_e64 v207, null, 0, v207, vcc_lo
	v_add_co_u32 v212, vcc_lo, v212, s9
	;; [unrolled: 3-line block ×6, first 2 shown]
	v_mov_b32_e32 v211, v227
	s_wait_alu 0xfffd
	v_add_co_ci_u32_e64 v210, null, 0, v210, vcc_lo
	v_add_co_u32 v222, vcc_lo, v222, s9
	v_mov_b32_e32 v227, v229
	s_wait_alu 0xfffd
	v_add_co_ci_u32_e64 v223, null, 0, v223, vcc_lo
	v_add_co_u32 v224, vcc_lo, v224, s9
	;; [unrolled: 4-line block ×5, first 2 shown]
	v_dual_mov_b32 v234, v238 :: v_dual_mov_b32 v235, v237
	s_wait_alu 0xfffd
	v_add_co_ci_u32_e64 v216, null, 0, v216, vcc_lo
	v_add_co_u32 v230, vcc_lo, v230, s9
	v_mov_b32_e32 v238, v239
	s_wait_alu 0xfffd
	v_add_co_ci_u32_e64 v231, null, 0, v231, vcc_lo
	v_add_co_u32 v221, vcc_lo, v221, s9
	v_mov_b32_e32 v239, v242
	;; [unrolled: 4-line block ×4, first 2 shown]
	s_wait_alu 0xfffd
	v_add_co_ci_u32_e64 v239, null, 0, v239, vcc_lo
	v_add_co_u32 v240, vcc_lo, v240, s9
	s_wait_alu 0xfffd
	v_add_co_ci_u32_e64 v241, null, 0, v241, vcc_lo
	v_add_co_u32 v229, vcc_lo, v229, s9
	v_mov_b32_e32 v232, v62
	v_mov_b32_e32 v246, v4
	s_wait_alu 0xfffd
	v_add_co_ci_u32_e64 v243, null, 0, v243, vcc_lo
	v_add_co_u32 v244, vcc_lo, v244, s9
	v_mov_b32_e32 v237, v56
	s_wait_alu 0xfffd
	v_add_co_ci_u32_e64 v245, null, 0, v245, vcc_lo
	v_add_co_u32 v233, vcc_lo, v233, s9
	;; [unrolled: 4-line block ×3, first 2 shown]
	s_wait_alu 0xfffd
	v_add_co_ci_u32_e64 v247, null, 0, v247, vcc_lo
	v_add_co_u32 v237, vcc_lo, v237, s9
	v_mov_b32_e32 v62, v64
	s_wait_alu 0xfffd
	v_add_co_ci_u32_e64 v242, null, 0, v242, vcc_lo
	v_add_co_u32 v250, vcc_lo, v250, s9
	v_mov_b32_e32 v64, v58
	v_mov_b32_e32 v58, v60
	s_wait_alu 0xfffd
	v_add_co_ci_u32_e64 v252, null, 0, v254, vcc_lo
	v_add_co_u32 v253, vcc_lo, v255, s9
	v_dual_mov_b32 v60, v59 :: v_dual_mov_b32 v59, v63
	s_wait_alu 0xfffd
	v_add_co_ci_u32_e64 v248, null, 0, v248, vcc_lo
	v_add_co_u32 v62, vcc_lo, v62, s9
	v_dual_mov_b32 v63, v66 :: v_dual_mov_b32 v66, v67
	;; [unrolled: 4-line block ×3, first 2 shown]
	s_wait_alu 0xfffd
	v_add_co_ci_u32_e64 v60, null, 0, v60, vcc_lo
	v_add_co_u32 v59, vcc_lo, v59, s9
	v_mov_b32_e32 v69, v61
	v_mov_b32_e32 v61, v65
	s_wait_alu 0xfffd
	v_add_co_ci_u32_e64 v63, null, 0, v63, vcc_lo
	v_add_co_u32 v66, vcc_lo, v66, s9
	v_dual_mov_b32 v65, v24 :: v_dual_mov_b32 v24, v25
	s_wait_alu 0xfffd
	v_add_co_ci_u32_e64 v67, null, 0, v67, vcc_lo
	v_add_co_u32 v68, vcc_lo, v68, s9
	v_dual_mov_b32 v25, v26 :: v_dual_mov_b32 v26, v27
	;; [unrolled: 4-line block ×17, first 2 shown]
	s_wait_alu 0xfffd
	v_add_co_ci_u32_e64 v51, null, 0, v51, vcc_lo
	v_add_co_u32 v52, vcc_lo, v52, s9
	v_mov_b32_e32 v154, v5
	s_wait_alu 0xfffd
	v_add_co_ci_u32_e64 v53, null, 0, v53, vcc_lo
	v_add_co_u32 v54, vcc_lo, v54, s9
	v_mov_b32_e32 v254, v78
	;; [unrolled: 4-line block ×3, first 2 shown]
	v_mov_b32_e32 v5, v76
	s_wait_alu 0xfffd
	v_add_co_ci_u32_e64 v154, null, 0, v154, vcc_lo
	v_add_co_u32 v251, vcc_lo, v251, s9
	v_mov_b32_e32 v153, v15
	v_dual_mov_b32 v15, v84 :: v_dual_mov_b32 v84, v6
	v_mov_b32_e32 v6, v82
	s_wait_alu 0xfffd
	v_add_co_ci_u32_e64 v2, null, 0, v2, vcc_lo
	v_add_co_u32 v254, vcc_lo, v254, s9
	s_wait_alu 0xfffd
	v_add_co_ci_u32_e64 v255, null, 0, v255, vcc_lo
	v_add_co_u32 v5, vcc_lo, v5, s9
	s_clause 0x7
	scratch_store_b32 off, v144, off offset:280
	scratch_store_b32 off, v13, off offset:284
	;; [unrolled: 1-line block ×8, first 2 shown]
	v_mov_b32_e32 v4, v73
	s_clause 0x4
	scratch_load_b32 v73, off, off offset:364 th:TH_LOAD_LU
	scratch_load_b32 v78, off, off offset:360 th:TH_LOAD_LU
	scratch_load_b32 v7, off, off offset:432 th:TH_LOAD_LU
	scratch_load_b32 v76, off, off offset:356 th:TH_LOAD_LU
	scratch_load_b32 v82, off, off offset:428 th:TH_LOAD_LU
	s_wait_alu 0xfffd
	v_add_co_ci_u32_e64 v6, null, 0, v6, vcc_lo
	v_add_co_u32 v138, vcc_lo, v139, s9
	s_clause 0x1
	scratch_load_b32 v139, off, off offset:340 th:TH_LOAD_LU
	scratch_load_b64 v[119:120], off, off offset:476
	s_wait_alu 0xfffd
	v_add_co_ci_u32_e64 v140, null, 0, v141, vcc_lo
	scratch_load_b32 v141, off, off offset:352 th:TH_LOAD_LU ; 4-byte Folded Reload
	v_dual_mov_b32 v9, v10 :: v_dual_mov_b32 v10, v146
	v_mov_b32_e32 v146, v12
	v_dual_mov_b32 v0, v14 :: v_dual_mov_b32 v13, v129
	s_delay_alu instid0(VALU_DEP_3)
	v_add_co_u32 v9, vcc_lo, v9, s9
	s_wait_alu 0xfffd
	v_add_co_ci_u32_e64 v10, null, 0, v10, vcc_lo
	v_dual_mov_b32 v14, v71 :: v_dual_mov_b32 v71, v74
	v_mov_b32_e32 v8, v77
	v_mov_b32_e32 v74, v79
	v_dual_mov_b32 v12, v81 :: v_dual_mov_b32 v77, v83
	v_mov_b32_e32 v79, v86
	v_mov_b32_e32 v81, v88
	;; [unrolled: 1-line block ×3, first 2 shown]
	v_dual_mov_b32 v11, v90 :: v_dual_mov_b32 v86, v85
	v_mov_b32_e32 v129, v106
	s_wait_loadcnt 0x2
	v_add_co_u32 v139, vcc_lo, v139, s9
	s_wait_loadcnt 0x0
	s_wait_alu 0xfffd
	v_add_co_ci_u32_e64 v141, null, 0, v141, vcc_lo
	v_add_co_u32 v146, vcc_lo, v146, s9
	s_wait_alu 0xfffd
	v_add_co_ci_u32_e64 v142, null, 0, v143, vcc_lo
	scratch_load_b32 v143, off, off offset:368 th:TH_LOAD_LU ; 4-byte Folded Reload
	v_add_co_u32 v0, vcc_lo, v0, s9
	s_wait_alu 0xfffd
	v_add_co_ci_u32_e64 v153, null, 0, v153, vcc_lo
	v_add_co_u32 v13, vcc_lo, v13, s9
	s_wait_alu 0xfffd
	v_add_co_ci_u32_e64 v14, null, 0, v14, vcc_lo
	v_add_co_u32 v3, vcc_lo, v3, s9
	s_wait_alu 0xfffd
	v_add_co_ci_u32_e64 v4, null, 0, v4, vcc_lo
	v_add_co_u32 v71, vcc_lo, v71, s9
	s_wait_alu 0xfffd
	v_add_co_ci_u32_e64 v72, null, 0, v72, vcc_lo
	v_add_co_u32 v7, vcc_lo, v7, s9
	s_wait_alu 0xfffd
	v_add_co_ci_u32_e64 v8, null, 0, v8, vcc_lo
	v_add_co_u32 v73, vcc_lo, v73, s9
	s_wait_alu 0xfffd
	v_add_co_ci_u32_e64 v74, null, 0, v74, vcc_lo
	v_add_co_u32 v75, vcc_lo, v75, s9
	s_wait_alu 0xfffd
	v_add_co_ci_u32_e64 v12, null, 0, v12, vcc_lo
	v_add_co_u32 v76, vcc_lo, v76, s9
	s_wait_alu 0xfffd
	v_add_co_ci_u32_e64 v77, null, 0, v77, vcc_lo
	v_add_co_u32 v15, vcc_lo, v15, s9
	s_wait_alu 0xfffd
	v_add_co_ci_u32_e64 v78, null, 0, v78, vcc_lo
	v_add_co_u32 v79, vcc_lo, v79, s9
	s_wait_alu 0xfffd
	v_add_co_ci_u32_e64 v80, null, 0, v80, vcc_lo
	v_add_co_u32 v81, vcc_lo, v81, s9
	s_wait_alu 0xfffd
	v_add_co_ci_u32_e64 v82, null, 0, v82, vcc_lo
	v_add_co_u32 v83, vcc_lo, v83, s9
	s_wait_alu 0xfffd
	v_add_co_ci_u32_e64 v11, null, 0, v11, vcc_lo
	v_add_co_u32 v84, vcc_lo, v84, s9
	s_wait_alu 0xfffd
	v_add_co_ci_u32_e64 v86, null, 0, v86, vcc_lo
	v_add_co_u32 v87, vcc_lo, v87, s9
	s_wait_alu 0xfffd
	v_add_co_ci_u32_e64 v57, null, 0, v57, vcc_lo
	v_add_co_u32 v129, vcc_lo, v129, s9
	s_wait_loadcnt 0x0
	s_wait_alu 0xfffd
	v_add_co_ci_u32_e64 v143, null, 0, v143, vcc_lo
	v_add_co_u32 v88, vcc_lo, v107, s9
	s_wait_alu 0xfffd
	v_add_co_ci_u32_e64 v144, null, 0, v145, vcc_lo
	scratch_load_b32 v145, off, off offset:372 th:TH_LOAD_LU ; 4-byte Folded Reload
	s_wait_loadcnt 0x0
	v_add_co_u32 v145, vcc_lo, v145, s9
	s_wait_alu 0xfffd
	v_add_co_ci_u32_e64 v147, null, 0, v112, vcc_lo
	v_add_co_u32 v149, vcc_lo, v117, s9
	s_wait_alu 0xfffd
	v_add_co_ci_u32_e64 v151, null, 0, v156, vcc_lo
	s_cbranch_scc1 .LBB23_22
; %bb.20:                               ;   in Loop: Header=BB23_15 Depth=1
	s_clause 0x18
	scratch_store_b32 off, v57, off offset:420
	scratch_store_b32 off, v103, off offset:412
	;; [unrolled: 1-line block ×23, first 2 shown]
	scratch_store_b32 off, v20, off
	scratch_store_b32 off, v19, off offset:328
	s_clause 0x1
	scratch_load_b32 v156, off, off offset:424 th:TH_LOAD_LU
	scratch_load_b32 v85, off, off offset:416
	v_mov_b32_e32 v57, v18
	v_dual_mov_b32 v123, v92 :: v_dual_mov_b32 v56, v17
	v_mov_b32_e32 v1, v249
	s_branch .LBB23_15
.LBB23_21:
	v_dual_mov_b32 v148, 0 :: v_dual_mov_b32 v9, 0xfeffffff
	v_dual_mov_b32 v249, 0 :: v_dual_mov_b32 v150, 0
	v_mov_b32_e32 v92, 0
	s_branch .LBB23_23
.LBB23_22:
	s_clause 0x5
	scratch_load_b32 v32, off, off offset:508
	scratch_load_b32 v33, off, off offset:512
	;; [unrolled: 1-line block ×6, first 2 shown]
	v_mbcnt_lo_u32_b32 v118, -1, 0
.LBB23_23:
	s_wait_loadcnt 0x5
	v_or_b32_e32 v0, s95, v32
	s_cmp_lg_u64 s[76:77], 0
	s_cselect_b32 s3, -1, 0
	s_delay_alu instid0(VALU_DEP_1)
	v_cmp_eq_u32_e32 vcc_lo, 0, v0
	s_wait_alu 0xfffe
	s_and_b32 s4, vcc_lo, s3
	s_wait_alu 0xfffe
	s_and_saveexec_b32 s3, s4
	s_cbranch_execz .LBB23_25
; %bb.24:
	s_lshl_b64 s[4:5], s[92:93], 2
	s_wait_loadcnt 0x0
	v_max_num_f32_e32 v0, v9, v9
	s_wait_alu 0xfffe
	s_add_nc_u64 s[4:5], s[76:77], s[4:5]
	s_load_b32 s4, s[4:5], 0x0
	s_wait_kmcnt 0x0
	v_max_num_f32_e64 v1, s4, s4
	s_delay_alu instid0(VALU_DEP_1) | instskip(NEXT) | instid1(VALU_DEP_1)
	v_max_num_f32_e32 v0, v0, v1
	v_sub_f32_e32 v2, s4, v0
	s_delay_alu instid0(VALU_DEP_1) | instskip(NEXT) | instid1(VALU_DEP_1)
	v_mul_f32_e32 v4, 0x3fb8aa3b, v2
	v_fma_f32 v7, 0x3fb8aa3b, v2, -v4
	v_rndne_f32_e32 v8, v4
	s_delay_alu instid0(VALU_DEP_1) | instskip(SKIP_2) | instid1(VALU_DEP_2)
	v_dual_fmac_f32 v7, 0x32a5705f, v2 :: v_dual_sub_f32 v4, v4, v8
	v_sub_f32_e32 v1, v9, v0
	v_mov_b32_e32 v9, v0
	v_dual_add_f32 v4, v4, v7 :: v_dual_mul_f32 v3, 0x3fb8aa3b, v1
	v_cmp_ngt_f32_e32 vcc_lo, 0xc2ce8ed0, v1
	s_delay_alu instid0(VALU_DEP_2) | instskip(NEXT) | instid1(VALU_DEP_2)
	v_exp_f32_e32 v4, v4
	v_fma_f32 v5, 0x3fb8aa3b, v1, -v3
	v_rndne_f32_e32 v6, v3
	s_delay_alu instid0(VALU_DEP_2) | instskip(NEXT) | instid1(VALU_DEP_2)
	v_fmac_f32_e32 v5, 0x32a5705f, v1
	v_sub_f32_e32 v3, v3, v6
	s_delay_alu instid0(VALU_DEP_1) | instskip(SKIP_2) | instid1(VALU_DEP_3)
	v_add_f32_e32 v3, v3, v5
	v_cvt_i32_f32_e32 v5, v6
	v_cvt_i32_f32_e32 v6, v8
	v_exp_f32_e32 v3, v3
	s_delay_alu instid0(TRANS32_DEP_2) | instid1(VALU_DEP_1)
	v_ldexp_f32 v4, v4, v6
	s_delay_alu instid0(TRANS32_DEP_1) | instskip(SKIP_1) | instid1(VALU_DEP_1)
	v_ldexp_f32 v3, v3, v5
	s_wait_alu 0xfffd
	v_cndmask_b32_e32 v3, 0, v3, vcc_lo
	v_cmp_ngt_f32_e32 vcc_lo, 0xc2ce8ed0, v2
	s_wait_alu 0xfffd
	v_cndmask_b32_e32 v4, 0, v4, vcc_lo
	v_cmp_nlt_f32_e32 vcc_lo, 0x42b17218, v1
	s_wait_alu 0xfffd
	v_cndmask_b32_e32 v1, 0x7f800000, v3, vcc_lo
	v_cmp_nlt_f32_e32 vcc_lo, 0x42b17218, v2
	s_delay_alu instid0(VALU_DEP_2) | instskip(SKIP_4) | instid1(VALU_DEP_2)
	v_cvt_f16_f32_e32 v3, v1
	s_wait_alu 0xfffd
	v_cndmask_b32_e32 v2, 0x7f800000, v4, vcc_lo
	v_cmp_eq_u32_e32 vcc_lo, 0, v33
	s_wait_alu 0xfffd
	v_dual_cndmask_b32 v2, 0, v2 :: v_dual_and_b32 v3, 0xffff, v3
	s_delay_alu instid0(VALU_DEP_1) | instskip(NEXT) | instid1(VALU_DEP_2)
	v_fmac_f32_e32 v2, v11, v1
	v_mul_u32_u24_e32 v1, 0x10001, v3
	s_delay_alu instid0(VALU_DEP_2) | instskip(NEXT) | instid1(VALU_DEP_2)
	v_mov_b32_e32 v11, v2
	v_pk_mul_f16 v148, v148, v1
	v_pk_mul_f16 v249, v249, v1
	;; [unrolled: 1-line block ×4, first 2 shown]
.LBB23_25:
	s_wait_alu 0xfffe
	s_or_b32 exec_lo, exec_lo, s3
	s_and_saveexec_b32 s3, s2
	s_cbranch_execz .LBB23_27
; %bb.26:
	v_dual_mov_b32 v0, 0xfeffffff :: v_dual_mov_b32 v1, 0
	s_wait_loadcnt 0x2
	v_add_nc_u32_e32 v2, 0x800, v14
	ds_store_2addr_b32 v2, v0, v1 offset1:32
.LBB23_27:
	s_wait_alu 0xfffe
	s_or_b32 exec_lo, exec_lo, s3
	s_wait_loadcnt 0x4
	v_cmp_eq_u32_e32 vcc_lo, 0, v33
	v_lshlrev_b32_e32 v2, 2, v32
	s_wait_storecnt 0x0
	s_wait_loadcnt_dscnt 0x0
	s_barrier_signal -1
	s_barrier_wait -1
	global_inv scope:SCOPE_SE
	s_and_saveexec_b32 s2, vcc_lo
; %bb.28:
	ds_store_b32 v2, v9 offset:2048
; %bb.29:
	s_wait_alu 0xfffe
	s_or_b32 exec_lo, exec_lo, s2
	s_wait_loadcnt_dscnt 0x0
	s_barrier_signal -1
	s_barrier_wait -1
	global_inv scope:SCOPE_SE
	ds_load_b32 v0, v14 offset:2048
	v_xor_b32_e32 v1, 16, v118
	v_xor_b32_e32 v4, 8, v118
	;; [unrolled: 1-line block ×5, first 2 shown]
	v_cmp_gt_i32_e64 s2, 32, v1
	s_load_b32 s1, s[0:1], 0xd4
	v_lshlrev_b32_e32 v13, 3, v33
	v_cndmask_b32_e64 v1, v118, v1, s2
	v_cmp_gt_i32_e64 s2, 32, v4
	s_delay_alu instid0(VALU_DEP_3) | instskip(NEXT) | instid1(VALU_DEP_3)
	v_lshl_add_u32 v13, v32, 9, v13
	v_lshlrev_b32_e32 v3, 2, v1
	s_wait_alu 0xf1ff
	s_delay_alu instid0(VALU_DEP_3)
	v_cndmask_b32_e64 v4, v118, v4, s2
	v_cmp_gt_i32_e64 s2, 32, v5
	s_wait_dscnt 0x0
	ds_bpermute_b32 v1, v3, v0
	v_max_num_f32_e32 v0, v0, v0
	s_wait_alu 0xf1ff
	v_cndmask_b32_e64 v5, v118, v5, s2
	v_cmp_gt_i32_e64 s2, 32, v6
	v_lshlrev_b32_e32 v4, 2, v4
	s_delay_alu instid0(VALU_DEP_3) | instskip(SKIP_1) | instid1(VALU_DEP_3)
	v_lshlrev_b32_e32 v5, 2, v5
	s_wait_alu 0xf1ff
	v_cndmask_b32_e64 v6, v118, v6, s2
	v_cmp_gt_i32_e64 s2, 32, v7
	s_delay_alu instid0(VALU_DEP_2) | instskip(SKIP_1) | instid1(VALU_DEP_2)
	v_lshlrev_b32_e32 v6, 2, v6
	s_wait_alu 0xf1ff
	v_cndmask_b32_e64 v7, v118, v7, s2
	s_wait_dscnt 0x0
	v_max_num_f32_e32 v1, v1, v1
	s_delay_alu instid0(VALU_DEP_1) | instskip(SKIP_3) | instid1(VALU_DEP_1)
	v_max_num_f32_e32 v0, v0, v1
	ds_bpermute_b32 v1, v4, v0
	s_wait_dscnt 0x0
	v_max_num_f32_e32 v1, v1, v1
	v_max_num_f32_e32 v0, v0, v1
	ds_bpermute_b32 v1, v5, v0
	s_wait_dscnt 0x0
	v_max_num_f32_e32 v1, v1, v1
	s_delay_alu instid0(VALU_DEP_1) | instskip(SKIP_3) | instid1(VALU_DEP_1)
	v_max_num_f32_e32 v0, v0, v1
	ds_bpermute_b32 v1, v6, v0
	s_wait_dscnt 0x0
	v_dual_max_num_f32 v8, v1, v1 :: v_dual_lshlrev_b32 v1, 2, v7
	v_max_num_f32_e32 v0, v0, v8
	ds_bpermute_b32 v7, v1, v0
	s_wait_dscnt 0x0
	v_max_num_f32_e32 v7, v7, v7
	s_delay_alu instid0(VALU_DEP_1) | instskip(NEXT) | instid1(VALU_DEP_1)
	v_max_num_f32_e32 v0, v0, v7
	v_sub_f32_e32 v7, v9, v0
	s_delay_alu instid0(VALU_DEP_1) | instskip(NEXT) | instid1(VALU_DEP_1)
	v_mul_f32_e32 v8, 0x3fb8aa3b, v7
	v_fma_f32 v9, 0x3fb8aa3b, v7, -v8
	v_rndne_f32_e32 v10, v8
	s_delay_alu instid0(VALU_DEP_1) | instskip(SKIP_1) | instid1(VALU_DEP_2)
	v_dual_sub_f32 v8, v8, v10 :: v_dual_fmamk_f32 v9, v7, 0x32a5705f, v9
	v_cmp_ngt_f32_e64 s2, 0xc2ce8ed0, v7
	v_add_f32_e32 v8, v8, v9
	v_cvt_i32_f32_e32 v9, v10
	s_delay_alu instid0(VALU_DEP_2) | instskip(NEXT) | instid1(TRANS32_DEP_1)
	v_exp_f32_e32 v8, v8
	v_ldexp_f32 v8, v8, v9
	s_wait_alu 0xf1ff
	s_delay_alu instid0(VALU_DEP_1) | instskip(SKIP_2) | instid1(VALU_DEP_1)
	v_cndmask_b32_e64 v8, 0, v8, s2
	v_cmp_nlt_f32_e64 s2, 0x42b17218, v7
	s_wait_alu 0xf1ff
	v_cndmask_b32_e64 v7, 0x7f800000, v8, s2
	s_delay_alu instid0(VALU_DEP_1)
	v_mul_f32_e32 v8, v11, v7
	v_cvt_f16_f32_e32 v10, v7
	ds_bpermute_b32 v8, v3, v8
	s_wait_dscnt 0x0
	v_fmac_f32_e32 v8, v11, v7
	ds_bpermute_b32 v9, v4, v8
	s_wait_dscnt 0x0
	v_add_f32_e32 v8, v8, v9
	ds_bpermute_b32 v9, v5, v8
	s_wait_dscnt 0x0
	v_add_f32_e32 v8, v8, v9
	;; [unrolled: 3-line block ×3, first 2 shown]
	v_and_b32_e32 v9, 0xffff, v10
	ds_bpermute_b32 v8, v1, v7
	v_mul_u32_u24_e32 v12, 0x10001, v9
	s_delay_alu instid0(VALU_DEP_1)
	v_pk_mul_f16 v9, v148, v12
	v_pk_mul_f16 v10, v249, v12
	;; [unrolled: 1-line block ×4, first 2 shown]
	ds_store_2addr_b64 v13, v[9:10], v[11:12] offset1:32
	s_and_saveexec_b32 s0, vcc_lo
	s_cbranch_execz .LBB23_31
; %bb.30:
	s_wait_dscnt 0x1
	v_add_f32_e32 v7, v7, v8
	ds_store_b32 v2, v7 offset:2176
.LBB23_31:
	s_or_b32 exec_lo, exec_lo, s0
	s_wait_loadcnt_dscnt 0x0
	s_barrier_signal -1
	s_barrier_wait -1
	global_inv scope:SCOPE_SE
	scratch_load_b32 v11, off, off offset:472 th:TH_LOAD_LU ; 4-byte Folded Reload
	ds_load_b32 v2, v14 offset:2176
	s_mul_i32 s2, s90, s88
	s_mov_b32 s3, 0
	s_wait_alu 0xfffe
	s_add_co_i32 s2, s2, ttmp9
	s_wait_alu 0xfffe
	s_mul_i32 s2, s2, s89
	s_wait_alu 0xfffe
	s_add_co_i32 s2, s2, s92
	s_wait_kmcnt 0x0
	s_wait_alu 0xfffe
	s_mul_i32 s2, s1, s2
	s_wait_alu 0xfffe
	s_add_co_i32 s2, s2, s95
	s_cmp_eq_u32 s1, 1
	s_wait_dscnt 0x0
	ds_bpermute_b32 v3, v3, v2
	s_wait_dscnt 0x0
	v_add_f32_e32 v2, v2, v3
	ds_bpermute_b32 v3, v4, v2
	s_wait_dscnt 0x0
	v_add_f32_e32 v2, v2, v3
	ds_bpermute_b32 v3, v5, v2
	s_wait_dscnt 0x0
	v_add_f32_e32 v2, v2, v3
	ds_bpermute_b32 v3, v6, v2
	s_wait_loadcnt 0x0
	ds_load_u16 v4, v11
	ds_load_u16 v5, v11 offset:1792
	ds_load_u16 v6, v11 offset:1280
	;; [unrolled: 1-line block ×7, first 2 shown]
	s_wait_dscnt 0x8
	v_add_f32_e32 v2, v2, v3
	ds_bpermute_b32 v1, v1, v2
	s_wait_dscnt 0x8
	v_cvt_f32_f16_e32 v3, v4
	s_wait_dscnt 0x7
	v_cvt_f32_f16_e32 v5, v5
	;; [unrolled: 2-line block ×6, first 2 shown]
	v_add_f32_e32 v3, 0, v3
	s_wait_dscnt 0x2
	v_cvt_f32_f16_e32 v9, v10
	v_add_f32_e32 v4, 0, v4
	s_delay_alu instid0(VALU_DEP_3) | instskip(SKIP_1) | instid1(VALU_DEP_2)
	v_add_f32_e32 v3, v3, v8
	s_wait_dscnt 0x0
	v_dual_add_f32 v1, v2, v1 :: v_dual_add_f32 v4, v4, v7
	v_cvt_f32_f16_e32 v7, v11
	s_delay_alu instid0(VALU_DEP_2) | instskip(NEXT) | instid1(VALU_DEP_1)
	v_dual_add_f32 v3, v3, v9 :: v_dual_add_f32 v4, v4, v6
	v_dual_add_f32 v6, v3, v7 :: v_dual_add_f32 v7, v4, v5
	s_delay_alu instid0(VALU_DEP_1) | instskip(NEXT) | instid1(VALU_DEP_2)
	v_div_scale_f32 v2, null, v1, v1, v6
	v_div_scale_f32 v4, null, v1, v1, v7
	s_delay_alu instid0(VALU_DEP_2) | instskip(SKIP_1) | instid1(VALU_DEP_2)
	v_rcp_f32_e32 v5, v2
	v_div_scale_f32 v11, s0, v7, v1, v7
	v_rcp_f32_e32 v8, v4
	s_delay_alu instid0(TRANS32_DEP_2) | instskip(NEXT) | instid1(TRANS32_DEP_1)
	v_fma_f32 v3, -v2, v5, 1.0
	v_fma_f32 v9, -v4, v8, 1.0
	s_delay_alu instid0(VALU_DEP_2) | instskip(SKIP_2) | instid1(VALU_DEP_1)
	v_fmac_f32_e32 v5, v3, v5
	v_mov_b32_e32 v3, 0
	v_div_scale_f32 v10, vcc_lo, v6, v1, v6
	v_dual_fmac_f32 v8, v9, v8 :: v_dual_mul_f32 v9, v10, v5
	s_delay_alu instid0(VALU_DEP_1) | instskip(NEXT) | instid1(VALU_DEP_1)
	v_fma_f32 v13, -v2, v9, v10
	v_dual_mul_f32 v12, v11, v8 :: v_dual_fmac_f32 v9, v13, v5
	s_delay_alu instid0(VALU_DEP_1) | instskip(NEXT) | instid1(VALU_DEP_2)
	v_fma_f32 v14, -v4, v12, v11
	v_fma_f32 v10, -v2, v9, v10
	s_delay_alu instid0(VALU_DEP_2)
	v_fmac_f32_e32 v12, v14, v8
	s_wait_alu 0xfffe
	v_lshl_or_b32 v2, s2, 8, v15
	s_wait_alu 0xfffd
	v_div_fmas_f32 v9, v10, v5, v9
	v_fma_f32 v11, -v4, v12, v11
	s_mov_b32 vcc_lo, s0
	v_lshlrev_b64_e32 v[4:5], 2, v[2:3]
	v_cmp_eq_u32_e64 s0, 0, v15
	s_wait_alu 0xfffe
	v_div_fmas_f32 v2, v11, v8, v12
	v_div_fixup_f32 v8, v9, v1, v6
	s_delay_alu instid0(VALU_DEP_4) | instskip(NEXT) | instid1(VALU_DEP_3)
	v_add_co_u32 v4, vcc_lo, s80, v4
	v_div_fixup_f32 v2, v2, v1, v7
	s_wait_alu 0xfffd
	v_add_co_ci_u32_e64 v5, null, s81, v5, vcc_lo
	s_cselect_b32 vcc_lo, -1, 0
	s_cmp_lg_u32 s1, 1
	s_wait_alu 0xfffe
	v_cndmask_b32_e32 v6, v6, v8, vcc_lo
	v_cndmask_b32_e32 v2, v7, v2, vcc_lo
	s_cselect_b32 s1, -1, 0
	s_clause 0x1
	global_store_b32 v[4:5], v6, off
	global_store_b32 v[4:5], v2, off offset:512
	s_and_b32 s0, s0, s1
	s_delay_alu instid0(SALU_CYCLE_1)
	s_and_saveexec_b32 s1, s0
	s_cbranch_execz .LBB23_33
; %bb.32:
	s_lshl_b64 s[0:1], s[2:3], 3
	s_delay_alu instid0(SALU_CYCLE_1)
	s_add_nc_u64 s[0:1], s[82:83], s[0:1]
	global_store_b64 v3, v[0:1], s[0:1]
.LBB23_33:
	s_nop 0
	s_sendmsg sendmsg(MSG_DEALLOC_VGPRS)
	s_endpgm
	.section	.rodata,"a",@progbits
	.p2align	6, 0x0
	.amdhsa_kernel _ZL18flash_attn_ext_vecILi256ELi1EL9ggml_type3ELS0_2ELb0EEvPKcS2_S2_S2_S2_PKiPfP15HIP_vector_typeIfLj2EEffffjfiS6_IjLj3EEiiiiiiiiiiiliiliiiiil
		.amdhsa_group_segment_fixed_size 2304
		.amdhsa_private_segment_fixed_size 652
		.amdhsa_kernarg_size 464
		.amdhsa_user_sgpr_count 2
		.amdhsa_user_sgpr_dispatch_ptr 0
		.amdhsa_user_sgpr_queue_ptr 0
		.amdhsa_user_sgpr_kernarg_segment_ptr 1
		.amdhsa_user_sgpr_dispatch_id 0
		.amdhsa_user_sgpr_private_segment_size 0
		.amdhsa_wavefront_size32 1
		.amdhsa_uses_dynamic_stack 0
		.amdhsa_enable_private_segment 1
		.amdhsa_system_sgpr_workgroup_id_x 1
		.amdhsa_system_sgpr_workgroup_id_y 1
		.amdhsa_system_sgpr_workgroup_id_z 1
		.amdhsa_system_sgpr_workgroup_info 0
		.amdhsa_system_vgpr_workitem_id 1
		.amdhsa_next_free_vgpr 256
		.amdhsa_next_free_sgpr 99
		.amdhsa_reserve_vcc 1
		.amdhsa_float_round_mode_32 0
		.amdhsa_float_round_mode_16_64 0
		.amdhsa_float_denorm_mode_32 3
		.amdhsa_float_denorm_mode_16_64 3
		.amdhsa_fp16_overflow 0
		.amdhsa_workgroup_processor_mode 1
		.amdhsa_memory_ordered 1
		.amdhsa_forward_progress 1
		.amdhsa_inst_pref_size 255
		.amdhsa_round_robin_scheduling 0
		.amdhsa_exception_fp_ieee_invalid_op 0
		.amdhsa_exception_fp_denorm_src 0
		.amdhsa_exception_fp_ieee_div_zero 0
		.amdhsa_exception_fp_ieee_overflow 0
		.amdhsa_exception_fp_ieee_underflow 0
		.amdhsa_exception_fp_ieee_inexact 0
		.amdhsa_exception_int_div_zero 0
	.end_amdhsa_kernel
	.section	.text._ZL18flash_attn_ext_vecILi256ELi1EL9ggml_type3ELS0_2ELb0EEvPKcS2_S2_S2_S2_PKiPfP15HIP_vector_typeIfLj2EEffffjfiS6_IjLj3EEiiiiiiiiiiiliiliiiiil,"axG",@progbits,_ZL18flash_attn_ext_vecILi256ELi1EL9ggml_type3ELS0_2ELb0EEvPKcS2_S2_S2_S2_PKiPfP15HIP_vector_typeIfLj2EEffffjfiS6_IjLj3EEiiiiiiiiiiiliiliiiiil,comdat
.Lfunc_end23:
	.size	_ZL18flash_attn_ext_vecILi256ELi1EL9ggml_type3ELS0_2ELb0EEvPKcS2_S2_S2_S2_PKiPfP15HIP_vector_typeIfLj2EEffffjfiS6_IjLj3EEiiiiiiiiiiiliiliiiiil, .Lfunc_end23-_ZL18flash_attn_ext_vecILi256ELi1EL9ggml_type3ELS0_2ELb0EEvPKcS2_S2_S2_S2_PKiPfP15HIP_vector_typeIfLj2EEffffjfiS6_IjLj3EEiiiiiiiiiiiliiliiiiil
                                        ; -- End function
	.set _ZL18flash_attn_ext_vecILi256ELi1EL9ggml_type3ELS0_2ELb0EEvPKcS2_S2_S2_S2_PKiPfP15HIP_vector_typeIfLj2EEffffjfiS6_IjLj3EEiiiiiiiiiiiliiliiiiil.num_vgpr, 256
	.set _ZL18flash_attn_ext_vecILi256ELi1EL9ggml_type3ELS0_2ELb0EEvPKcS2_S2_S2_S2_PKiPfP15HIP_vector_typeIfLj2EEffffjfiS6_IjLj3EEiiiiiiiiiiiliiliiiiil.num_agpr, 0
	.set _ZL18flash_attn_ext_vecILi256ELi1EL9ggml_type3ELS0_2ELb0EEvPKcS2_S2_S2_S2_PKiPfP15HIP_vector_typeIfLj2EEffffjfiS6_IjLj3EEiiiiiiiiiiiliiliiiiil.numbered_sgpr, 99
	.set _ZL18flash_attn_ext_vecILi256ELi1EL9ggml_type3ELS0_2ELb0EEvPKcS2_S2_S2_S2_PKiPfP15HIP_vector_typeIfLj2EEffffjfiS6_IjLj3EEiiiiiiiiiiiliiliiiiil.num_named_barrier, 0
	.set _ZL18flash_attn_ext_vecILi256ELi1EL9ggml_type3ELS0_2ELb0EEvPKcS2_S2_S2_S2_PKiPfP15HIP_vector_typeIfLj2EEffffjfiS6_IjLj3EEiiiiiiiiiiiliiliiiiil.private_seg_size, 652
	.set _ZL18flash_attn_ext_vecILi256ELi1EL9ggml_type3ELS0_2ELb0EEvPKcS2_S2_S2_S2_PKiPfP15HIP_vector_typeIfLj2EEffffjfiS6_IjLj3EEiiiiiiiiiiiliiliiiiil.uses_vcc, 1
	.set _ZL18flash_attn_ext_vecILi256ELi1EL9ggml_type3ELS0_2ELb0EEvPKcS2_S2_S2_S2_PKiPfP15HIP_vector_typeIfLj2EEffffjfiS6_IjLj3EEiiiiiiiiiiiliiliiiiil.uses_flat_scratch, 1
	.set _ZL18flash_attn_ext_vecILi256ELi1EL9ggml_type3ELS0_2ELb0EEvPKcS2_S2_S2_S2_PKiPfP15HIP_vector_typeIfLj2EEffffjfiS6_IjLj3EEiiiiiiiiiiiliiliiiiil.has_dyn_sized_stack, 0
	.set _ZL18flash_attn_ext_vecILi256ELi1EL9ggml_type3ELS0_2ELb0EEvPKcS2_S2_S2_S2_PKiPfP15HIP_vector_typeIfLj2EEffffjfiS6_IjLj3EEiiiiiiiiiiiliiliiiiil.has_recursion, 0
	.set _ZL18flash_attn_ext_vecILi256ELi1EL9ggml_type3ELS0_2ELb0EEvPKcS2_S2_S2_S2_PKiPfP15HIP_vector_typeIfLj2EEffffjfiS6_IjLj3EEiiiiiiiiiiiliiliiiiil.has_indirect_call, 0
	.section	.AMDGPU.csdata,"",@progbits
; Kernel info:
; codeLenInByte = 50484
; TotalNumSgprs: 101
; NumVgprs: 256
; ScratchSize: 652
; MemoryBound: 0
; FloatMode: 240
; IeeeMode: 1
; LDSByteSize: 2304 bytes/workgroup (compile time only)
; SGPRBlocks: 0
; VGPRBlocks: 31
; NumSGPRsForWavesPerEU: 101
; NumVGPRsForWavesPerEU: 256
; Occupancy: 5
; WaveLimiterHint : 0
; COMPUTE_PGM_RSRC2:SCRATCH_EN: 1
; COMPUTE_PGM_RSRC2:USER_SGPR: 2
; COMPUTE_PGM_RSRC2:TRAP_HANDLER: 0
; COMPUTE_PGM_RSRC2:TGID_X_EN: 1
; COMPUTE_PGM_RSRC2:TGID_Y_EN: 1
; COMPUTE_PGM_RSRC2:TGID_Z_EN: 1
; COMPUTE_PGM_RSRC2:TIDIG_COMP_CNT: 1
	.section	.text._ZL33flash_attn_stream_k_fixup_uniformILi256ELi1ELi1EEvPfPK15HIP_vector_typeIfLj2EEiiiiiiS1_IjLj3EES5_S5_,"axG",@progbits,_ZL33flash_attn_stream_k_fixup_uniformILi256ELi1ELi1EEvPfPK15HIP_vector_typeIfLj2EEiiiiiiS1_IjLj3EES5_S5_,comdat
	.globl	_ZL33flash_attn_stream_k_fixup_uniformILi256ELi1ELi1EEvPfPK15HIP_vector_typeIfLj2EEiiiiiiS1_IjLj3EES5_S5_ ; -- Begin function _ZL33flash_attn_stream_k_fixup_uniformILi256ELi1ELi1EEvPfPK15HIP_vector_typeIfLj2EEiiiiiiS1_IjLj3EES5_S5_
	.p2align	8
	.type	_ZL33flash_attn_stream_k_fixup_uniformILi256ELi1ELi1EEvPfPK15HIP_vector_typeIfLj2EEiiiiiiS1_IjLj3EES5_S5_,@function
_ZL33flash_attn_stream_k_fixup_uniformILi256ELi1ELi1EEvPfPK15HIP_vector_typeIfLj2EEiiiiiiS1_IjLj3EES5_S5_: ; @_ZL33flash_attn_stream_k_fixup_uniformILi256ELi1ELi1EEvPfPK15HIP_vector_typeIfLj2EEiiiiiiS1_IjLj3EES5_S5_
; %bb.0:
	s_clause 0x1
	s_load_b256 s[4:11], s[0:1], 0x1c
	s_load_b128 s[16:19], s[0:1], 0x3c
	s_wait_kmcnt 0x0
	s_mul_hi_u32 s2, s7, ttmp9
	s_and_b32 s7, ttmp7, 0xffff
	s_add_co_i32 s2, ttmp9, s2
	s_delay_alu instid0(SALU_CYCLE_1) | instskip(NEXT) | instid1(SALU_CYCLE_1)
	s_lshr_b32 s12, s2, s8
	s_mul_i32 s2, s12, s9
	s_load_b64 s[8:9], s[0:1], 0x10
	s_sub_co_i32 s2, ttmp9, s2
	s_delay_alu instid0(SALU_CYCLE_1) | instskip(SKIP_2) | instid1(SALU_CYCLE_1)
	s_mul_hi_u32 s3, s2, s10
	s_lshr_b32 s10, ttmp7, 16
	s_add_co_i32 s3, s2, s3
	s_lshr_b32 s11, s3, s11
	s_delay_alu instid0(SALU_CYCLE_1) | instskip(NEXT) | instid1(SALU_CYCLE_1)
	s_mul_i32 s3, s11, s16
	s_sub_co_i32 s2, s2, s3
	s_delay_alu instid0(SALU_CYCLE_1) | instskip(NEXT) | instid1(SALU_CYCLE_1)
	s_mul_hi_u32 s3, s2, s17
	s_add_co_i32 s3, s2, s3
	s_delay_alu instid0(SALU_CYCLE_1) | instskip(NEXT) | instid1(SALU_CYCLE_1)
	s_lshr_b32 s14, s3, s18
	s_mul_i32 s3, s14, s19
	s_delay_alu instid0(SALU_CYCLE_1) | instskip(NEXT) | instid1(SALU_CYCLE_1)
	s_sub_co_i32 s13, s2, s3
	s_add_co_i32 s13, s13, s7
	s_wait_kmcnt 0x0
	s_cmp_lt_i32 s13, s8
	s_cselect_b32 s2, -1, 0
	s_add_co_i32 s14, s14, s10
	s_delay_alu instid0(SALU_CYCLE_1) | instskip(SKIP_1) | instid1(SALU_CYCLE_1)
	s_cmp_lt_i32 s14, s5
	s_cselect_b32 s3, -1, 0
	s_and_b32 s2, s2, s3
	s_delay_alu instid0(SALU_CYCLE_1)
	s_and_not1_b32 vcc_lo, exec_lo, s2
	s_cbranch_vccnz .LBB24_6
; %bb.1:
	s_mul_i32 s12, s12, s8
	s_mul_i32 s11, s11, s5
	s_add_co_i32 s5, s13, s12
	s_load_b128 s[0:3], s[0:1], 0x0
	s_add_co_i32 s8, s14, s11
	s_mul_i32 s5, s5, s9
	s_delay_alu instid0(SALU_CYCLE_1)
	s_add_co_i32 s8, s8, s5
	s_mul_i32 s5, s6, ttmp9
	v_lshl_or_b32 v1, s8, 8, v0
	s_add_co_i32 s8, s7, s10
	s_add_co_i32 s9, s5, s6
	s_wait_alu 0xfffe
	s_add_co_i32 s6, s8, s9
	v_ashrrev_i32_e32 v2, 31, v1
	s_add_co_i32 s10, s9, -2
	s_delay_alu instid0(VALU_DEP_1) | instskip(SKIP_1) | instid1(VALU_DEP_1)
	v_lshlrev_b64_e32 v[1:2], 2, v[1:2]
	s_wait_kmcnt 0x0
	v_add_co_u32 v1, vcc_lo, s0, v1
	s_delay_alu instid0(VALU_DEP_1)
	v_add_co_ci_u32_e64 v2, null, s1, v2, vcc_lo
	s_add_co_i32 s0, s6, -1
	s_wait_alu 0xfffe
	s_ashr_i32 s1, s0, 31
	global_load_b32 v5, v[1:2], off
	s_wait_alu 0xfffe
	s_lshl_b64 s[0:1], s[0:1], 3
	s_cmp_lt_i32 s10, s5
	s_wait_alu 0xfffe
	s_add_nc_u64 s[0:1], s[2:3], s[0:1]
	s_load_b32 s7, s[0:1], 0x4
	s_cbranch_scc1 .LBB24_4
; %bb.2:
	s_load_b32 s0, s[0:1], 0x0
	v_lshl_or_b32 v0, s6, 8, v0
	s_lshl_b32 s10, s4, 2
	s_add_co_i32 s1, s9, -1
	s_ashr_i32 s11, s10, 31
	s_wait_kmcnt 0x0
	v_dual_mov_b32 v6, s7 :: v_dual_add_nc_u32 v3, 0xfffffe00, v0
	s_lshl_b64 s[10:11], s[10:11], 2
	s_add_co_i32 s4, s8, s4
	s_add_nc_u64 s[6:7], s[2:3], s[10:11]
.LBB24_3:                               ; =>This Inner Loop Header: Depth=1
	s_delay_alu instid0(VALU_DEP_1)
	v_ashrrev_i32_e32 v4, 31, v3
	s_wait_alu 0xfffe
	s_add_co_i32 s1, s1, -1
	v_mov_b32_e32 v10, v6
	s_wait_alu 0xfffe
	s_add_co_i32 s8, s1, s4
	s_wait_loadcnt 0x0
	v_mov_b32_e32 v9, v5
	v_lshlrev_b64_e32 v[7:8], 2, v[3:4]
	s_wait_alu 0xfffe
	s_ashr_i32 s9, s8, 31
	v_max_num_f32_e64 v4, s0, s0
	s_wait_alu 0xfffe
	s_lshl_b64 s[8:9], s[8:9], 3
	v_add_nc_u32_e32 v3, 0xffffff00, v3
	s_wait_alu 0xfffe
	s_add_nc_u64 s[8:9], s[2:3], s[8:9]
	v_add_co_u32 v7, vcc_lo, s6, v7
	s_wait_alu 0xfffd
	v_add_co_ci_u32_e64 v8, null, s7, v8, vcc_lo
	s_load_b64 s[8:9], s[8:9], 0x0
	v_readfirstlane_b32 s10, v4
	global_load_b32 v0, v[7:8], off
	s_wait_kmcnt 0x0
	v_max_num_f32_e64 v4, s8, s8
	s_delay_alu instid0(VALU_DEP_1) | instskip(SKIP_2) | instid1(SALU_CYCLE_2)
	v_readfirstlane_b32 s11, v4
	s_max_num_f32 s10, s10, s11
	s_wait_alu 0xfffe
	s_sub_f32 s0, s0, s10
	s_sub_f32 s8, s8, s10
	s_wait_alu 0xfffe
	s_delay_alu instid0(SALU_CYCLE_1) | instskip(NEXT) | instid1(SALU_CYCLE_1)
	s_mul_f32 s11, s0, 0x3fb8aa3b
	s_mul_f32 s12, s8, 0x3fb8aa3b
	s_wait_alu 0xfffe
	s_delay_alu instid0(SALU_CYCLE_1)
	s_xor_b32 s13, s11, 0x80000000
	s_rndne_f32 s14, s11
	s_fmamk_f32 s13, s0, 0x3fb8aa3b, s13
	s_cmp_nlt_f32 s0, 0xc2ce8ed0
	s_rndne_f32 s15, s12
	s_wait_alu 0xfffe
	s_sub_f32 s11, s11, s14
	s_fmamk_f32 s13, s0, 0x32a5705f, s13
	s_cvt_i32_f32 s14, s14
	s_cselect_b32 vcc_lo, -1, 0
	s_cmp_ngt_f32 s0, 0x42b17218
	s_wait_alu 0xfffe
	s_add_f32 s11, s11, s13
	s_sub_f32 s13, s12, s15
	s_wait_alu 0xfffe
	s_delay_alu instid0(SALU_CYCLE_1) | instskip(SKIP_1) | instid1(TRANS32_DEP_1)
	v_s_exp_f32 s11, s11
	s_wait_alu 0xf1ff
	v_ldexp_f32 v4, s11, s14
	s_cvt_i32_f32 s11, s15
	s_delay_alu instid0(VALU_DEP_1) | instskip(SKIP_3) | instid1(VALU_DEP_1)
	v_cndmask_b32_e32 v4, 0, v4, vcc_lo
	s_cselect_b32 vcc_lo, -1, 0
	s_cmp_ge_f32 s0, 0xc1a00000
	s_wait_alu 0xfffe
	v_cndmask_b32_e32 v4, 0x7f800000, v4, vcc_lo
	s_cselect_b32 vcc_lo, -1, 0
	s_xor_b32 s0, s12, 0x80000000
	s_cmp_nlt_f32 s8, 0xc2ce8ed0
	s_wait_alu 0xfffe
	s_fmamk_f32 s0, s8, 0x3fb8aa3b, s0
	s_wait_alu 0xfffe
	s_delay_alu instid0(SALU_CYCLE_2) | instskip(SKIP_1) | instid1(SALU_CYCLE_2)
	s_fmamk_f32 s0, s8, 0x32a5705f, s0
	s_wait_alu 0xfffe
	s_add_f32 s0, s13, s0
	s_wait_alu 0xfffe
	s_delay_alu instid0(SALU_CYCLE_2) | instskip(SKIP_1) | instid1(TRANS32_DEP_1)
	v_s_exp_f32 s0, s0
	s_wait_alu 0xf1ff
	v_ldexp_f32 v7, s0, s11
	s_cselect_b32 s0, -1, 0
	s_cmp_ngt_f32 s8, 0x42b17218
	s_wait_alu 0xfffe
	s_delay_alu instid0(VALU_DEP_1) | instskip(SKIP_3) | instid1(VALU_DEP_1)
	v_cndmask_b32_e64 v7, 0, v7, s0
	s_cselect_b32 s0, -1, 0
	s_cmp_ge_f32 s8, 0xc1a00000
	s_wait_alu 0xfffe
	v_cndmask_b32_e64 v7, 0x7f800000, v7, s0
	s_cselect_b32 s0, -1, 0
	s_cmp_le_i32 s1, s5
	s_wait_alu 0xfffe
	s_delay_alu instid0(VALU_DEP_1) | instskip(SKIP_2) | instid1(VALU_DEP_1)
	v_cndmask_b32_e64 v7, 0, v7, s0
	s_mov_b32 s0, s10
	s_wait_loadcnt 0x0
	v_dual_mul_f32 v5, v0, v7 :: v_dual_cndmask_b32 v4, 0, v4
	s_delay_alu instid0(VALU_DEP_1) | instskip(NEXT) | instid1(VALU_DEP_1)
	v_dual_mul_f32 v8, s9, v7 :: v_dual_fmac_f32 v5, v9, v4
	v_mov_b32_e32 v6, v8
	s_delay_alu instid0(VALU_DEP_1)
	v_fmac_f32_e32 v6, v10, v4
	s_cbranch_scc0 .LBB24_3
	s_branch .LBB24_5
.LBB24_4:
	s_wait_kmcnt 0x0
	v_mov_b32_e32 v6, s7
.LBB24_5:
	s_wait_loadcnt 0x0
	s_delay_alu instid0(VALU_DEP_1) | instskip(NEXT) | instid1(VALU_DEP_1)
	v_div_scale_f32 v0, null, v6, v6, v5
	v_rcp_f32_e32 v3, v0
	s_delay_alu instid0(TRANS32_DEP_1) | instskip(NEXT) | instid1(VALU_DEP_1)
	v_fma_f32 v4, -v0, v3, 1.0
	v_fmac_f32_e32 v3, v4, v3
	v_div_scale_f32 v4, vcc_lo, v5, v6, v5
	s_delay_alu instid0(VALU_DEP_1) | instskip(NEXT) | instid1(VALU_DEP_1)
	v_mul_f32_e32 v7, v4, v3
	v_fma_f32 v8, -v0, v7, v4
	s_delay_alu instid0(VALU_DEP_1) | instskip(NEXT) | instid1(VALU_DEP_1)
	v_fmac_f32_e32 v7, v8, v3
	v_fma_f32 v0, -v0, v7, v4
	s_wait_alu 0xfffd
	s_delay_alu instid0(VALU_DEP_1) | instskip(NEXT) | instid1(VALU_DEP_1)
	v_div_fmas_f32 v0, v0, v3, v7
	v_div_fixup_f32 v0, v0, v6, v5
	global_store_b32 v[1:2], v0, off
.LBB24_6:
	s_endpgm
	.section	.rodata,"a",@progbits
	.p2align	6, 0x0
	.amdhsa_kernel _ZL33flash_attn_stream_k_fixup_uniformILi256ELi1ELi1EEvPfPK15HIP_vector_typeIfLj2EEiiiiiiS1_IjLj3EES5_S5_
		.amdhsa_group_segment_fixed_size 0
		.amdhsa_private_segment_fixed_size 0
		.amdhsa_kernarg_size 76
		.amdhsa_user_sgpr_count 2
		.amdhsa_user_sgpr_dispatch_ptr 0
		.amdhsa_user_sgpr_queue_ptr 0
		.amdhsa_user_sgpr_kernarg_segment_ptr 1
		.amdhsa_user_sgpr_dispatch_id 0
		.amdhsa_user_sgpr_private_segment_size 0
		.amdhsa_wavefront_size32 1
		.amdhsa_uses_dynamic_stack 0
		.amdhsa_enable_private_segment 0
		.amdhsa_system_sgpr_workgroup_id_x 1
		.amdhsa_system_sgpr_workgroup_id_y 1
		.amdhsa_system_sgpr_workgroup_id_z 1
		.amdhsa_system_sgpr_workgroup_info 0
		.amdhsa_system_vgpr_workitem_id 0
		.amdhsa_next_free_vgpr 11
		.amdhsa_next_free_sgpr 20
		.amdhsa_reserve_vcc 1
		.amdhsa_float_round_mode_32 0
		.amdhsa_float_round_mode_16_64 0
		.amdhsa_float_denorm_mode_32 3
		.amdhsa_float_denorm_mode_16_64 3
		.amdhsa_fp16_overflow 0
		.amdhsa_workgroup_processor_mode 1
		.amdhsa_memory_ordered 1
		.amdhsa_forward_progress 1
		.amdhsa_inst_pref_size 9
		.amdhsa_round_robin_scheduling 0
		.amdhsa_exception_fp_ieee_invalid_op 0
		.amdhsa_exception_fp_denorm_src 0
		.amdhsa_exception_fp_ieee_div_zero 0
		.amdhsa_exception_fp_ieee_overflow 0
		.amdhsa_exception_fp_ieee_underflow 0
		.amdhsa_exception_fp_ieee_inexact 0
		.amdhsa_exception_int_div_zero 0
	.end_amdhsa_kernel
	.section	.text._ZL33flash_attn_stream_k_fixup_uniformILi256ELi1ELi1EEvPfPK15HIP_vector_typeIfLj2EEiiiiiiS1_IjLj3EES5_S5_,"axG",@progbits,_ZL33flash_attn_stream_k_fixup_uniformILi256ELi1ELi1EEvPfPK15HIP_vector_typeIfLj2EEiiiiiiS1_IjLj3EES5_S5_,comdat
.Lfunc_end24:
	.size	_ZL33flash_attn_stream_k_fixup_uniformILi256ELi1ELi1EEvPfPK15HIP_vector_typeIfLj2EEiiiiiiS1_IjLj3EES5_S5_, .Lfunc_end24-_ZL33flash_attn_stream_k_fixup_uniformILi256ELi1ELi1EEvPfPK15HIP_vector_typeIfLj2EEiiiiiiS1_IjLj3EES5_S5_
                                        ; -- End function
	.set _ZL33flash_attn_stream_k_fixup_uniformILi256ELi1ELi1EEvPfPK15HIP_vector_typeIfLj2EEiiiiiiS1_IjLj3EES5_S5_.num_vgpr, 11
	.set _ZL33flash_attn_stream_k_fixup_uniformILi256ELi1ELi1EEvPfPK15HIP_vector_typeIfLj2EEiiiiiiS1_IjLj3EES5_S5_.num_agpr, 0
	.set _ZL33flash_attn_stream_k_fixup_uniformILi256ELi1ELi1EEvPfPK15HIP_vector_typeIfLj2EEiiiiiiS1_IjLj3EES5_S5_.numbered_sgpr, 20
	.set _ZL33flash_attn_stream_k_fixup_uniformILi256ELi1ELi1EEvPfPK15HIP_vector_typeIfLj2EEiiiiiiS1_IjLj3EES5_S5_.num_named_barrier, 0
	.set _ZL33flash_attn_stream_k_fixup_uniformILi256ELi1ELi1EEvPfPK15HIP_vector_typeIfLj2EEiiiiiiS1_IjLj3EES5_S5_.private_seg_size, 0
	.set _ZL33flash_attn_stream_k_fixup_uniformILi256ELi1ELi1EEvPfPK15HIP_vector_typeIfLj2EEiiiiiiS1_IjLj3EES5_S5_.uses_vcc, 1
	.set _ZL33flash_attn_stream_k_fixup_uniformILi256ELi1ELi1EEvPfPK15HIP_vector_typeIfLj2EEiiiiiiS1_IjLj3EES5_S5_.uses_flat_scratch, 0
	.set _ZL33flash_attn_stream_k_fixup_uniformILi256ELi1ELi1EEvPfPK15HIP_vector_typeIfLj2EEiiiiiiS1_IjLj3EES5_S5_.has_dyn_sized_stack, 0
	.set _ZL33flash_attn_stream_k_fixup_uniformILi256ELi1ELi1EEvPfPK15HIP_vector_typeIfLj2EEiiiiiiS1_IjLj3EES5_S5_.has_recursion, 0
	.set _ZL33flash_attn_stream_k_fixup_uniformILi256ELi1ELi1EEvPfPK15HIP_vector_typeIfLj2EEiiiiiiS1_IjLj3EES5_S5_.has_indirect_call, 0
	.section	.AMDGPU.csdata,"",@progbits
; Kernel info:
; codeLenInByte = 1060
; TotalNumSgprs: 22
; NumVgprs: 11
; ScratchSize: 0
; MemoryBound: 0
; FloatMode: 240
; IeeeMode: 1
; LDSByteSize: 0 bytes/workgroup (compile time only)
; SGPRBlocks: 0
; VGPRBlocks: 1
; NumSGPRsForWavesPerEU: 22
; NumVGPRsForWavesPerEU: 11
; Occupancy: 16
; WaveLimiterHint : 0
; COMPUTE_PGM_RSRC2:SCRATCH_EN: 0
; COMPUTE_PGM_RSRC2:USER_SGPR: 2
; COMPUTE_PGM_RSRC2:TRAP_HANDLER: 0
; COMPUTE_PGM_RSRC2:TGID_X_EN: 1
; COMPUTE_PGM_RSRC2:TGID_Y_EN: 1
; COMPUTE_PGM_RSRC2:TGID_Z_EN: 1
; COMPUTE_PGM_RSRC2:TIDIG_COMP_CNT: 0
	.section	.text._ZL33flash_attn_stream_k_fixup_generalILi256ELi1ELi1EEvPfPK15HIP_vector_typeIfLj2EEiiiiS1_IjLj3EES5_S5_S5_,"axG",@progbits,_ZL33flash_attn_stream_k_fixup_generalILi256ELi1ELi1EEvPfPK15HIP_vector_typeIfLj2EEiiiiS1_IjLj3EES5_S5_S5_,comdat
	.globl	_ZL33flash_attn_stream_k_fixup_generalILi256ELi1ELi1EEvPfPK15HIP_vector_typeIfLj2EEiiiiS1_IjLj3EES5_S5_S5_ ; -- Begin function _ZL33flash_attn_stream_k_fixup_generalILi256ELi1ELi1EEvPfPK15HIP_vector_typeIfLj2EEiiiiS1_IjLj3EES5_S5_S5_
	.p2align	8
	.type	_ZL33flash_attn_stream_k_fixup_generalILi256ELi1ELi1EEvPfPK15HIP_vector_typeIfLj2EEiiiiS1_IjLj3EES5_S5_S5_,@function
_ZL33flash_attn_stream_k_fixup_generalILi256ELi1ELi1EEvPfPK15HIP_vector_typeIfLj2EEiiiiS1_IjLj3EES5_S5_S5_: ; @_ZL33flash_attn_stream_k_fixup_generalILi256ELi1ELi1EEvPfPK15HIP_vector_typeIfLj2EEiiiiS1_IjLj3EES5_S5_S5_
; %bb.0:
	s_clause 0x1
	s_load_b128 s[4:7], s[0:1], 0x10
	s_load_b32 s16, s[0:1], 0x50
	s_mov_b32 s2, ttmp9
	s_ashr_i32 s3, ttmp9, 31
	s_mov_b32 s17, 0
	s_delay_alu instid0(SALU_CYCLE_1) | instskip(SKIP_3) | instid1(SALU_CYCLE_1)
	s_mov_b32 s8, s17
	s_wait_kmcnt 0x0
	s_ashr_i32 s19, s7, 31
	s_mov_b32 s18, s7
	s_mul_u64 s[2:3], s[18:19], s[2:3]
	s_delay_alu instid0(SALU_CYCLE_1) | instskip(NEXT) | instid1(SALU_CYCLE_1)
	s_mov_b32 s9, s3
	s_cmp_lg_u64 s[8:9], 0
	s_cbranch_scc0 .LBB25_21
; %bb.1:
	s_add_nc_u64 s[8:9], s[16:17], 0
	s_mov_b32 s15, s17
	s_xor_b64 s[8:9], s[8:9], 0
	s_mov_b32 s23, s17
	s_cvt_f32_u32 s7, s8
	s_cvt_f32_u32 s10, s9
	s_sub_nc_u64 s[12:13], 0, s[8:9]
	s_delay_alu instid0(SALU_CYCLE_2) | instskip(NEXT) | instid1(SALU_CYCLE_3)
	s_fmamk_f32 s7, s10, 0x4f800000, s7
	v_s_rcp_f32 s7, s7
	s_delay_alu instid0(TRANS32_DEP_1) | instskip(SKIP_1) | instid1(SALU_CYCLE_2)
	s_mul_f32 s7, s7, 0x5f7ffffc
	s_wait_alu 0xfffe
	s_mul_f32 s10, s7, 0x2f800000
	s_delay_alu instid0(SALU_CYCLE_3) | instskip(NEXT) | instid1(SALU_CYCLE_3)
	s_trunc_f32 s10, s10
	s_fmamk_f32 s7, s10, 0xcf800000, s7
	s_cvt_u32_f32 s11, s10
	s_wait_alu 0xfffe
	s_delay_alu instid0(SALU_CYCLE_1) | instskip(NEXT) | instid1(SALU_CYCLE_3)
	s_cvt_u32_f32 s10, s7
	s_mul_u64 s[20:21], s[12:13], s[10:11]
	s_delay_alu instid0(SALU_CYCLE_1)
	s_mul_hi_u32 s25, s10, s21
	s_mul_i32 s24, s10, s21
	s_mul_hi_u32 s14, s10, s20
	s_mul_i32 s22, s11, s20
	s_add_nc_u64 s[14:15], s[14:15], s[24:25]
	s_mul_hi_u32 s7, s11, s20
	s_mul_hi_u32 s26, s11, s21
	s_add_co_u32 s14, s14, s22
	s_wait_alu 0xfffe
	s_add_co_ci_u32 s22, s15, s7
	s_mul_i32 s20, s11, s21
	s_add_co_ci_u32 s21, s26, 0
	s_delay_alu instid0(SALU_CYCLE_1)
	s_add_nc_u64 s[14:15], s[22:23], s[20:21]
	s_mov_b32 s21, s17
	s_add_co_u32 s10, s10, s14
	s_cselect_b32 s7, -1, 0
	s_wait_alu 0xfffe
	s_cmp_lg_u32 s7, 0
	s_add_co_ci_u32 s11, s11, s15
	s_mov_b32 s15, s17
	s_mul_u64 s[12:13], s[12:13], s[10:11]
	s_delay_alu instid0(SALU_CYCLE_1)
	s_mul_hi_u32 s23, s10, s13
	s_mul_i32 s22, s10, s13
	s_mul_hi_u32 s14, s10, s12
	s_mul_i32 s20, s11, s12
	s_add_nc_u64 s[14:15], s[14:15], s[22:23]
	s_mul_hi_u32 s7, s11, s12
	s_mul_hi_u32 s24, s11, s13
	s_mul_i32 s12, s11, s13
	s_add_co_u32 s13, s14, s20
	s_wait_alu 0xfffe
	s_add_co_ci_u32 s20, s15, s7
	s_add_co_ci_u32 s13, s24, 0
	s_mov_b32 s15, s17
	s_add_nc_u64 s[12:13], s[20:21], s[12:13]
	s_delay_alu instid0(SALU_CYCLE_1) | instskip(SKIP_1) | instid1(SALU_CYCLE_1)
	s_add_co_u32 s7, s10, s12
	s_cselect_b32 s10, -1, 0
	s_cmp_lg_u32 s10, 0
	s_add_co_ci_u32 s20, s11, s13
	s_ashr_i32 s10, s3, 31
	s_delay_alu instid0(SALU_CYCLE_1) | instskip(NEXT) | instid1(SALU_CYCLE_1)
	s_mov_b32 s11, s10
	s_add_nc_u64 s[12:13], s[2:3], s[10:11]
	s_delay_alu instid0(SALU_CYCLE_1) | instskip(NEXT) | instid1(SALU_CYCLE_1)
	s_xor_b64 s[12:13], s[12:13], s[10:11]
	s_mul_hi_u32 s23, s12, s20
	s_mul_i32 s22, s12, s20
	s_wait_alu 0xfffe
	s_mul_hi_u32 s14, s12, s7
	s_mul_hi_u32 s24, s13, s7
	s_mul_i32 s7, s13, s7
	s_add_nc_u64 s[14:15], s[14:15], s[22:23]
	s_mul_hi_u32 s3, s13, s20
	s_wait_alu 0xfffe
	s_add_co_u32 s7, s14, s7
	s_mul_i32 s22, s13, s20
	s_add_co_ci_u32 s20, s15, s24
	s_add_co_ci_u32 s23, s3, 0
	s_delay_alu instid0(SALU_CYCLE_1) | instskip(NEXT) | instid1(SALU_CYCLE_1)
	s_add_nc_u64 s[14:15], s[20:21], s[22:23]
	s_mul_u64 s[20:21], s[8:9], s[14:15]
	s_delay_alu instid0(SALU_CYCLE_1)
	s_sub_co_u32 s3, s12, s20
	s_cselect_b32 s7, -1, 0
	s_sub_co_i32 s12, s13, s21
	s_wait_alu 0xfffe
	s_cmp_lg_u32 s7, 0
	s_sub_co_ci_u32 s12, s12, s9
	s_sub_co_u32 s20, s3, s8
	s_cselect_b32 s22, -1, 0
	s_delay_alu instid0(SALU_CYCLE_1) | instskip(SKIP_2) | instid1(SALU_CYCLE_1)
	s_cmp_lg_u32 s22, 0
	s_add_nc_u64 s[22:23], s[14:15], 1
	s_sub_co_ci_u32 s12, s12, 0
	s_cmp_ge_u32 s12, s9
	s_cselect_b32 s24, -1, 0
	s_cmp_ge_u32 s20, s8
	s_cselect_b32 s20, -1, 0
	s_cmp_eq_u32 s12, s9
	s_cselect_b32 s12, s20, s24
	s_add_nc_u64 s[24:25], s[14:15], 2
	s_cmp_lg_u32 s12, 0
	s_cselect_b32 s12, s24, s22
	s_cselect_b32 s20, s25, s23
	s_cmp_lg_u32 s7, 0
	s_sub_co_ci_u32 s7, s13, s21
	s_wait_alu 0xfffe
	s_cmp_ge_u32 s7, s9
	s_cselect_b32 s13, -1, 0
	s_cmp_ge_u32 s3, s8
	s_cselect_b32 s3, -1, 0
	s_cmp_eq_u32 s7, s9
	s_cselect_b32 s3, s3, s13
	s_delay_alu instid0(SALU_CYCLE_1) | instskip(SKIP_4) | instid1(SALU_CYCLE_1)
	s_cmp_lg_u32 s3, 0
	s_mov_b32 s3, s17
	s_cselect_b32 s9, s20, s15
	s_cselect_b32 s8, s12, s14
	s_xor_b64 s[10:11], s[10:11], 0
	s_xor_b64 s[8:9], s[8:9], s[10:11]
	s_delay_alu instid0(SALU_CYCLE_1)
	s_sub_nc_u64 s[20:21], s[8:9], s[10:11]
	s_and_not1_b32 vcc_lo, exec_lo, s3
	s_cbranch_vccnz .LBB25_3
.LBB25_2:
	v_cvt_f32_u32_e32 v1, s16
	s_sub_co_i32 s7, 0, s16
	s_delay_alu instid0(VALU_DEP_1) | instskip(NEXT) | instid1(TRANS32_DEP_1)
	v_rcp_iflag_f32_e32 v1, v1
	v_mul_f32_e32 v1, 0x4f7ffffe, v1
	s_delay_alu instid0(VALU_DEP_1) | instskip(NEXT) | instid1(VALU_DEP_1)
	v_cvt_u32_f32_e32 v1, v1
	v_readfirstlane_b32 s3, v1
	s_wait_alu 0xfffe
	s_mul_i32 s7, s7, s3
	s_wait_alu 0xfffe
	s_mul_hi_u32 s7, s3, s7
	s_wait_alu 0xfffe
	s_add_co_i32 s3, s3, s7
	s_delay_alu instid0(SALU_CYCLE_1) | instskip(NEXT) | instid1(SALU_CYCLE_1)
	s_mul_hi_u32 s3, s2, s3
	s_mul_i32 s7, s3, s16
	s_wait_alu 0xfffe
	s_sub_co_i32 s2, s2, s7
	s_add_co_i32 s7, s3, 1
	s_sub_co_i32 s8, s2, s16
	s_cmp_ge_u32 s2, s16
	s_wait_alu 0xfffe
	s_cselect_b32 s3, s7, s3
	s_cselect_b32 s2, s8, s2
	s_add_co_i32 s7, s3, 1
	s_cmp_ge_u32 s2, s16
	s_wait_alu 0xfffe
	s_cselect_b32 s20, s7, s3
.LBB25_3:
	s_add_co_i32 s2, ttmp9, 1
	s_mov_b32 s8, 0
	s_ashr_i32 s3, s2, 31
	s_delay_alu instid0(SALU_CYCLE_1) | instskip(NEXT) | instid1(SALU_CYCLE_1)
	s_mul_u64 s[2:3], s[18:19], s[2:3]
	s_mov_b32 s9, s3
	s_delay_alu instid0(SALU_CYCLE_1)
	s_cmp_lg_u64 s[8:9], 0
	s_cbranch_scc0 .LBB25_22
; %bb.4:
	s_add_nc_u64 s[10:11], s[16:17], 0
	s_mov_b32 s23, s8
	s_xor_b64 s[10:11], s[10:11], 0
	s_mov_b32 s27, s8
	s_cvt_f32_u32 s7, s10
	s_cvt_f32_u32 s9, s11
	s_sub_nc_u64 s[14:15], 0, s[10:11]
	s_wait_alu 0xfffe
	s_delay_alu instid0(SALU_CYCLE_1) | instskip(SKIP_1) | instid1(SALU_CYCLE_2)
	s_fmamk_f32 s7, s9, 0x4f800000, s7
	s_wait_alu 0xfffe
	v_s_rcp_f32 s7, s7
	s_delay_alu instid0(TRANS32_DEP_1) | instskip(SKIP_1) | instid1(SALU_CYCLE_2)
	s_mul_f32 s7, s7, 0x5f7ffffc
	s_wait_alu 0xfffe
	s_mul_f32 s9, s7, 0x2f800000
	s_delay_alu instid0(SALU_CYCLE_3) | instskip(NEXT) | instid1(SALU_CYCLE_3)
	s_trunc_f32 s9, s9
	s_fmamk_f32 s7, s9, 0xcf800000, s7
	s_cvt_u32_f32 s13, s9
	s_wait_alu 0xfffe
	s_delay_alu instid0(SALU_CYCLE_1) | instskip(NEXT) | instid1(SALU_CYCLE_3)
	s_cvt_u32_f32 s12, s7
	s_mul_u64 s[24:25], s[14:15], s[12:13]
	s_delay_alu instid0(SALU_CYCLE_1)
	s_mul_hi_u32 s29, s12, s25
	s_mul_i32 s28, s12, s25
	s_mul_hi_u32 s22, s12, s24
	s_mul_i32 s9, s13, s24
	s_add_nc_u64 s[22:23], s[22:23], s[28:29]
	s_mul_hi_u32 s7, s13, s24
	s_mul_hi_u32 s21, s13, s25
	s_add_co_u32 s9, s22, s9
	s_wait_alu 0xfffe
	s_add_co_ci_u32 s26, s23, s7
	s_mul_i32 s24, s13, s25
	s_add_co_ci_u32 s25, s21, 0
	s_delay_alu instid0(SALU_CYCLE_1)
	s_add_nc_u64 s[22:23], s[26:27], s[24:25]
	s_mov_b32 s25, s8
	s_add_co_u32 s12, s12, s22
	s_cselect_b32 s7, -1, 0
	s_wait_alu 0xfffe
	s_cmp_lg_u32 s7, 0
	s_add_co_ci_u32 s13, s13, s23
	s_mov_b32 s23, s8
	s_mul_u64 s[14:15], s[14:15], s[12:13]
	s_delay_alu instid0(SALU_CYCLE_1)
	s_mul_hi_u32 s27, s12, s15
	s_mul_i32 s26, s12, s15
	s_mul_hi_u32 s22, s12, s14
	s_mul_i32 s9, s13, s14
	s_add_nc_u64 s[22:23], s[22:23], s[26:27]
	s_mul_hi_u32 s7, s13, s14
	s_mul_hi_u32 s21, s13, s15
	s_add_co_u32 s9, s22, s9
	s_wait_alu 0xfffe
	s_add_co_ci_u32 s24, s23, s7
	s_mul_i32 s14, s13, s15
	s_add_co_ci_u32 s15, s21, 0
	s_mov_b32 s23, s8
	s_add_nc_u64 s[14:15], s[24:25], s[14:15]
	s_delay_alu instid0(SALU_CYCLE_1) | instskip(SKIP_1) | instid1(SALU_CYCLE_1)
	s_add_co_u32 s7, s12, s14
	s_cselect_b32 s9, -1, 0
	s_cmp_lg_u32 s9, 0
	s_add_co_ci_u32 s9, s13, s15
	s_ashr_i32 s12, s3, 31
	s_delay_alu instid0(SALU_CYCLE_1) | instskip(NEXT) | instid1(SALU_CYCLE_1)
	s_mov_b32 s13, s12
	s_add_nc_u64 s[14:15], s[2:3], s[12:13]
	s_delay_alu instid0(SALU_CYCLE_1) | instskip(NEXT) | instid1(SALU_CYCLE_1)
	s_xor_b64 s[14:15], s[14:15], s[12:13]
	s_mul_hi_u32 s27, s14, s9
	s_mul_i32 s26, s14, s9
	s_wait_alu 0xfffe
	s_mul_hi_u32 s22, s14, s7
	s_mul_hi_u32 s21, s15, s7
	s_mul_i32 s7, s15, s7
	s_add_nc_u64 s[22:23], s[22:23], s[26:27]
	s_mul_hi_u32 s3, s15, s9
	s_wait_alu 0xfffe
	s_add_co_u32 s7, s22, s7
	s_add_co_ci_u32 s24, s23, s21
	s_mul_i32 s26, s15, s9
	s_add_co_ci_u32 s27, s3, 0
	s_delay_alu instid0(SALU_CYCLE_1) | instskip(NEXT) | instid1(SALU_CYCLE_1)
	s_add_nc_u64 s[22:23], s[24:25], s[26:27]
	s_mul_u64 s[24:25], s[10:11], s[22:23]
	s_add_nc_u64 s[26:27], s[22:23], 1
	s_sub_co_u32 s3, s14, s24
	s_cselect_b32 s7, -1, 0
	s_sub_co_i32 s9, s15, s25
	s_wait_alu 0xfffe
	s_cmp_lg_u32 s7, 0
	s_add_nc_u64 s[28:29], s[22:23], 2
	s_sub_co_ci_u32 s9, s9, s11
	s_sub_co_u32 s14, s3, s10
	s_cselect_b32 s21, -1, 0
	s_delay_alu instid0(SALU_CYCLE_1) | instskip(SKIP_1) | instid1(SALU_CYCLE_1)
	s_cmp_lg_u32 s21, 0
	s_sub_co_ci_u32 s9, s9, 0
	s_cmp_ge_u32 s9, s11
	s_cselect_b32 s21, -1, 0
	s_cmp_ge_u32 s14, s10
	s_cselect_b32 s14, -1, 0
	s_cmp_eq_u32 s9, s11
	s_cselect_b32 s9, s14, s21
	s_delay_alu instid0(SALU_CYCLE_1)
	s_cmp_lg_u32 s9, 0
	s_cselect_b32 s9, s28, s26
	s_cselect_b32 s14, s29, s27
	s_cmp_lg_u32 s7, 0
	s_sub_co_ci_u32 s7, s15, s25
	s_wait_alu 0xfffe
	s_cmp_ge_u32 s7, s11
	s_cselect_b32 s15, -1, 0
	s_cmp_ge_u32 s3, s10
	s_cselect_b32 s3, -1, 0
	s_cmp_eq_u32 s7, s11
	s_cselect_b32 s3, s3, s15
	s_delay_alu instid0(SALU_CYCLE_1) | instskip(SKIP_3) | instid1(SALU_CYCLE_1)
	s_cmp_lg_u32 s3, 0
	s_cselect_b32 s11, s14, s23
	s_cselect_b32 s10, s9, s22
	s_xor_b64 s[12:13], s[12:13], 0
	s_xor_b64 s[10:11], s[10:11], s[12:13]
	s_delay_alu instid0(SALU_CYCLE_1)
	s_sub_nc_u64 s[10:11], s[10:11], s[12:13]
	s_load_b96 s[12:14], s[0:1], 0x44
	s_and_not1_b32 vcc_lo, exec_lo, s8
	s_cbranch_vccnz .LBB25_6
.LBB25_5:
	v_cvt_f32_u32_e32 v1, s16
	s_sub_co_i32 s7, 0, s16
	s_delay_alu instid0(VALU_DEP_1) | instskip(NEXT) | instid1(TRANS32_DEP_1)
	v_rcp_iflag_f32_e32 v1, v1
	v_mul_f32_e32 v1, 0x4f7ffffe, v1
	s_delay_alu instid0(VALU_DEP_1) | instskip(NEXT) | instid1(VALU_DEP_1)
	v_cvt_u32_f32_e32 v1, v1
	v_readfirstlane_b32 s3, v1
	s_wait_alu 0xfffe
	s_mul_i32 s7, s7, s3
	s_wait_alu 0xfffe
	s_mul_hi_u32 s7, s3, s7
	s_wait_alu 0xfffe
	s_add_co_i32 s3, s3, s7
	s_delay_alu instid0(SALU_CYCLE_1) | instskip(NEXT) | instid1(SALU_CYCLE_1)
	s_mul_hi_u32 s3, s2, s3
	s_mul_i32 s7, s3, s16
	s_wait_alu 0xfffe
	s_sub_co_i32 s2, s2, s7
	s_add_co_i32 s7, s3, 1
	s_sub_co_i32 s8, s2, s16
	s_cmp_ge_u32 s2, s16
	s_wait_alu 0xfffe
	s_cselect_b32 s3, s7, s3
	s_cselect_b32 s2, s8, s2
	s_add_co_i32 s7, s3, 1
	s_cmp_ge_u32 s2, s16
	s_wait_alu 0xfffe
	s_cselect_b32 s10, s7, s3
.LBB25_6:
	s_mov_b32 s21, 0
	s_wait_kmcnt 0x0
	s_mov_b32 s22, s12
	s_mov_b32 s23, s21
	s_cmp_eq_u32 s20, s10
	s_mul_u64 s[2:3], s[20:21], s[22:23]
	s_cselect_b32 s7, -1, 0
	s_add_co_i32 s2, s3, s20
	s_mov_b32 s11, s21
	s_lshr_b32 s12, s2, s13
	s_mul_u64 s[2:3], s[10:11], s[22:23]
	s_mul_i32 s2, s12, s14
	s_delay_alu instid0(SALU_CYCLE_1) | instskip(SKIP_2) | instid1(SALU_CYCLE_1)
	s_cmp_eq_u32 s2, s20
	s_cselect_b32 s2, -1, 0
	s_add_co_i32 s3, s3, s10
	s_lshr_b32 s3, s3, s13
	s_delay_alu instid0(SALU_CYCLE_1)
	s_cmp_eq_u32 s12, s3
	s_mul_i32 s3, s3, s14
	s_cselect_b32 s8, -1, 0
	s_cmp_lg_u32 s3, s10
	s_cselect_b32 s3, -1, 0
	s_wait_alu 0xfffe
	s_or_b32 s2, s7, s2
	s_and_b32 s3, s8, s3
	s_delay_alu instid0(SALU_CYCLE_1) | instskip(NEXT) | instid1(SALU_CYCLE_1)
	s_or_b32 s2, s2, s3
	s_and_b32 vcc_lo, exec_lo, s2
	s_cbranch_vccnz .LBB25_24
; %bb.7:
	s_load_b256 s[24:31], s[0:1], 0x20
	s_mov_b32 s3, s21
	s_and_b32 s15, ttmp7, 0xffff
	s_wait_kmcnt 0x0
	s_mov_b32 s2, s24
	s_delay_alu instid0(SALU_CYCLE_1) | instskip(NEXT) | instid1(SALU_CYCLE_1)
	s_mul_u64 s[2:3], s[20:21], s[2:3]
	s_add_co_i32 s2, s3, s20
	s_delay_alu instid0(SALU_CYCLE_1) | instskip(SKIP_4) | instid1(SALU_CYCLE_1)
	s_lshr_b32 s3, s2, s25
	s_load_b32 s2, s[0:1], 0x40
	s_mul_i32 s7, s3, s26
	s_wait_alu 0xfffe
	s_sub_co_i32 s8, s20, s7
	s_mul_hi_u32 s7, s8, s27
	s_wait_alu 0xfffe
	s_add_co_i32 s7, s8, s7
	s_wait_alu 0xfffe
	s_lshr_b32 s7, s7, s28
	s_wait_alu 0xfffe
	s_mul_i32 s9, s7, s29
	s_delay_alu instid0(SALU_CYCLE_1) | instskip(NEXT) | instid1(SALU_CYCLE_1)
	s_sub_co_i32 s8, s8, s9
	s_mul_hi_u32 s9, s8, s30
	s_delay_alu instid0(SALU_CYCLE_1) | instskip(NEXT) | instid1(SALU_CYCLE_1)
	s_add_co_i32 s9, s8, s9
	s_lshr_b32 s24, s9, s31
	s_mov_b32 s9, s21
	s_wait_kmcnt 0x0
	s_mul_i32 s2, s24, s2
	s_delay_alu instid0(SALU_CYCLE_1) | instskip(NEXT) | instid1(SALU_CYCLE_1)
	s_sub_co_i32 s8, s8, s2
	s_mul_u64 s[10:11], s[8:9], s[22:23]
	s_delay_alu instid0(SALU_CYCLE_1) | instskip(NEXT) | instid1(SALU_CYCLE_1)
	s_add_co_i32 s2, s8, s11
	s_lshr_b32 s21, s2, s13
	s_lshr_b32 s2, ttmp7, 16
	s_add_co_i32 s21, s21, s15
	s_delay_alu instid0(SALU_CYCLE_1) | instskip(SKIP_2) | instid1(SALU_CYCLE_1)
	s_cmp_lt_i32 s21, s4
	s_cselect_b32 s8, -1, 0
	s_add_co_i32 s24, s24, s2
	s_cmp_lt_i32 s24, s6
	s_cselect_b32 s9, -1, 0
	s_delay_alu instid0(SALU_CYCLE_1) | instskip(NEXT) | instid1(SALU_CYCLE_1)
	s_and_b32 s8, s8, s9
	s_and_not1_b32 vcc_lo, exec_lo, s8
	s_cbranch_vccnz .LBB25_24
; %bb.8:
	s_mul_i32 s3, s3, s4
	s_load_b128 s[8:11], s[0:1], 0x0
	s_mul_i32 s7, s7, s6
	s_add_co_i32 s0, s21, s3
	s_wait_alu 0xfffe
	s_add_co_i32 s1, s24, s7
	s_mul_i32 s0, s0, s5
	s_add_co_i32 s15, s15, s2
	s_add_co_i32 s1, s1, s0
	v_cvt_f32_u32_e32 v4, s16
	v_lshl_or_b32 v1, s1, 8, v0
	s_add_nc_u64 s[0:1], s[16:17], 0
	s_wait_alu 0xfffe
	s_add_co_i32 s34, ttmp9, -1
	s_xor_b64 s[6:7], s[0:1], 0
	s_add_co_i32 s0, s15, ttmp9
	v_ashrrev_i32_e32 v2, 31, v1
	s_wait_alu 0xfffe
	s_cvt_f32_u32 s1, s6
	s_cvt_f32_u32 s3, s7
	v_rcp_iflag_f32_e32 v4, v4
	s_sub_nc_u64 s[30:31], 0, s[6:7]
	v_lshlrev_b64_e32 v[1:2], 2, v[1:2]
	s_wait_alu 0xfffe
	s_fmamk_f32 s2, s3, 0x4f800000, s1
	s_ashr_i32 s1, s0, 31
	s_wait_alu 0xfffe
	s_lshl_b64 s[0:1], s[0:1], 3
	v_s_rcp_f32 s2, s2
	s_wait_kmcnt 0x0
	v_add_co_u32 v1, vcc_lo, s8, v1
	s_delay_alu instid0(VALU_DEP_1)
	v_add_co_ci_u32_e64 v2, null, s9, v2, vcc_lo
	s_wait_alu 0xfffe
	s_add_nc_u64 s[0:1], s[10:11], s[0:1]
	s_mov_b32 s8, 0
	s_load_b64 s[28:29], s[0:1], 0x0
	global_load_b32 v3, v[1:2], off
	s_mul_f32 s2, s2, 0x5f7ffffc
	v_mul_f32_e32 v4, 0x4f7ffffe, v4
	s_lshl_b32 s0, s16, 2
	s_wait_alu 0xfffe
	s_mul_f32 s1, s2, 0x2f800000
	s_wait_alu 0xfffe
	s_delay_alu instid0(SALU_CYCLE_2)
	s_trunc_f32 s3, s1
	s_mov_b32 s1, s8
	s_wait_alu 0xfffe
	s_lshl_b64 s[0:1], s[0:1], 2
	s_fmamk_f32 s2, s3, 0xcf800000, s2
	s_cvt_u32_f32 s27, s3
	s_wait_alu 0xfffe
	s_add_nc_u64 s[24:25], s[10:11], s[0:1]
	s_cvt_u32_f32 s26, s2
	s_wait_kmcnt 0x0
	v_mov_b32_e32 v5, s29
	v_cvt_u32_f32_e32 v4, v4
.LBB25_9:                               ; =>This Inner Loop Header: Depth=1
	s_wait_alu 0xfffe
	s_ashr_i32 s35, s34, 31
	s_mov_b32 s2, -1
	s_wait_alu 0xfffe
	s_mul_u64 s[0:1], s[34:35], s[18:19]
                                        ; implicit-def: $sgpr38_sgpr39
	s_wait_alu 0xfffe
	s_mov_b32 s9, s1
	s_wait_alu 0xfffe
	s_cmp_lg_u64 s[8:9], 0
	s_cbranch_scc0 .LBB25_11
; %bb.10:                               ;   in Loop: Header=BB25_9 Depth=1
	s_mul_u64 s[2:3], s[30:31], s[26:27]
	s_mov_b32 s37, s8
	s_wait_alu 0xfffe
	s_mul_hi_u32 s5, s26, s3
	s_mul_i32 s4, s26, s3
	s_mul_hi_u32 s36, s26, s2
	s_mul_hi_u32 s9, s27, s2
	s_wait_alu 0xfffe
	s_add_nc_u64 s[4:5], s[36:37], s[4:5]
	s_mul_i32 s2, s27, s2
	s_mul_hi_u32 s17, s27, s3
	s_wait_alu 0xfffe
	s_add_co_u32 s2, s4, s2
	s_add_co_ci_u32 s2, s5, s9
	s_add_co_ci_u32 s5, s17, 0
	s_mul_i32 s4, s27, s3
	s_mov_b32 s3, s8
	s_mov_b32 s39, s8
	s_wait_alu 0xfffe
	s_add_nc_u64 s[2:3], s[2:3], s[4:5]
	s_wait_alu 0xfffe
	s_add_co_u32 s2, s26, s2
	s_cselect_b32 s4, -1, 0
	s_wait_alu 0xfffe
	s_cmp_lg_u32 s4, 0
	s_add_co_ci_u32 s3, s27, s3
	s_wait_alu 0xfffe
	s_mul_u64 s[4:5], s[30:31], s[2:3]
	s_wait_alu 0xfffe
	s_mul_hi_u32 s37, s2, s5
	s_mul_i32 s36, s2, s5
	s_mul_hi_u32 s38, s2, s4
	s_mul_hi_u32 s9, s3, s4
	s_mul_i32 s4, s3, s4
	s_wait_alu 0xfffe
	s_add_nc_u64 s[36:37], s[38:39], s[36:37]
	s_mul_hi_u32 s17, s3, s5
	s_wait_alu 0xfffe
	s_add_co_u32 s4, s36, s4
	s_add_co_ci_u32 s4, s37, s9
	s_add_co_ci_u32 s37, s17, 0
	s_mul_i32 s36, s3, s5
	s_mov_b32 s5, s8
	s_wait_alu 0xfffe
	s_add_nc_u64 s[4:5], s[4:5], s[36:37]
	s_mov_b32 s37, s8
	s_wait_alu 0xfffe
	s_add_co_u32 s9, s2, s4
	s_cselect_b32 s2, -1, 0
	s_wait_alu 0xfffe
	s_cmp_lg_u32 s2, 0
	s_add_co_ci_u32 s17, s3, s5
	s_ashr_i32 s2, s1, 31
	s_wait_alu 0xfffe
	s_mov_b32 s3, s2
	s_wait_alu 0xfffe
	s_add_nc_u64 s[4:5], s[0:1], s[2:3]
	s_wait_alu 0xfffe
	s_xor_b64 s[4:5], s[4:5], s[2:3]
	s_wait_alu 0xfffe
	s_mul_hi_u32 s39, s4, s17
	s_mul_i32 s38, s4, s17
	s_mul_hi_u32 s36, s4, s9
	s_mul_i32 s21, s5, s9
	s_wait_alu 0xfffe
	s_add_nc_u64 s[36:37], s[36:37], s[38:39]
	s_mul_hi_u32 s9, s5, s9
	s_mul_hi_u32 s1, s5, s17
	s_wait_alu 0xfffe
	s_add_co_u32 s21, s36, s21
	s_add_co_ci_u32 s36, s37, s9
	s_add_co_ci_u32 s39, s1, 0
	s_mul_i32 s38, s5, s17
	s_mov_b32 s37, s8
	s_wait_alu 0xfffe
	s_add_nc_u64 s[36:37], s[36:37], s[38:39]
	s_wait_alu 0xfffe
	s_mul_u64 s[38:39], s[6:7], s[36:37]
	s_add_nc_u64 s[40:41], s[36:37], 1
	s_sub_co_u32 s1, s4, s38
	s_cselect_b32 s4, -1, 0
	s_sub_co_i32 s9, s5, s39
	s_wait_alu 0xfffe
	s_cmp_lg_u32 s4, 0
	s_add_nc_u64 s[42:43], s[36:37], 2
	s_sub_co_ci_u32 s9, s9, s7
	s_sub_co_u32 s17, s1, s6
	s_cselect_b32 s21, -1, 0
	s_delay_alu instid0(SALU_CYCLE_1)
	s_cmp_lg_u32 s21, 0
	s_wait_alu 0xfffe
	s_sub_co_ci_u32 s9, s9, 0
	s_wait_alu 0xfffe
	s_cmp_ge_u32 s9, s7
	s_cselect_b32 s21, -1, 0
	s_cmp_ge_u32 s17, s6
	s_cselect_b32 s17, -1, 0
	s_cmp_eq_u32 s9, s7
	s_wait_alu 0xfffe
	s_cselect_b32 s9, s17, s21
	s_wait_alu 0xfffe
	s_cmp_lg_u32 s9, 0
	s_cselect_b32 s9, s42, s40
	s_cselect_b32 s17, s43, s41
	s_cmp_lg_u32 s4, 0
	s_sub_co_ci_u32 s4, s5, s39
	s_wait_alu 0xfffe
	s_cmp_ge_u32 s4, s7
	s_cselect_b32 s5, -1, 0
	s_cmp_ge_u32 s1, s6
	s_cselect_b32 s1, -1, 0
	s_cmp_eq_u32 s4, s7
	s_wait_alu 0xfffe
	s_cselect_b32 s1, s1, s5
	s_wait_alu 0xfffe
	s_cmp_lg_u32 s1, 0
	s_cselect_b32 s5, s17, s37
	s_cselect_b32 s4, s9, s36
	s_xor_b64 s[2:3], s[2:3], 0
	s_wait_alu 0xfffe
	s_xor_b64 s[4:5], s[4:5], s[2:3]
	s_wait_alu 0xfffe
	s_sub_nc_u64 s[38:39], s[4:5], s[2:3]
	s_mov_b32 s2, 0
.LBB25_11:                              ;   in Loop: Header=BB25_9 Depth=1
	s_wait_alu 0xfffe
	s_and_not1_b32 vcc_lo, exec_lo, s2
	s_wait_alu 0xfffe
	s_cbranch_vccnz .LBB25_13
; %bb.12:                               ;   in Loop: Header=BB25_9 Depth=1
	v_readfirstlane_b32 s1, v4
	s_sub_co_i32 s2, 0, s16
	s_wait_alu 0xfffe
	s_mul_i32 s2, s2, s1
	s_wait_alu 0xfffe
	s_mul_hi_u32 s2, s1, s2
	s_wait_alu 0xfffe
	s_add_co_i32 s1, s1, s2
	s_wait_alu 0xfffe
	s_mul_hi_u32 s1, s0, s1
	s_wait_alu 0xfffe
	s_mul_i32 s2, s1, s16
	s_wait_alu 0xfffe
	s_sub_co_i32 s0, s0, s2
	s_add_co_i32 s2, s1, 1
	s_wait_alu 0xfffe
	s_sub_co_i32 s3, s0, s16
	s_cmp_ge_u32 s0, s16
	s_cselect_b32 s1, s2, s1
	s_wait_alu 0xfffe
	s_cselect_b32 s0, s3, s0
	s_add_co_i32 s2, s1, 1
	s_wait_alu 0xfffe
	s_cmp_ge_u32 s0, s16
	s_cselect_b32 s38, s2, s1
.LBB25_13:                              ;   in Loop: Header=BB25_9 Depth=1
	v_readfirstlane_b32 s9, v0
	s_cmp_lg_u32 s20, s38
	s_mov_b32 s0, -1
                                        ; implicit-def: $sgpr21
                                        ; implicit-def: $vgpr6
                                        ; implicit-def: $vgpr7
                                        ; implicit-def: $sgpr17
                                        ; implicit-def: $sgpr29
	s_cbranch_scc1 .LBB25_16
; %bb.14:                               ;   in Loop: Header=BB25_9 Depth=1
	s_wait_alu 0xfffe
	s_and_not1_b32 vcc_lo, exec_lo, s0
	s_wait_alu 0xfffe
	s_cbranch_vccz .LBB25_19
.LBB25_15:                              ;   in Loop: Header=BB25_9 Depth=1
	s_and_not1_b32 vcc_lo, exec_lo, s21
	s_wait_alu 0xfffe
	s_cbranch_vccnz .LBB25_20
	s_branch .LBB25_23
.LBB25_16:                              ;   in Loop: Header=BB25_9 Depth=1
	s_add_co_i32 s40, s34, s15
	s_mov_b32 s1, s8
	s_wait_alu 0xfffe
	s_add_co_i32 s0, s40, s16
	v_max_num_f32_e64 v6, s28, s28
	s_wait_alu 0xfffe
	s_lshl_b64 s[0:1], s[0:1], 3
	s_mov_b32 s39, s8
	s_wait_alu 0xfffe
	s_add_nc_u64 s[0:1], s[10:11], s[0:1]
	s_mul_u64 s[42:43], s[38:39], s[22:23]
	s_load_b64 s[36:37], s[0:1], 0x0
	v_readfirstlane_b32 s0, v6
	s_mov_b32 s29, s20
	s_wait_kmcnt 0x0
	v_max_num_f32_e64 v7, s36, s36
	s_delay_alu instid0(VALU_DEP_1) | instskip(SKIP_2) | instid1(SALU_CYCLE_2)
	v_readfirstlane_b32 s1, v7
	s_max_num_f32 s9, s0, s1
	s_wait_alu 0xfffe
	s_sub_f32 s33, s28, s9
	s_sub_f32 s35, s36, s9
	s_wait_alu 0xfffe
	s_delay_alu instid0(SALU_CYCLE_1)
	s_cmp_nlt_f32 s33, 0xc2ce8ed0
	s_cselect_b32 s0, -1, 0
	s_cmp_ngt_f32 s33, 0x42b17218
	s_cselect_b32 s1, -1, 0
	s_cmp_ge_f32 s33, 0xc1a00000
	s_cselect_b32 s2, -1, 0
	s_cmp_nlt_f32 s35, 0xc2ce8ed0
	s_cselect_b32 s3, -1, 0
	s_cmp_ngt_f32 s35, 0x42b17218
	s_cselect_b32 s4, -1, 0
	s_cmp_ge_f32 s35, 0xc1a00000
	s_cselect_b32 s5, -1, 0
	s_add_co_i32 s17, s43, s38
	s_wait_alu 0xfffe
	s_lshr_b32 s17, s17, s13
	s_wait_alu 0xfffe
	s_mul_i32 s21, s17, s14
	s_delay_alu instid0(SALU_CYCLE_1)
	s_cmp_eq_u32 s21, s38
	s_cselect_b32 s21, -1, 0
	s_cmp_lt_u32 s17, s12
	s_cselect_b32 s17, -1, 0
	s_wait_alu 0xfffe
	s_or_b32 s17, s17, s21
	s_mov_b32 s21, -1
	s_wait_alu 0xfffe
	s_and_b32 vcc_lo, exec_lo, s17
	s_mov_b32 s17, s34
	s_wait_alu 0xfffe
	s_cbranch_vccnz .LBB25_18
; %bb.17:                               ;   in Loop: Header=BB25_9 Depth=1
	s_add_co_i32 s17, s34, -1
	s_mov_b32 s21, 0
	s_mov_b32 s29, s38
.LBB25_18:                              ;   in Loop: Header=BB25_9 Depth=1
	v_lshl_or_b32 v6, s40, 8, v0
	s_mul_f32 s36, s35, 0x3fb8aa3b
	s_mul_f32 s38, s33, 0x3fb8aa3b
	s_wait_alu 0xfffe
	s_delay_alu instid0(SALU_CYCLE_1)
	s_xor_b32 s39, s36, 0x80000000
	v_ashrrev_i32_e32 v7, 31, v6
	s_rndne_f32 s40, s36
	s_fmamk_f32 s39, s35, 0x3fb8aa3b, s39
	s_xor_b32 s41, s38, 0x80000000
	s_rndne_f32 s42, s38
	v_lshlrev_b64_e32 v[6:7], 2, v[6:7]
	s_wait_alu 0xfffe
	s_sub_f32 s36, s36, s40
	s_fmamk_f32 s35, s35, 0x32a5705f, s39
	s_fmamk_f32 s39, s33, 0x3fb8aa3b, s41
	s_sub_f32 s38, s38, s42
	v_add_co_u32 v6, vcc_lo, s24, v6
	s_wait_alu 0xfffd
	v_add_co_ci_u32_e64 v7, null, s25, v7, vcc_lo
	s_wait_alu 0xfffe
	s_add_f32 s35, s36, s35
	s_fmamk_f32 s33, s33, 0x32a5705f, s39
	s_cvt_i32_f32 s36, s40
	global_load_b32 v6, v[6:7], off
	s_wait_alu 0xfffe
	v_s_exp_f32 s35, s35
	s_add_f32 s33, s38, s33
	s_wait_alu 0xfffe
	s_delay_alu instid0(SALU_CYCLE_2) | instskip(NEXT) | instid1(TRANS32_DEP_2)
	v_s_exp_f32 s33, s33
	v_ldexp_f32 v7, s35, s36
	s_cvt_i32_f32 s35, s42
	s_wait_alu 0xf1fe
	s_delay_alu instid0(TRANS32_DEP_1) | instid1(SALU_CYCLE_2)
	v_ldexp_f32 v8, s33, s35
	s_delay_alu instid0(VALU_DEP_2) | instskip(NEXT) | instid1(VALU_DEP_2)
	v_cndmask_b32_e64 v7, 0, v7, s3
	v_cndmask_b32_e64 v8, 0, v8, s0
	s_delay_alu instid0(VALU_DEP_2) | instskip(NEXT) | instid1(VALU_DEP_2)
	v_cndmask_b32_e64 v7, 0x7f800000, v7, s4
	v_cndmask_b32_e64 v8, 0x7f800000, v8, s1
	;; [unrolled: 3-line block ×3, first 2 shown]
	s_wait_loadcnt 0x0
	s_delay_alu instid0(VALU_DEP_2) | instskip(SKIP_1) | instid1(VALU_DEP_1)
	v_mul_f32_e32 v6, v6, v7
	v_mul_f32_e32 v7, s37, v7
	v_fmac_f32_e32 v7, v5, v8
	s_delay_alu instid0(VALU_DEP_3)
	v_fmac_f32_e32 v6, v3, v8
	s_cbranch_execnz .LBB25_15
.LBB25_19:                              ;   in Loop: Header=BB25_9 Depth=1
	s_wait_loadcnt 0x0
	v_dual_mov_b32 v7, v5 :: v_dual_mov_b32 v6, v3
	s_add_co_i32 s17, s34, -1
	s_mov_b32 s29, s20
	s_mov_b32 s9, s28
	s_cbranch_execz .LBB25_23
.LBB25_20:                              ;   in Loop: Header=BB25_9 Depth=1
	v_mov_b32_e32 v5, v7
	s_wait_loadcnt 0x0
	v_mov_b32_e32 v3, v6
	s_wait_alu 0xfffe
	s_mov_b32 s20, s29
	s_mov_b32 s34, s17
	;; [unrolled: 1-line block ×3, first 2 shown]
	s_branch .LBB25_9
.LBB25_21:
                                        ; implicit-def: $sgpr20_sgpr21
	s_branch .LBB25_2
.LBB25_22:
                                        ; implicit-def: $sgpr10_sgpr11
	s_load_b96 s[12:14], s[0:1], 0x44
	s_branch .LBB25_5
.LBB25_23:
	v_div_scale_f32 v0, null, v7, v7, v6
	s_wait_loadcnt 0x0
	s_delay_alu instid0(VALU_DEP_1) | instskip(NEXT) | instid1(TRANS32_DEP_1)
	v_rcp_f32_e32 v3, v0
	v_fma_f32 v4, -v0, v3, 1.0
	s_delay_alu instid0(VALU_DEP_1) | instskip(SKIP_1) | instid1(VALU_DEP_1)
	v_fmac_f32_e32 v3, v4, v3
	v_div_scale_f32 v4, vcc_lo, v6, v7, v6
	v_mul_f32_e32 v5, v4, v3
	s_delay_alu instid0(VALU_DEP_1) | instskip(NEXT) | instid1(VALU_DEP_1)
	v_fma_f32 v8, -v0, v5, v4
	v_fmac_f32_e32 v5, v8, v3
	s_delay_alu instid0(VALU_DEP_1) | instskip(SKIP_1) | instid1(VALU_DEP_1)
	v_fma_f32 v0, -v0, v5, v4
	s_wait_alu 0xfffd
	v_div_fmas_f32 v0, v0, v3, v5
	s_delay_alu instid0(VALU_DEP_1)
	v_div_fixup_f32 v0, v0, v7, v6
	global_store_b32 v[1:2], v0, off
.LBB25_24:
	s_endpgm
	.section	.rodata,"a",@progbits
	.p2align	6, 0x0
	.amdhsa_kernel _ZL33flash_attn_stream_k_fixup_generalILi256ELi1ELi1EEvPfPK15HIP_vector_typeIfLj2EEiiiiS1_IjLj3EES5_S5_S5_
		.amdhsa_group_segment_fixed_size 0
		.amdhsa_private_segment_fixed_size 0
		.amdhsa_kernarg_size 336
		.amdhsa_user_sgpr_count 2
		.amdhsa_user_sgpr_dispatch_ptr 0
		.amdhsa_user_sgpr_queue_ptr 0
		.amdhsa_user_sgpr_kernarg_segment_ptr 1
		.amdhsa_user_sgpr_dispatch_id 0
		.amdhsa_user_sgpr_private_segment_size 0
		.amdhsa_wavefront_size32 1
		.amdhsa_uses_dynamic_stack 0
		.amdhsa_enable_private_segment 0
		.amdhsa_system_sgpr_workgroup_id_x 1
		.amdhsa_system_sgpr_workgroup_id_y 1
		.amdhsa_system_sgpr_workgroup_id_z 1
		.amdhsa_system_sgpr_workgroup_info 0
		.amdhsa_system_vgpr_workitem_id 0
		.amdhsa_next_free_vgpr 9
		.amdhsa_next_free_sgpr 44
		.amdhsa_reserve_vcc 1
		.amdhsa_float_round_mode_32 0
		.amdhsa_float_round_mode_16_64 0
		.amdhsa_float_denorm_mode_32 3
		.amdhsa_float_denorm_mode_16_64 3
		.amdhsa_fp16_overflow 0
		.amdhsa_workgroup_processor_mode 1
		.amdhsa_memory_ordered 1
		.amdhsa_forward_progress 1
		.amdhsa_inst_pref_size 28
		.amdhsa_round_robin_scheduling 0
		.amdhsa_exception_fp_ieee_invalid_op 0
		.amdhsa_exception_fp_denorm_src 0
		.amdhsa_exception_fp_ieee_div_zero 0
		.amdhsa_exception_fp_ieee_overflow 0
		.amdhsa_exception_fp_ieee_underflow 0
		.amdhsa_exception_fp_ieee_inexact 0
		.amdhsa_exception_int_div_zero 0
	.end_amdhsa_kernel
	.section	.text._ZL33flash_attn_stream_k_fixup_generalILi256ELi1ELi1EEvPfPK15HIP_vector_typeIfLj2EEiiiiS1_IjLj3EES5_S5_S5_,"axG",@progbits,_ZL33flash_attn_stream_k_fixup_generalILi256ELi1ELi1EEvPfPK15HIP_vector_typeIfLj2EEiiiiS1_IjLj3EES5_S5_S5_,comdat
.Lfunc_end25:
	.size	_ZL33flash_attn_stream_k_fixup_generalILi256ELi1ELi1EEvPfPK15HIP_vector_typeIfLj2EEiiiiS1_IjLj3EES5_S5_S5_, .Lfunc_end25-_ZL33flash_attn_stream_k_fixup_generalILi256ELi1ELi1EEvPfPK15HIP_vector_typeIfLj2EEiiiiS1_IjLj3EES5_S5_S5_
                                        ; -- End function
	.set _ZL33flash_attn_stream_k_fixup_generalILi256ELi1ELi1EEvPfPK15HIP_vector_typeIfLj2EEiiiiS1_IjLj3EES5_S5_S5_.num_vgpr, 9
	.set _ZL33flash_attn_stream_k_fixup_generalILi256ELi1ELi1EEvPfPK15HIP_vector_typeIfLj2EEiiiiS1_IjLj3EES5_S5_S5_.num_agpr, 0
	.set _ZL33flash_attn_stream_k_fixup_generalILi256ELi1ELi1EEvPfPK15HIP_vector_typeIfLj2EEiiiiS1_IjLj3EES5_S5_S5_.numbered_sgpr, 44
	.set _ZL33flash_attn_stream_k_fixup_generalILi256ELi1ELi1EEvPfPK15HIP_vector_typeIfLj2EEiiiiS1_IjLj3EES5_S5_S5_.num_named_barrier, 0
	.set _ZL33flash_attn_stream_k_fixup_generalILi256ELi1ELi1EEvPfPK15HIP_vector_typeIfLj2EEiiiiS1_IjLj3EES5_S5_S5_.private_seg_size, 0
	.set _ZL33flash_attn_stream_k_fixup_generalILi256ELi1ELi1EEvPfPK15HIP_vector_typeIfLj2EEiiiiS1_IjLj3EES5_S5_S5_.uses_vcc, 1
	.set _ZL33flash_attn_stream_k_fixup_generalILi256ELi1ELi1EEvPfPK15HIP_vector_typeIfLj2EEiiiiS1_IjLj3EES5_S5_S5_.uses_flat_scratch, 0
	.set _ZL33flash_attn_stream_k_fixup_generalILi256ELi1ELi1EEvPfPK15HIP_vector_typeIfLj2EEiiiiS1_IjLj3EES5_S5_S5_.has_dyn_sized_stack, 0
	.set _ZL33flash_attn_stream_k_fixup_generalILi256ELi1ELi1EEvPfPK15HIP_vector_typeIfLj2EEiiiiS1_IjLj3EES5_S5_S5_.has_recursion, 0
	.set _ZL33flash_attn_stream_k_fixup_generalILi256ELi1ELi1EEvPfPK15HIP_vector_typeIfLj2EEiiiiS1_IjLj3EES5_S5_S5_.has_indirect_call, 0
	.section	.AMDGPU.csdata,"",@progbits
; Kernel info:
; codeLenInByte = 3512
; TotalNumSgprs: 46
; NumVgprs: 9
; ScratchSize: 0
; MemoryBound: 0
; FloatMode: 240
; IeeeMode: 1
; LDSByteSize: 0 bytes/workgroup (compile time only)
; SGPRBlocks: 0
; VGPRBlocks: 1
; NumSGPRsForWavesPerEU: 46
; NumVGPRsForWavesPerEU: 9
; Occupancy: 16
; WaveLimiterHint : 0
; COMPUTE_PGM_RSRC2:SCRATCH_EN: 0
; COMPUTE_PGM_RSRC2:USER_SGPR: 2
; COMPUTE_PGM_RSRC2:TRAP_HANDLER: 0
; COMPUTE_PGM_RSRC2:TGID_X_EN: 1
; COMPUTE_PGM_RSRC2:TGID_Y_EN: 1
; COMPUTE_PGM_RSRC2:TGID_Z_EN: 1
; COMPUTE_PGM_RSRC2:TIDIG_COMP_CNT: 0
	.section	.text._ZL26flash_attn_combine_resultsILi256EEvPKfPK15HIP_vector_typeIfLj2EEPfi,"axG",@progbits,_ZL26flash_attn_combine_resultsILi256EEvPKfPK15HIP_vector_typeIfLj2EEPfi,comdat
	.globl	_ZL26flash_attn_combine_resultsILi256EEvPKfPK15HIP_vector_typeIfLj2EEPfi ; -- Begin function _ZL26flash_attn_combine_resultsILi256EEvPKfPK15HIP_vector_typeIfLj2EEPfi
	.p2align	8
	.type	_ZL26flash_attn_combine_resultsILi256EEvPKfPK15HIP_vector_typeIfLj2EEPfi,@function
_ZL26flash_attn_combine_resultsILi256EEvPKfPK15HIP_vector_typeIfLj2EEPfi: ; @_ZL26flash_attn_combine_resultsILi256EEvPKfPK15HIP_vector_typeIfLj2EEPfi
; %bb.0:
	s_clause 0x2
	s_load_b64 s[2:3], s[0:1], 0x20
	s_load_b96 s[8:10], s[0:1], 0x10
	s_load_b128 s[4:7], s[0:1], 0x0
	s_lshr_b32 s0, ttmp7, 16
	v_lshlrev_b32_e32 v5, 2, v0
	s_mov_b32 s12, exec_lo
	s_wait_kmcnt 0x0
	s_mul_i32 s0, s2, s0
	s_and_b32 s2, ttmp7, 0xffff
	s_add_co_i32 s0, s0, ttmp9
	s_lshl_b32 s1, s10, 1
	s_mul_i32 s11, s0, s3
	s_delay_alu instid0(SALU_CYCLE_1) | instskip(NEXT) | instid1(SALU_CYCLE_1)
	s_add_co_i32 s11, s11, s2
	s_mul_i32 s2, s11, s10
	v_cmpx_gt_i32_e64 s1, v0
	s_cbranch_execz .LBB26_3
; %bb.1:
	s_ashr_i32 s3, s2, 31
	v_dual_mov_b32 v4, v0 :: v_dual_add_nc_u32 v3, 0, v5
	s_lshl_b64 s[14:15], s[2:3], 3
	s_mov_b32 s3, 0
	s_add_nc_u64 s[6:7], s[6:7], s[14:15]
	s_delay_alu instid0(SALU_CYCLE_1)
	v_add_co_u32 v1, s0, s6, v5
	s_wait_alu 0xf1ff
	v_add_co_ci_u32_e64 v2, null, s7, 0, s0
.LBB26_2:                               ; =>This Inner Loop Header: Depth=1
	global_load_b32 v6, v[1:2], off
	v_add_nc_u32_e32 v4, 0x100, v4
	v_add_co_u32 v1, vcc_lo, 0x400, v1
	s_wait_alu 0xfffd
	v_add_co_ci_u32_e64 v2, null, 0, v2, vcc_lo
	s_delay_alu instid0(VALU_DEP_3)
	v_cmp_le_i32_e64 s0, s1, v4
	s_or_b32 s3, s0, s3
	s_wait_loadcnt 0x0
	ds_store_b32 v3, v6
	v_add_nc_u32_e32 v3, 0x400, v3
	s_and_not1_b32 exec_lo, exec_lo, s3
	s_cbranch_execnz .LBB26_2
.LBB26_3:
	s_or_b32 exec_lo, exec_lo, s12
	v_mov_b32_e32 v1, 0
	s_wait_dscnt 0x0
	s_barrier_signal -1
	s_barrier_wait -1
	global_inv scope:SCOPE_SE
	ds_load_b32 v6, v1
	s_cmp_lt_i32 s10, 2
	s_cbranch_scc1 .LBB26_11
; %bb.4:
	s_add_co_i32 s1, s10, -2
	s_add_co_i32 s0, s10, -1
	s_wait_alu 0xfffe
	s_cmp_lt_u32 s1, 7
	s_cbranch_scc1 .LBB26_8
; %bb.5:
	s_mov_b32 s3, 0
	s_add_co_i32 s1, 0, 8
	s_and_b32 s6, s0, -8
.LBB26_6:                               ; =>This Inner Loop Header: Depth=1
	s_wait_alu 0xfffe
	v_mov_b32_e32 v9, s1
	s_mov_b32 s7, s3
	s_add_co_i32 s3, s3, 8
	s_add_co_i32 s1, s1, 64
	s_cmp_eq_u32 s6, s3
	ds_load_2addr_b32 v[1:2], v9 offset1:2
	ds_load_2addr_b32 v[3:4], v9 offset0:4 offset1:6
	ds_load_2addr_b32 v[7:8], v9 offset0:8 offset1:10
	;; [unrolled: 1-line block ×3, first 2 shown]
	s_wait_dscnt 0x3
	v_max3_num_f32 v1, v6, v1, v2
	s_wait_dscnt 0x2
	s_delay_alu instid0(VALU_DEP_1) | instskip(SKIP_1) | instid1(VALU_DEP_1)
	v_max3_num_f32 v1, v1, v3, v4
	s_wait_dscnt 0x1
	v_max3_num_f32 v1, v1, v7, v8
	s_wait_dscnt 0x0
	s_delay_alu instid0(VALU_DEP_1)
	v_max3_num_f32 v6, v1, v9, v10
	s_cbranch_scc0 .LBB26_6
; %bb.7:
	s_wait_alu 0xfffe
	s_add_co_i32 s1, s7, 9
	s_and_b32 s0, s0, 7
	s_wait_alu 0xfffe
	s_cmp_eq_u32 s0, 0
	s_cbranch_scc0 .LBB26_9
	s_branch .LBB26_11
.LBB26_8:
	s_mov_b32 s1, 1
	s_and_b32 s0, s0, 7
	s_wait_alu 0xfffe
	s_cmp_eq_u32 s0, 0
	s_cbranch_scc1 .LBB26_11
.LBB26_9:
	s_lshl_b32 s1, s1, 3
	s_wait_alu 0xfffe
	s_add_co_i32 s1, s1, 0
.LBB26_10:                              ; =>This Inner Loop Header: Depth=1
	s_wait_dscnt 0x0
	s_wait_alu 0xfffe
	s_delay_alu instid0(VALU_DEP_1)
	v_dual_mov_b32 v1, s1 :: v_dual_max_num_f32 v2, v6, v6
	s_add_co_i32 s0, s0, -1
	s_add_co_i32 s1, s1, 8
	s_wait_alu 0xfffe
	s_cmp_lg_u32 s0, 0
	ds_load_b32 v1, v1
	s_wait_dscnt 0x0
	v_max_num_f32_e32 v1, v1, v1
	s_delay_alu instid0(VALU_DEP_1)
	v_max_num_f32_e32 v6, v2, v1
	s_cbranch_scc1 .LBB26_10
.LBB26_11:
	s_cmp_lt_i32 s10, 1
	s_cbranch_scc1 .LBB26_16
; %bb.12:
	s_lshl_b32 s0, s2, 8
	s_wait_alu 0xfffe
	s_ashr_i32 s1, s0, 31
	s_wait_alu 0xfffe
	s_lshl_b64 s[0:1], s[0:1], 2
	s_cmp_lt_u32 s10, 8
	s_wait_alu 0xfffe
	s_add_nc_u64 s[6:7], s[4:5], s[0:1]
	s_cbranch_scc1 .LBB26_17
; %bb.13:
	v_or_b32_e32 v1, 0x700, v0
	v_dual_mov_b32 v4, 0 :: v_dual_mov_b32 v7, 0
	v_mov_b32_e32 v8, 0
	s_and_b32 s12, s10, 0x7ffffff8
	s_mov_b32 s13, 0
	s_mov_b32 s14, 0
.LBB26_14:                              ; =>This Inner Loop Header: Depth=1
	v_dual_mov_b32 v2, v4 :: v_dual_add_nc_u32 v3, 0xfffff900, v1
	v_mov_b32_e32 v21, s14
	s_add_co_i32 s13, s13, 8
	s_add_co_i32 s14, s14, 64
	s_delay_alu instid0(VALU_DEP_2) | instskip(SKIP_3) | instid1(VALU_DEP_2)
	v_lshlrev_b64_e32 v[9:10], 2, v[3:4]
	v_add_nc_u32_e32 v3, 0xfffffa00, v1
	v_lshlrev_b64_e32 v[11:12], 2, v[1:2]
	s_cmp_eq_u32 s12, s13
	v_lshlrev_b64_e32 v[13:14], 2, v[3:4]
	s_wait_alu 0xfffe
	v_add_co_u32 v9, vcc_lo, s6, v9
	s_wait_alu 0xfffd
	v_add_co_ci_u32_e64 v10, null, s7, v10, vcc_lo
	v_add_nc_u32_e32 v3, 0xfffffb00, v1
	v_add_co_u32 v13, vcc_lo, s6, v13
	global_load_b32 v25, v[9:10], off
	s_wait_alu 0xfffd
	v_add_co_ci_u32_e64 v14, null, s7, v14, vcc_lo
	v_lshlrev_b64_e32 v[15:16], 2, v[3:4]
	v_add_nc_u32_e32 v3, 0xfffffc00, v1
	global_load_b32 v26, v[13:14], off
	v_add_co_u32 v13, vcc_lo, s6, v15
	s_wait_alu 0xfffd
	v_add_co_ci_u32_e64 v14, null, s7, v16, vcc_lo
	v_lshlrev_b64_e32 v[9:10], 2, v[3:4]
	v_add_nc_u32_e32 v3, 0xfffffd00, v1
	global_load_b32 v27, v[13:14], off
	v_add_co_u32 v9, vcc_lo, s6, v9
	v_lshlrev_b64_e32 v[15:16], 2, v[3:4]
	v_add_nc_u32_e32 v3, 0xfffffe00, v1
	s_wait_alu 0xfffd
	v_add_co_ci_u32_e64 v10, null, s7, v10, vcc_lo
	global_load_b32 v28, v[9:10], off
	v_lshlrev_b64_e32 v[13:14], 2, v[3:4]
	v_add_nc_u32_e32 v3, 0xffffff00, v1
	v_add_co_u32 v9, vcc_lo, s6, v15
	s_wait_alu 0xfffd
	v_add_co_ci_u32_e64 v10, null, s7, v16, vcc_lo
	s_delay_alu instid0(VALU_DEP_4)
	v_add_co_u32 v13, vcc_lo, s6, v13
	v_lshlrev_b64_e32 v[2:3], 2, v[3:4]
	s_wait_alu 0xfffd
	v_add_co_ci_u32_e64 v14, null, s7, v14, vcc_lo
	s_clause 0x1
	global_load_b32 v29, v[9:10], off
	global_load_b32 v30, v[13:14], off
	v_add_co_u32 v2, vcc_lo, s6, v2
	s_wait_alu 0xfffd
	v_add_co_ci_u32_e64 v3, null, s7, v3, vcc_lo
	v_add_co_u32 v9, vcc_lo, s6, v11
	s_wait_alu 0xfffd
	v_add_co_ci_u32_e64 v10, null, s7, v12, vcc_lo
	s_clause 0x1
	global_load_b32 v2, v[2:3], off
	global_load_b32 v3, v[9:10], off
	ds_load_2addr_b64 v[9:12], v21 offset1:1
	ds_load_2addr_b64 v[13:16], v21 offset0:2 offset1:3
	ds_load_2addr_b64 v[17:20], v21 offset0:4 offset1:5
	;; [unrolled: 1-line block ×3, first 2 shown]
	v_add_nc_u32_e32 v1, 0x800, v1
	s_wait_dscnt 0x1
	v_sub_f32_e32 v19, v19, v6
	v_sub_f32_e32 v11, v11, v6
	s_wait_dscnt 0x0
	v_sub_f32_e32 v23, v23, v6
	s_delay_alu instid0(VALU_DEP_3) | instskip(NEXT) | instid1(VALU_DEP_3)
	v_dual_sub_f32 v13, v13, v6 :: v_dual_mul_f32 v36, 0x3fb8aa3b, v19
	v_mul_f32_e32 v32, 0x3fb8aa3b, v11
	s_delay_alu instid0(VALU_DEP_2) | instskip(SKIP_1) | instid1(VALU_DEP_4)
	v_dual_mul_f32 v38, 0x3fb8aa3b, v23 :: v_dual_mul_f32 v33, 0x3fb8aa3b, v13
	v_cmp_ngt_f32_e32 vcc_lo, 0xc2ce8ed0, v13
	v_xor_b32_e32 v49, 0x80000000, v36
	s_delay_alu instid0(VALU_DEP_4) | instskip(SKIP_4) | instid1(VALU_DEP_4)
	v_xor_b32_e32 v41, 0x80000000, v32
	v_rndne_f32_e32 v42, v32
	v_xor_b32_e32 v43, 0x80000000, v33
	v_rndne_f32_e32 v44, v33
	v_rndne_f32_e32 v50, v36
	v_dual_fmac_f32 v41, 0x3fb8aa3b, v11 :: v_dual_sub_f32 v32, v32, v42
	s_delay_alu instid0(VALU_DEP_4) | instskip(NEXT) | instid1(VALU_DEP_4)
	v_fmac_f32_e32 v43, 0x3fb8aa3b, v13
	v_sub_f32_e32 v33, v33, v44
	v_cvt_i32_f32_e32 v42, v42
	s_delay_alu instid0(VALU_DEP_4) | instskip(SKIP_3) | instid1(VALU_DEP_4)
	v_fmac_f32_e32 v41, 0x32a5705f, v11
	v_sub_f32_e32 v15, v15, v6
	v_fmac_f32_e32 v43, 0x32a5705f, v13
	v_cvt_i32_f32_e32 v44, v44
	v_dual_fmac_f32 v49, 0x3fb8aa3b, v19 :: v_dual_add_f32 v32, v32, v41
	s_delay_alu instid0(VALU_DEP_4) | instskip(NEXT) | instid1(VALU_DEP_4)
	v_dual_sub_f32 v9, v9, v6 :: v_dual_mul_f32 v34, 0x3fb8aa3b, v15
	v_add_f32_e32 v33, v33, v43
	v_cmp_ngt_f32_e64 s0, 0xc2ce8ed0, v15
	s_delay_alu instid0(VALU_DEP_4) | instskip(NEXT) | instid1(VALU_DEP_3)
	v_exp_f32_e32 v32, v32
	v_mul_f32_e32 v31, 0x3fb8aa3b, v9
	v_xor_b32_e32 v45, 0x80000000, v34
	v_rndne_f32_e32 v46, v34
	v_exp_f32_e32 v33, v33
	v_cmp_ngt_f32_e64 s5, 0xc2ce8ed0, v9
	v_xor_b32_e32 v39, 0x80000000, v31
	v_rndne_f32_e32 v40, v31
	v_dual_fmac_f32 v45, 0x3fb8aa3b, v15 :: v_dual_sub_f32 v34, v34, v46
	s_delay_alu instid0(TRANS32_DEP_2) | instskip(NEXT) | instid1(VALU_DEP_4)
	v_ldexp_f32 v32, v32, v42
	v_fmac_f32_e32 v39, 0x3fb8aa3b, v9
	s_delay_alu instid0(VALU_DEP_4)
	v_sub_f32_e32 v31, v31, v40
	v_cvt_i32_f32_e32 v40, v40
	v_fmac_f32_e32 v45, 0x32a5705f, v15
	v_sub_f32_e32 v17, v17, v6
	v_fmac_f32_e32 v39, 0x32a5705f, v9
	v_ldexp_f32 v33, v33, v44
	v_cvt_i32_f32_e32 v46, v46
	v_add_f32_e32 v34, v34, v45
	s_delay_alu instid0(VALU_DEP_4) | instskip(SKIP_2) | instid1(VALU_DEP_4)
	v_dual_sub_f32 v36, v36, v50 :: v_dual_add_f32 v31, v31, v39
	v_fmac_f32_e32 v49, 0x32a5705f, v19
	v_xor_b32_e32 v53, 0x80000000, v38
	v_exp_f32_e32 v34, v34
	v_cvt_i32_f32_e32 v50, v50
	v_exp_f32_e32 v31, v31
	v_add_f32_e32 v36, v36, v49
	v_cmp_ngt_f32_e64 s1, 0xc2ce8ed0, v17
	v_rndne_f32_e32 v54, v38
	v_cmp_ngt_f32_e64 s2, 0xc2ce8ed0, v19
	s_delay_alu instid0(VALU_DEP_4) | instskip(NEXT) | instid1(TRANS32_DEP_3)
	v_exp_f32_e32 v36, v36
	v_ldexp_f32 v34, v34, v46
	s_delay_alu instid0(VALU_DEP_3) | instskip(NEXT) | instid1(TRANS32_DEP_2)
	v_sub_f32_e32 v38, v38, v54
	v_ldexp_f32 v31, v31, v40
	v_cvt_i32_f32_e32 v54, v54
	s_wait_alu 0xf1ff
	s_delay_alu instid0(VALU_DEP_2) | instskip(SKIP_1) | instid1(TRANS32_DEP_1)
	v_cndmask_b32_e64 v31, 0, v31, s5
	v_cmp_ngt_f32_e64 s5, 0xc2ce8ed0, v11
	v_ldexp_f32 v36, v36, v50
	s_wait_alu 0xf1ff
	s_delay_alu instid0(VALU_DEP_2) | instskip(SKIP_2) | instid1(VALU_DEP_1)
	v_cndmask_b32_e64 v32, 0, v32, s5
	v_cmp_nlt_f32_e64 s5, 0x42b17218, v9
	s_wait_alu 0xf1ff
	v_cndmask_b32_e64 v9, 0x7f800000, v31, s5
	s_wait_alu 0xfffd
	v_cndmask_b32_e32 v31, 0, v33, vcc_lo
	v_cmp_nlt_f32_e32 vcc_lo, 0x42b17218, v11
	s_wait_alu 0xfffd
	v_dual_fmac_f32 v8, v9, v10 :: v_dual_cndmask_b32 v11, 0x7f800000, v32
	v_cmp_nlt_f32_e32 vcc_lo, 0x42b17218, v13
	s_delay_alu instid0(VALU_DEP_2)
	v_fmac_f32_e32 v8, v11, v12
	s_wait_alu 0xfffd
	v_cndmask_b32_e32 v10, 0x7f800000, v31, vcc_lo
	v_cmp_nlt_f32_e32 vcc_lo, 0x42b17218, v15
	v_fmac_f32_e32 v53, 0x3fb8aa3b, v23
	v_cmp_ngt_f32_e64 s4, 0xc2ce8ed0, v23
	s_delay_alu instid0(VALU_DEP_2) | instskip(NEXT) | instid1(VALU_DEP_1)
	v_dual_fmac_f32 v8, v10, v14 :: v_dual_fmac_f32 v53, 0x32a5705f, v23
	v_dual_sub_f32 v21, v21, v6 :: v_dual_add_f32 v38, v38, v53
	s_delay_alu instid0(VALU_DEP_1) | instskip(NEXT) | instid1(VALU_DEP_2)
	v_cmp_ngt_f32_e64 s3, 0xc2ce8ed0, v21
	v_exp_f32_e32 v38, v38
	s_delay_alu instid0(TRANS32_DEP_1) | instskip(SKIP_4) | instid1(VALU_DEP_1)
	v_ldexp_f32 v38, v38, v54
	s_wait_loadcnt 0x7
	v_fmac_f32_e32 v7, v25, v9
	v_cndmask_b32_e64 v9, 0, v34, s0
	s_wait_alu 0xfffd
	v_cndmask_b32_e32 v9, 0x7f800000, v9, vcc_lo
	s_wait_loadcnt 0x6
	v_fmac_f32_e32 v7, v26, v11
	v_cmp_nlt_f32_e32 vcc_lo, 0x42b17218, v17
	s_delay_alu instid0(VALU_DEP_3) | instskip(SKIP_1) | instid1(VALU_DEP_3)
	v_dual_fmac_f32 v8, v9, v16 :: v_dual_mul_f32 v35, 0x3fb8aa3b, v17
	s_wait_loadcnt 0x5
	v_fmac_f32_e32 v7, v27, v10
	s_delay_alu instid0(VALU_DEP_2) | instskip(SKIP_2) | instid1(VALU_DEP_3)
	v_xor_b32_e32 v47, 0x80000000, v35
	v_rndne_f32_e32 v48, v35
	v_cndmask_b32_e64 v10, 0, v36, s2
	v_fmac_f32_e32 v47, 0x3fb8aa3b, v17
	s_delay_alu instid0(VALU_DEP_3) | instskip(SKIP_1) | instid1(VALU_DEP_3)
	v_sub_f32_e32 v35, v35, v48
	v_cvt_i32_f32_e32 v48, v48
	v_fmac_f32_e32 v47, 0x32a5705f, v17
	s_wait_loadcnt 0x4
	v_fmac_f32_e32 v7, v28, v9
	s_delay_alu instid0(VALU_DEP_2) | instskip(NEXT) | instid1(VALU_DEP_1)
	v_add_f32_e32 v35, v35, v47
	v_exp_f32_e32 v35, v35
	s_delay_alu instid0(TRANS32_DEP_1) | instskip(NEXT) | instid1(VALU_DEP_1)
	v_ldexp_f32 v35, v35, v48
	v_cndmask_b32_e64 v11, 0, v35, s1
	s_wait_alu 0xfffd
	s_delay_alu instid0(VALU_DEP_1) | instskip(SKIP_1) | instid1(VALU_DEP_2)
	v_cndmask_b32_e32 v11, 0x7f800000, v11, vcc_lo
	v_cmp_nlt_f32_e32 vcc_lo, 0x42b17218, v19
	v_fmac_f32_e32 v8, v11, v18
	s_wait_alu 0xfffd
	v_cndmask_b32_e32 v10, 0x7f800000, v10, vcc_lo
	v_mul_f32_e32 v37, 0x3fb8aa3b, v21
	s_wait_loadcnt 0x3
	v_fmac_f32_e32 v7, v29, v11
	v_cmp_nlt_f32_e32 vcc_lo, 0x42b17218, v21
	s_wait_alu 0xf1ff
	v_cndmask_b32_e64 v11, 0, v38, s4
	v_fmac_f32_e32 v8, v10, v20
	v_xor_b32_e32 v51, 0x80000000, v37
	v_rndne_f32_e32 v52, v37
	s_wait_loadcnt 0x2
	v_fmac_f32_e32 v7, v30, v10
	s_delay_alu instid0(VALU_DEP_3) | instskip(NEXT) | instid1(VALU_DEP_3)
	v_fmac_f32_e32 v51, 0x3fb8aa3b, v21
	v_sub_f32_e32 v37, v37, v52
	v_cvt_i32_f32_e32 v52, v52
	s_delay_alu instid0(VALU_DEP_3) | instskip(NEXT) | instid1(VALU_DEP_1)
	v_fmac_f32_e32 v51, 0x32a5705f, v21
	v_add_f32_e32 v37, v37, v51
	s_delay_alu instid0(VALU_DEP_1) | instskip(NEXT) | instid1(TRANS32_DEP_1)
	v_exp_f32_e32 v37, v37
	v_ldexp_f32 v37, v37, v52
	s_delay_alu instid0(VALU_DEP_1) | instskip(SKIP_1) | instid1(VALU_DEP_1)
	v_cndmask_b32_e64 v9, 0, v37, s3
	s_wait_alu 0xfffd
	v_cndmask_b32_e32 v9, 0x7f800000, v9, vcc_lo
	v_cmp_nlt_f32_e32 vcc_lo, 0x42b17218, v23
	s_delay_alu instid0(VALU_DEP_2) | instskip(SKIP_4) | instid1(VALU_DEP_1)
	v_fmac_f32_e32 v8, v9, v22
	s_wait_loadcnt 0x1
	s_wait_alu 0xfffd
	v_dual_cndmask_b32 v10, 0x7f800000, v11 :: v_dual_fmac_f32 v7, v2, v9
	s_wait_loadcnt 0x0
	v_dual_fmac_f32 v8, v10, v24 :: v_dual_fmac_f32 v7, v3, v10
	s_cbranch_scc0 .LBB26_14
; %bb.15:
	s_and_b32 s0, s10, 7
	s_wait_alu 0xfffe
	s_cmp_eq_u32 s0, 0
	s_cbranch_scc0 .LBB26_18
	s_branch .LBB26_20
.LBB26_16:
	v_mov_b32_e32 v0, 0x7fc00000
	s_branch .LBB26_21
.LBB26_17:
	v_dual_mov_b32 v7, 0 :: v_dual_mov_b32 v8, 0
	s_mov_b32 s12, 0
	s_and_b32 s0, s10, 7
	s_wait_alu 0xfffe
	s_cmp_eq_u32 s0, 0
	s_cbranch_scc1 .LBB26_20
.LBB26_18:
	v_lshl_or_b32 v0, s12, 8, v0
	v_mov_b32_e32 v1, 0
	s_lshl_b32 s1, s12, 3
	s_wait_alu 0xfffe
	s_add_co_i32 s1, s1, 0
.LBB26_19:                              ; =>This Inner Loop Header: Depth=1
	s_delay_alu instid0(VALU_DEP_1) | instskip(SKIP_2) | instid1(VALU_DEP_2)
	v_lshlrev_b64_e32 v[2:3], 2, v[0:1]
	s_add_co_i32 s0, s0, -1
	v_add_nc_u32_e32 v0, 0x100, v0
	v_add_co_u32 v2, vcc_lo, s6, v2
	s_wait_alu 0xfffd
	s_delay_alu instid0(VALU_DEP_3)
	v_add_co_ci_u32_e64 v3, null, s7, v3, vcc_lo
	global_load_b32 v4, v[2:3], off
	s_wait_alu 0xfffe
	v_mov_b32_e32 v2, s1
	s_add_co_i32 s1, s1, 8
	s_cmp_lg_u32 s0, 0
	ds_load_b64 v[2:3], v2
	s_wait_dscnt 0x0
	v_sub_f32_e32 v2, v2, v6
	s_delay_alu instid0(VALU_DEP_1) | instskip(SKIP_1) | instid1(VALU_DEP_2)
	v_mul_f32_e32 v9, 0x3fb8aa3b, v2
	v_cmp_ngt_f32_e32 vcc_lo, 0xc2ce8ed0, v2
	v_xor_b32_e32 v10, 0x80000000, v9
	v_rndne_f32_e32 v11, v9
	s_delay_alu instid0(VALU_DEP_1) | instskip(NEXT) | instid1(VALU_DEP_1)
	v_dual_fmac_f32 v10, 0x3fb8aa3b, v2 :: v_dual_sub_f32 v9, v9, v11
	v_fmac_f32_e32 v10, 0x32a5705f, v2
	s_delay_alu instid0(VALU_DEP_1) | instskip(SKIP_1) | instid1(VALU_DEP_2)
	v_add_f32_e32 v9, v9, v10
	v_cvt_i32_f32_e32 v10, v11
	v_exp_f32_e32 v9, v9
	s_delay_alu instid0(TRANS32_DEP_1) | instskip(SKIP_1) | instid1(VALU_DEP_1)
	v_ldexp_f32 v9, v9, v10
	s_wait_alu 0xfffd
	v_cndmask_b32_e32 v9, 0, v9, vcc_lo
	v_cmp_nlt_f32_e32 vcc_lo, 0x42b17218, v2
	s_wait_alu 0xfffd
	s_delay_alu instid0(VALU_DEP_2) | instskip(SKIP_1) | instid1(VALU_DEP_1)
	v_cndmask_b32_e32 v2, 0x7f800000, v9, vcc_lo
	s_wait_loadcnt 0x0
	v_dual_fmac_f32 v8, v2, v3 :: v_dual_fmac_f32 v7, v4, v2
	s_cbranch_scc1 .LBB26_19
.LBB26_20:
	s_delay_alu instid0(VALU_DEP_1) | instskip(NEXT) | instid1(VALU_DEP_1)
	v_div_scale_f32 v0, null, v8, v8, v7
	v_rcp_f32_e32 v1, v0
	s_delay_alu instid0(TRANS32_DEP_1) | instskip(NEXT) | instid1(VALU_DEP_1)
	v_fma_f32 v2, -v0, v1, 1.0
	v_fmac_f32_e32 v1, v2, v1
	v_div_scale_f32 v2, vcc_lo, v7, v8, v7
	s_delay_alu instid0(VALU_DEP_1) | instskip(NEXT) | instid1(VALU_DEP_1)
	v_mul_f32_e32 v3, v2, v1
	v_fma_f32 v4, -v0, v3, v2
	s_delay_alu instid0(VALU_DEP_1) | instskip(NEXT) | instid1(VALU_DEP_1)
	v_fmac_f32_e32 v3, v4, v1
	v_fma_f32 v0, -v0, v3, v2
	s_wait_alu 0xfffd
	s_delay_alu instid0(VALU_DEP_1) | instskip(NEXT) | instid1(VALU_DEP_1)
	v_div_fmas_f32 v0, v0, v1, v3
	v_div_fixup_f32 v0, v0, v8, v7
.LBB26_21:
	s_lshl_b32 s0, s11, 8
	s_wait_alu 0xfffe
	s_ashr_i32 s1, s0, 31
	s_wait_alu 0xfffe
	s_lshl_b64 s[0:1], s[0:1], 2
	s_wait_alu 0xfffe
	s_add_nc_u64 s[0:1], s[8:9], s[0:1]
	global_store_b32 v5, v0, s[0:1]
	s_endpgm
	.section	.rodata,"a",@progbits
	.p2align	6, 0x0
	.amdhsa_kernel _ZL26flash_attn_combine_resultsILi256EEvPKfPK15HIP_vector_typeIfLj2EEPfi
		.amdhsa_group_segment_fixed_size 0
		.amdhsa_private_segment_fixed_size 0
		.amdhsa_kernarg_size 288
		.amdhsa_user_sgpr_count 2
		.amdhsa_user_sgpr_dispatch_ptr 0
		.amdhsa_user_sgpr_queue_ptr 0
		.amdhsa_user_sgpr_kernarg_segment_ptr 1
		.amdhsa_user_sgpr_dispatch_id 0
		.amdhsa_user_sgpr_private_segment_size 0
		.amdhsa_wavefront_size32 1
		.amdhsa_uses_dynamic_stack 0
		.amdhsa_enable_private_segment 0
		.amdhsa_system_sgpr_workgroup_id_x 1
		.amdhsa_system_sgpr_workgroup_id_y 1
		.amdhsa_system_sgpr_workgroup_id_z 1
		.amdhsa_system_sgpr_workgroup_info 0
		.amdhsa_system_vgpr_workitem_id 0
		.amdhsa_next_free_vgpr 55
		.amdhsa_next_free_sgpr 16
		.amdhsa_reserve_vcc 1
		.amdhsa_float_round_mode_32 0
		.amdhsa_float_round_mode_16_64 0
		.amdhsa_float_denorm_mode_32 3
		.amdhsa_float_denorm_mode_16_64 3
		.amdhsa_fp16_overflow 0
		.amdhsa_workgroup_processor_mode 1
		.amdhsa_memory_ordered 1
		.amdhsa_forward_progress 1
		.amdhsa_inst_pref_size 21
		.amdhsa_round_robin_scheduling 0
		.amdhsa_exception_fp_ieee_invalid_op 0
		.amdhsa_exception_fp_denorm_src 0
		.amdhsa_exception_fp_ieee_div_zero 0
		.amdhsa_exception_fp_ieee_overflow 0
		.amdhsa_exception_fp_ieee_underflow 0
		.amdhsa_exception_fp_ieee_inexact 0
		.amdhsa_exception_int_div_zero 0
	.end_amdhsa_kernel
	.section	.text._ZL26flash_attn_combine_resultsILi256EEvPKfPK15HIP_vector_typeIfLj2EEPfi,"axG",@progbits,_ZL26flash_attn_combine_resultsILi256EEvPKfPK15HIP_vector_typeIfLj2EEPfi,comdat
.Lfunc_end26:
	.size	_ZL26flash_attn_combine_resultsILi256EEvPKfPK15HIP_vector_typeIfLj2EEPfi, .Lfunc_end26-_ZL26flash_attn_combine_resultsILi256EEvPKfPK15HIP_vector_typeIfLj2EEPfi
                                        ; -- End function
	.set _ZL26flash_attn_combine_resultsILi256EEvPKfPK15HIP_vector_typeIfLj2EEPfi.num_vgpr, 55
	.set _ZL26flash_attn_combine_resultsILi256EEvPKfPK15HIP_vector_typeIfLj2EEPfi.num_agpr, 0
	.set _ZL26flash_attn_combine_resultsILi256EEvPKfPK15HIP_vector_typeIfLj2EEPfi.numbered_sgpr, 16
	.set _ZL26flash_attn_combine_resultsILi256EEvPKfPK15HIP_vector_typeIfLj2EEPfi.num_named_barrier, 0
	.set _ZL26flash_attn_combine_resultsILi256EEvPKfPK15HIP_vector_typeIfLj2EEPfi.private_seg_size, 0
	.set _ZL26flash_attn_combine_resultsILi256EEvPKfPK15HIP_vector_typeIfLj2EEPfi.uses_vcc, 1
	.set _ZL26flash_attn_combine_resultsILi256EEvPKfPK15HIP_vector_typeIfLj2EEPfi.uses_flat_scratch, 0
	.set _ZL26flash_attn_combine_resultsILi256EEvPKfPK15HIP_vector_typeIfLj2EEPfi.has_dyn_sized_stack, 0
	.set _ZL26flash_attn_combine_resultsILi256EEvPKfPK15HIP_vector_typeIfLj2EEPfi.has_recursion, 0
	.set _ZL26flash_attn_combine_resultsILi256EEvPKfPK15HIP_vector_typeIfLj2EEPfi.has_indirect_call, 0
	.section	.AMDGPU.csdata,"",@progbits
; Kernel info:
; codeLenInByte = 2564
; TotalNumSgprs: 18
; NumVgprs: 55
; ScratchSize: 0
; MemoryBound: 0
; FloatMode: 240
; IeeeMode: 1
; LDSByteSize: 0 bytes/workgroup (compile time only)
; SGPRBlocks: 0
; VGPRBlocks: 6
; NumSGPRsForWavesPerEU: 18
; NumVGPRsForWavesPerEU: 55
; Occupancy: 16
; WaveLimiterHint : 0
; COMPUTE_PGM_RSRC2:SCRATCH_EN: 0
; COMPUTE_PGM_RSRC2:USER_SGPR: 2
; COMPUTE_PGM_RSRC2:TRAP_HANDLER: 0
; COMPUTE_PGM_RSRC2:TGID_X_EN: 1
; COMPUTE_PGM_RSRC2:TGID_Y_EN: 1
; COMPUTE_PGM_RSRC2:TGID_Z_EN: 1
; COMPUTE_PGM_RSRC2:TIDIG_COMP_CNT: 0
	.section	.text._ZL18flash_attn_ext_vecILi256ELi1EL9ggml_type3ELS0_2ELb1EEvPKcS2_S2_S2_S2_PKiPfP15HIP_vector_typeIfLj2EEffffjfiS6_IjLj3EEiiiiiiiiiiiliiliiiiil,"axG",@progbits,_ZL18flash_attn_ext_vecILi256ELi1EL9ggml_type3ELS0_2ELb1EEvPKcS2_S2_S2_S2_PKiPfP15HIP_vector_typeIfLj2EEffffjfiS6_IjLj3EEiiiiiiiiiiiliiliiiiil,comdat
	.globl	_ZL18flash_attn_ext_vecILi256ELi1EL9ggml_type3ELS0_2ELb1EEvPKcS2_S2_S2_S2_PKiPfP15HIP_vector_typeIfLj2EEffffjfiS6_IjLj3EEiiiiiiiiiiiliiliiiiil ; -- Begin function _ZL18flash_attn_ext_vecILi256ELi1EL9ggml_type3ELS0_2ELb1EEvPKcS2_S2_S2_S2_PKiPfP15HIP_vector_typeIfLj2EEffffjfiS6_IjLj3EEiiiiiiiiiiiliiliiiiil
	.p2align	8
	.type	_ZL18flash_attn_ext_vecILi256ELi1EL9ggml_type3ELS0_2ELb1EEvPKcS2_S2_S2_S2_PKiPfP15HIP_vector_typeIfLj2EEffffjfiS6_IjLj3EEiiiiiiiiiiiliiliiiiil,@function
_ZL18flash_attn_ext_vecILi256ELi1EL9ggml_type3ELS0_2ELb1EEvPKcS2_S2_S2_S2_PKiPfP15HIP_vector_typeIfLj2EEffffjfiS6_IjLj3EEiiiiiiiiiiiliiliiiiil: ; @_ZL18flash_attn_ext_vecILi256ELi1EL9ggml_type3ELS0_2ELb1EEvPKcS2_S2_S2_S2_PKiPfP15HIP_vector_typeIfLj2EEffffjfiS6_IjLj3EEiiiiiiiiiiiliiliiiiil
; %bb.0:
	s_clause 0x2
	s_load_b64 s[88:89], s[0:1], 0x64
	s_load_b64 s[94:95], s[0:1], 0x80
	;; [unrolled: 1-line block ×3, first 2 shown]
	s_lshr_b32 s4, ttmp7, 16
	s_mov_b32 s15, 0
	s_load_b64 s[66:67], s[0:1], 0x50
	s_wait_kmcnt 0x0
	s_cvt_f32_u32 s2, s89
	s_sub_co_i32 s3, 0, s89
	s_delay_alu instid0(SALU_CYCLE_2) | instskip(NEXT) | instid1(TRANS32_DEP_1)
	v_rcp_iflag_f32_e32 v1, s2
	v_readfirstlane_b32 s2, v1
	s_mul_f32 s2, s2, 0x4f7ffffe
	s_wait_alu 0xfffe
	s_delay_alu instid0(SALU_CYCLE_2) | instskip(SKIP_1) | instid1(SALU_CYCLE_2)
	s_cvt_u32_f32 s2, s2
	s_wait_alu 0xfffe
	s_mul_i32 s3, s3, s2
	s_wait_alu 0xfffe
	s_mul_hi_u32 s3, s2, s3
	s_wait_alu 0xfffe
	s_add_co_i32 s2, s2, s3
	s_wait_alu 0xfffe
	s_mul_hi_u32 s2, s4, s2
	s_wait_alu 0xfffe
	s_mul_i32 s3, s2, s89
	s_add_co_i32 s5, s2, 1
	s_wait_alu 0xfffe
	s_sub_co_i32 s3, s4, s3
	s_wait_alu 0xfffe
	s_sub_co_i32 s8, s3, s89
	s_cmp_ge_u32 s3, s89
	s_cselect_b32 s2, s5, s2
	s_cselect_b32 s3, s8, s3
	s_wait_alu 0xfffe
	s_add_co_i32 s5, s2, 1
	s_cmp_ge_u32 s3, s89
	s_cselect_b32 s90, s5, s2
	s_abs_i32 s2, s95
	s_abs_i32 s9, s89
	s_wait_alu 0xfffe
	s_cvt_f32_u32 s3, s2
	s_sub_co_i32 s5, 0, s2
	s_xor_b32 s8, s89, s95
	s_wait_alu 0xfffe
	v_rcp_iflag_f32_e32 v1, s3
	s_ashr_i32 s8, s8, 31
	s_delay_alu instid0(TRANS32_DEP_1) | instskip(SKIP_2) | instid1(SALU_CYCLE_2)
	v_readfirstlane_b32 s3, v1
	s_mul_f32 s3, s3, 0x4f7ffffe
	s_wait_alu 0xfffe
	s_cvt_u32_f32 s3, s3
	s_wait_alu 0xfffe
	s_delay_alu instid0(SALU_CYCLE_2) | instskip(NEXT) | instid1(SALU_CYCLE_1)
	s_mul_i32 s5, s5, s3
	s_mul_hi_u32 s5, s3, s5
	s_delay_alu instid0(SALU_CYCLE_1)
	s_add_co_i32 s3, s3, s5
	s_mul_i32 s5, s90, s89
	s_wait_alu 0xfffe
	s_mul_hi_u32 s3, s9, s3
	s_sub_co_i32 s92, s4, s5
	s_wait_alu 0xfffe
	s_mul_i32 s10, s3, s2
	s_add_co_i32 s5, s3, 1
	s_sub_co_i32 s4, s9, s10
	s_delay_alu instid0(SALU_CYCLE_1)
	s_sub_co_i32 s9, s4, s2
	s_cmp_ge_u32 s4, s2
	s_cselect_b32 s3, s5, s3
	s_cselect_b32 s4, s9, s4
	s_wait_alu 0xfffe
	s_add_co_i32 s5, s3, 1
	s_cmp_ge_u32 s4, s2
	s_cselect_b32 s2, s5, s3
	s_abs_i32 s20, s6
	s_wait_alu 0xfffe
	s_xor_b32 s2, s2, s8
	s_sub_co_i32 s4, 0, s20
	s_wait_alu 0xfffe
	s_sub_co_i32 s22, s2, s8
	s_cvt_f32_u32 s2, s20
	s_abs_i32 s21, s22
	s_load_b128 s[8:11], s[0:1], 0x40
	s_cvt_f32_u32 s3, s21
	v_rcp_iflag_f32_e32 v1, s2
	s_sub_co_i32 s5, 0, s21
	s_abs_i32 s14, s92
	s_wait_alu 0xfffe
	v_rcp_iflag_f32_e32 v2, s3
	s_abs_i32 s12, s90
	s_delay_alu instid0(TRANS32_DEP_2) | instskip(SKIP_1) | instid1(TRANS32_DEP_1)
	v_readfirstlane_b32 s2, v1
	v_mov_b32_e32 v1, 1.0
	v_readfirstlane_b32 s3, v2
	s_mul_f32 s2, s2, 0x4f7ffffe
	scratch_store_b32 off, v1, off offset:548 ; 4-byte Folded Spill
	s_mul_f32 s3, s3, 0x4f7ffffe
	s_wait_alu 0xfffe
	s_cvt_u32_f32 s2, s2
	s_delay_alu instid0(SALU_CYCLE_1) | instskip(SKIP_1) | instid1(SALU_CYCLE_1)
	s_cvt_u32_f32 s3, s3
	s_wait_alu 0xfffe
	s_mul_i32 s4, s4, s2
	s_delay_alu instid0(SALU_CYCLE_1) | instskip(SKIP_3) | instid1(SALU_CYCLE_1)
	s_mul_hi_u32 s4, s2, s4
	s_mul_i32 s5, s5, s3
	s_add_co_i32 s16, s2, s4
	s_mul_hi_u32 s5, s3, s5
	s_add_co_i32 s18, s3, s5
	s_wait_kmcnt 0x0
	s_cmp_le_f32 s9, 0
	s_cbranch_scc1 .LBB27_2
; %bb.1:
	v_sub_co_u32 v1, s2, s92, s66
	s_and_b32 s4, s2, exec_lo
	s_cselect_b32 s4, s10, s11
	s_add_co_i32 s5, s92, 1
	v_readfirstlane_b32 s3, v1
	s_lshl_b32 s3, s3, 1
	s_wait_alu 0xfffe
	s_or_b32 s3, s3, 1
	s_and_b32 s2, s2, exec_lo
	s_wait_alu 0xfffe
	s_cselect_b32 s2, s5, s3
	s_cmp_neq_f32 s4, 1.0
	s_wait_alu 0xfffe
	s_cvt_f32_i32 s2, s2
	s_wait_alu 0xfffe
	s_delay_alu instid0(SALU_CYCLE_2)
	s_cselect_b32 s3, s2, 1.0
	s_wait_alu 0xfffe
	s_cmp_neq_f32 s3, 0
	s_cselect_b32 s2, s4, 1.0
	s_wait_alu 0xfffe
	v_frexp_mant_f32_e64 v1, |s2|
	s_delay_alu instid0(VALU_DEP_1) | instskip(SKIP_3) | instid1(SALU_CYCLE_1)
	v_readfirstlane_b32 s4, v1
	v_cvt_f64_f32_e64 v[1:2], |s2|
	s_cmp_lt_f32 s4, 0x3f2aaaab
	s_cselect_b32 s5, -1, 0
	s_and_b32 s6, s5, exec_lo
	s_cselect_b32 s6, 2.0, 1.0
	s_delay_alu instid0(SALU_CYCLE_1) | instskip(NEXT) | instid1(SALU_CYCLE_3)
	s_mul_f32 s4, s4, s6
	s_add_f32 s6, s4, 1.0
	s_add_f32 s10, s4, -1.0
	s_delay_alu instid0(SALU_CYCLE_2) | instskip(SKIP_1) | instid1(SALU_CYCLE_3)
	v_s_rcp_f32 s9, s6
	s_add_f32 s17, s6, -1.0
	s_sub_f32 s4, s4, s17
	s_delay_alu instid0(TRANS32_DEP_1) | instskip(NEXT) | instid1(SALU_CYCLE_3)
	s_mul_f32 s11, s10, s9
	s_mul_f32 s13, s6, s11
	s_delay_alu instid0(SALU_CYCLE_3) | instskip(NEXT) | instid1(VALU_DEP_1)
	s_xor_b32 s19, s13, 0x80000000
	v_frexp_exp_i32_f64_e32 v1, v[1:2]
	s_fmac_f32 s19, s11, s6
	s_delay_alu instid0(SALU_CYCLE_3) | instskip(NEXT) | instid1(SALU_CYCLE_3)
	s_fmac_f32 s19, s11, s4
	s_add_f32 s4, s13, s19
	s_delay_alu instid0(SALU_CYCLE_3) | instskip(SKIP_2) | instid1(SALU_CYCLE_1)
	s_sub_f32 s6, s10, s4
	s_sub_f32 s13, s4, s13
	s_wait_alu 0xfffe
	s_sub_f32 s10, s10, s6
	s_delay_alu instid0(SALU_CYCLE_1) | instskip(NEXT) | instid1(SALU_CYCLE_2)
	s_sub_f32 s13, s13, s19
	s_sub_f32 s4, s10, s4
	s_delay_alu instid0(SALU_CYCLE_3) | instskip(SKIP_1) | instid1(SALU_CYCLE_2)
	s_add_f32 s4, s13, s4
	s_mov_b32 s13, 0x3e76c4e1
	s_add_f32 s4, s6, s4
	s_delay_alu instid0(SALU_CYCLE_3) | instskip(NEXT) | instid1(SALU_CYCLE_3)
	s_mul_f32 s4, s9, s4
	s_add_f32 s6, s11, s4
	s_wait_alu 0xfffe
	s_delay_alu instid0(SALU_CYCLE_2) | instskip(SKIP_1) | instid1(SALU_CYCLE_2)
	s_sub_f32 s9, s6, s11
	s_mul_f32 s10, s6, s6
	s_sub_f32 s4, s4, s9
	s_delay_alu instid0(SALU_CYCLE_2) | instskip(NEXT) | instid1(SALU_CYCLE_1)
	s_xor_b32 s9, s10, 0x80000000
	s_fmac_f32 s9, s6, s6
	s_delay_alu instid0(SALU_CYCLE_1) | instskip(NEXT) | instid1(SALU_CYCLE_3)
	s_add_f32 s11, s4, s4
	s_fmac_f32 s9, s6, s11
	s_delay_alu instid0(SALU_CYCLE_3) | instskip(NEXT) | instid1(SALU_CYCLE_3)
	s_add_f32 s11, s10, s9
	s_fmaak_f32 s13, s11, s13, 0x3e91f4c4
	s_sub_f32 s10, s11, s10
	s_delay_alu instid0(SALU_CYCLE_2) | instskip(NEXT) | instid1(SALU_CYCLE_2)
	s_fmaak_f32 s13, s11, s13, 0x3ecccdef
	s_sub_f32 s9, s9, s10
	s_mul_f32 s10, s6, s11
	s_delay_alu instid0(SALU_CYCLE_1) | instskip(NEXT) | instid1(SALU_CYCLE_2)
	s_mul_f32 s17, s11, s13
	s_xor_b32 s23, s10, 0x80000000
	s_delay_alu instid0(SALU_CYCLE_2) | instskip(SKIP_2) | instid1(SALU_CYCLE_2)
	s_xor_b32 s19, s17, 0x80000000
	s_fmac_f32 s23, s11, s6
	s_fmac_f32 s19, s11, s13
	;; [unrolled: 1-line block ×3, first 2 shown]
	s_delay_alu instid0(SALU_CYCLE_2) | instskip(NEXT) | instid1(SALU_CYCLE_2)
	s_fmac_f32 s19, s9, s13
	s_fmac_f32 s23, s9, s6
	s_delay_alu instid0(SALU_CYCLE_2) | instskip(NEXT) | instid1(SALU_CYCLE_3)
	s_add_f32 s13, s17, s19
	s_sub_f32 s17, s13, s17
	s_add_f32 s24, s13, 0x3f2aaaaa
	s_delay_alu instid0(SALU_CYCLE_2) | instskip(NEXT) | instid1(SALU_CYCLE_2)
	s_sub_f32 s17, s19, s17
	s_add_f32 s19, s24, 0xbf2aaaaa
	s_delay_alu instid0(SALU_CYCLE_2) | instskip(NEXT) | instid1(SALU_CYCLE_2)
	s_add_f32 s11, s17, 0x31739010
	s_sub_f32 s13, s13, s19
	s_delay_alu instid0(SALU_CYCLE_3) | instskip(SKIP_1) | instid1(SALU_CYCLE_2)
	s_add_f32 s9, s11, s13
	s_add_f32 s11, s10, s23
	;; [unrolled: 1-line block ×3, first 2 shown]
	s_delay_alu instid0(SALU_CYCLE_2) | instskip(NEXT) | instid1(SALU_CYCLE_2)
	s_sub_f32 s10, s11, s10
	s_mul_f32 s17, s11, s13
	s_sub_f32 s19, s24, s13
	s_delay_alu instid0(SALU_CYCLE_1) | instskip(NEXT) | instid1(SALU_CYCLE_1)
	s_sub_f32 s10, s23, s10
	s_xor_b32 s24, s17, 0x80000000
	s_delay_alu instid0(SALU_CYCLE_1)
	s_add_f32 s9, s9, s19
	s_fmac_f32 s24, s11, s13
	v_readfirstlane_b32 s19, v1
	v_ldexp_f32 v1, s6, 1
	s_cmp_lg_u32 s5, 0
	s_fmac_f32 s24, s11, s9
	s_sub_co_ci_u32 s5, s19, 0
	s_delay_alu instid0(VALU_DEP_1) | instskip(NEXT) | instid1(SALU_CYCLE_1)
	v_readfirstlane_b32 s6, v1
	s_fmac_f32 s24, s10, s13
	s_cvt_f32_i32 s5, s5
	v_ldexp_f32 v1, s4, 1
	s_delay_alu instid0(SALU_CYCLE_1) | instskip(NEXT) | instid1(SALU_CYCLE_1)
	s_add_f32 s9, s17, s24
	s_mul_f32 s4, s5, 0x3f317218
	s_delay_alu instid0(VALU_DEP_1) | instskip(NEXT) | instid1(SALU_CYCLE_1)
	v_readfirstlane_b32 s13, v1
	s_add_f32 s10, s6, s9
	s_sub_f32 s11, s9, s17
	s_wait_alu 0xfffe
	s_xor_b32 s17, s4, 0x80000000
	s_sub_f32 s6, s10, s6
	s_sub_f32 s11, s24, s11
	s_fmamk_f32 s17, s5, 0x3f317218, s17
	s_wait_alu 0xfffe
	s_sub_f32 s6, s9, s6
	s_add_f32 s9, s13, s11
	s_fmamk_f32 s5, s5, 0xb102e308, s17
	s_wait_alu 0xfffe
	s_delay_alu instid0(SALU_CYCLE_1) | instskip(NEXT) | instid1(SALU_CYCLE_1)
	s_add_f32 s6, s9, s6
	s_add_f32 s9, s4, s5
	s_wait_alu 0xfffe
	s_delay_alu instid0(SALU_CYCLE_1) | instskip(NEXT) | instid1(SALU_CYCLE_1)
	s_add_f32 s11, s10, s6
	s_sub_f32 s4, s9, s4
	s_delay_alu instid0(SALU_CYCLE_2)
	s_add_f32 s13, s9, s11
	s_sub_f32 s10, s11, s10
	s_wait_alu 0xfffe
	s_sub_f32 s4, s5, s4
	s_sub_f32 s17, s13, s9
	s_sub_f32 s5, s6, s10
	s_delay_alu instid0(SALU_CYCLE_2) | instskip(SKIP_4) | instid1(SALU_CYCLE_3)
	s_sub_f32 s19, s13, s17
	s_sub_f32 s6, s11, s17
	s_wait_alu 0xfffe
	s_add_f32 s10, s4, s5
	s_sub_f32 s9, s9, s19
	s_add_f32 s6, s6, s9
	s_delay_alu instid0(SALU_CYCLE_1) | instskip(SKIP_1) | instid1(SALU_CYCLE_1)
	s_sub_f32 s9, s10, s4
	s_wait_alu 0xfffe
	s_add_f32 s6, s10, s6
	s_delay_alu instid0(SALU_CYCLE_1) | instskip(SKIP_4) | instid1(SALU_CYCLE_2)
	s_sub_f32 s10, s10, s9
	s_sub_f32 s5, s5, s9
	s_wait_alu 0xfffe
	s_add_f32 s11, s13, s6
	s_sub_f32 s4, s4, s10
	s_sub_f32 s9, s11, s13
	s_wait_alu 0xfffe
	s_delay_alu instid0(SALU_CYCLE_1) | instskip(NEXT) | instid1(SALU_CYCLE_1)
	s_add_f32 s4, s5, s4
	s_sub_f32 s5, s6, s9
	s_wait_alu 0xfffe
	s_delay_alu instid0(SALU_CYCLE_2) | instskip(SKIP_1) | instid1(SALU_CYCLE_2)
	s_add_f32 s4, s4, s5
	s_wait_alu 0xfffe
	s_add_f32 s5, s11, s4
	s_wait_alu 0xfffe
	s_delay_alu instid0(SALU_CYCLE_2) | instskip(SKIP_2) | instid1(SALU_CYCLE_1)
	s_mul_f32 s6, s3, s5
	s_sub_f32 s9, s5, s11
	s_wait_alu 0xfffe
	s_xor_b32 s10, s6, 0x80000000
	s_delay_alu instid0(SALU_CYCLE_1) | instskip(SKIP_2) | instid1(SALU_CYCLE_2)
	s_sub_f32 s4, s4, s9
	s_fmac_f32 s10, s3, s5
	s_wait_alu 0xfffe
	s_fmac_f32 s10, s3, s4
	v_cmp_class_f32_e64 s4, s6, 0x204
	s_delay_alu instid0(SALU_CYCLE_2) | instskip(SKIP_2) | instid1(SALU_CYCLE_1)
	s_add_f32 s5, s6, s10
	s_and_b32 s4, s4, exec_lo
	s_wait_alu 0xfffe
	s_sub_f32 s4, s5, s6
	s_cselect_b32 s5, s6, s5
	s_wait_alu 0xfffe
	s_and_b32 s6, s5, 0x7fffffff
	s_sub_f32 s4, s10, s4
	s_wait_alu 0xfffe
	s_cmp_neq_f32 s6, 0x7f800000
	s_delay_alu instid0(SALU_CYCLE_1)
	s_cselect_b32 s4, s4, 0
	s_cmp_eq_f32 s5, 0x42b17218
	s_cselect_b32 s6, 0x37000000, 0
	s_wait_alu 0xfffe
	s_sub_f32 s5, s5, s6
	s_add_f32 s4, s6, s4
	s_wait_alu 0xfffe
	s_delay_alu instid0(SALU_CYCLE_1) | instskip(NEXT) | instid1(SALU_CYCLE_3)
	s_mul_f32 s9, s5, 0x3fb8aa3b
	s_xor_b32 s10, s9, 0x80000000
	s_rndne_f32 s11, s9
	s_fmamk_f32 s10, s5, 0x3fb8aa3b, s10
	s_cmp_nlt_f32 s5, 0xc2ce8ed0
	s_delay_alu instid0(SALU_CYCLE_1) | instskip(NEXT) | instid1(SALU_CYCLE_1)
	s_sub_f32 s9, s9, s11
	s_fmamk_f32 s10, s5, 0x32a5705f, s10
	s_cselect_b32 vcc_lo, -1, 0
	s_cmp_ngt_f32 s5, 0x42b17218
	s_trunc_f32 s5, s3
	s_add_f32 s9, s9, s10
	s_cvt_i32_f32 s10, s11
	s_delay_alu instid0(SALU_CYCLE_2)
	v_s_exp_f32 s9, s9
	s_wait_alu 0xf1ff
	s_delay_alu instid0(TRANS32_DEP_1) | instid1(SALU_CYCLE_1)
	v_ldexp_f32 v1, s9, s10
	s_mul_f32 s9, s3, 0.5
	s_delay_alu instid0(VALU_DEP_1)
	v_cndmask_b32_e32 v1, 0, v1, vcc_lo
	s_cselect_b32 vcc_lo, -1, 0
	s_wait_alu 0xfffe
	s_cmp_eq_f32 s5, s3
	s_trunc_f32 s10, s9
	v_cndmask_b32_e32 v1, 0x7f800000, v1, vcc_lo
	s_cselect_b32 s11, -1, 0
	s_wait_alu 0xfffe
	s_cmp_neq_f32 s10, s9
	s_delay_alu instid0(VALU_DEP_1)
	v_fma_f32 v2, s4, v1, v1
	v_cmp_class_f32_e64 vcc_lo, v1, 0x204
	s_cselect_b32 s6, -1, 0
	s_wait_alu 0xfffe
	s_and_b32 s4, s11, s6
	s_wait_alu 0xfffd
	v_cndmask_b32_e32 v1, v2, v1, vcc_lo
	s_wait_alu 0xfffe
	s_and_b32 s6, s4, exec_lo
	s_cselect_b32 s6, s2, 1.0
	s_cmp_eq_f32 s5, s3
	v_cmp_class_f32_e64 s5, s2, 0x204
	s_wait_alu 0xfffe
	v_bfi_b32 v1, 0x7fffffff, v1, s6
	s_cselect_b32 vcc_lo, -1, 0
	s_cmp_lt_f32 s2, 0
	s_wait_alu 0xfffe
	s_delay_alu instid0(VALU_DEP_1) | instskip(SKIP_3) | instid1(VALU_DEP_1)
	v_cndmask_b32_e32 v2, 0x7fc00000, v1, vcc_lo
	s_cselect_b32 vcc_lo, -1, 0
	s_cmp_eq_f32 s2, 0
	s_wait_alu 0xfffe
	v_cndmask_b32_e32 v1, v1, v2, vcc_lo
	s_cselect_b32 s6, -1, 0
	s_wait_alu 0xfffe
	s_or_b32 vcc_lo, s6, s5
	s_cmp_lt_f32 s3, 0
	s_cselect_b32 s3, -1, 0
	s_wait_alu 0xfffe
	s_xor_b32 s3, s3, s6
	s_wait_alu 0xfffe
	s_and_b32 s3, s3, exec_lo
	s_cselect_b32 s3, 0, 0x7f800000
	s_and_b32 s4, s4, exec_lo
	s_cselect_b32 s4, s2, 0
	s_cmp_o_f32 s2, s2
	s_wait_alu 0xfffe
	v_mov_b32_e32 v2, s4
	s_delay_alu instid0(VALU_DEP_1) | instskip(NEXT) | instid1(VALU_DEP_1)
	v_bfi_b32 v2, 0x7fffffff, s3, v2
	v_cndmask_b32_e32 v1, v1, v2, vcc_lo
	s_cselect_b32 vcc_lo, -1, 0
	s_wait_alu 0xfffe
	s_delay_alu instid0(VALU_DEP_1)
	v_cndmask_b32_e32 v1, 0x7fc00000, v1, vcc_lo
	scratch_store_b32 off, v1, off offset:548 ; 4-byte Folded Spill
.LBB27_2:
	s_load_b512 s[68:83], s[0:1], 0x0
	v_bfe_u32 v32, v0, 10, 10
	v_and_b32_e32 v33, 0x3ff, v0
	v_mbcnt_lo_u32_b32 v121, -1, 0
	s_mov_b32 s19, s15
	s_mov_b32 s13, s15
	v_cmp_eq_u32_e64 s2, 0, v32
	s_mov_b32 s17, s15
	s_and_saveexec_b32 s9, s2
	s_cbranch_execz .LBB27_11
; %bb.3:
	s_load_b96 s[4:6], s[0:1], 0x70
	v_lshlrev_b32_e32 v13, 4, v33
	v_xor_b32_e32 v4, 4, v121
	v_xor_b32_e32 v6, 2, v121
	;; [unrolled: 1-line block ×3, first 2 shown]
	s_delay_alu instid0(VALU_DEP_3)
	v_cmp_gt_i32_e32 vcc_lo, 32, v4
	s_wait_kmcnt 0x0
	s_mul_i32 s3, s90, s6
	s_mul_i32 s4, s4, ttmp9
	s_mul_i32 s5, s92, s5
	s_wait_alu 0xfffe
	s_add_co_i32 s3, s3, s4
	s_mov_b32 s6, exec_lo
	s_wait_alu 0xfffe
	s_add_co_i32 s4, s3, s5
	s_wait_alu 0xfffe
	s_ashr_i32 s5, s4, 31
	s_wait_alu 0xfffe
	s_add_nc_u64 s[4:5], s[68:69], s[4:5]
	global_load_b128 v[0:3], v13, s[4:5]
	s_wait_loadcnt 0x0
	v_mul_f32_e32 v9, s8, v1
	s_wait_alu 0xfffd
	v_cndmask_b32_e32 v1, v121, v4, vcc_lo
	v_cmp_gt_i32_e32 vcc_lo, 32, v6
	v_mul_f32_e32 v10, s8, v3
	s_wait_alu 0xfffd
	v_cndmask_b32_e32 v6, v121, v6, vcc_lo
	v_cmp_gt_i32_e32 vcc_lo, 32, v8
	v_mul_f32_e32 v11, s8, v2
	s_delay_alu instid0(VALU_DEP_3)
	v_dual_mul_f32 v7, s8, v0 :: v_dual_lshlrev_b32 v6, 2, v6
	v_lshlrev_b32_e32 v4, 2, v1
	s_wait_alu 0xfffd
	v_cndmask_b32_e32 v8, v121, v8, vcc_lo
	v_fma_f32 v0, s8, v0, v9
	v_max_num_f32_e64 v5, |v7|, |v9|
	s_delay_alu instid0(VALU_DEP_2) | instskip(NEXT) | instid1(VALU_DEP_2)
	v_fmac_f32_e32 v0, s8, v2
	v_max3_num_f32 v1, v5, |v11|, |v10|
	s_delay_alu instid0(VALU_DEP_2) | instskip(SKIP_4) | instid1(VALU_DEP_1)
	v_fmac_f32_e32 v0, s8, v3
	ds_bpermute_b32 v5, v4, v1
	ds_bpermute_b32 v3, v4, v0
	s_wait_dscnt 0x0
	v_dual_max_num_f32 v5, v5, v5 :: v_dual_add_f32 v0, v0, v3
	v_max_num_f32_e32 v1, v1, v5
	ds_bpermute_b32 v5, v6, v1
	s_wait_dscnt 0x0
	v_dual_max_num_f32 v12, v5, v5 :: v_dual_lshlrev_b32 v5, 2, v8
	s_delay_alu instid0(VALU_DEP_1)
	v_max_num_f32_e32 v1, v1, v12
	ds_bpermute_b32 v8, v5, v1
	s_wait_dscnt 0x0
	v_max_num_f32_e32 v2, v8, v8
	ds_bpermute_b32 v8, v6, v0
	v_max_num_f32_e32 v1, v1, v2
	s_delay_alu instid0(VALU_DEP_1) | instskip(NEXT) | instid1(VALU_DEP_1)
	v_div_scale_f32 v2, null, 0x42fe0000, 0x42fe0000, v1
	v_rcp_f32_e32 v12, v2
	s_delay_alu instid0(TRANS32_DEP_1) | instskip(NEXT) | instid1(VALU_DEP_1)
	v_fma_f32 v3, -v2, v12, 1.0
	v_fmac_f32_e32 v12, v3, v12
	v_div_scale_f32 v14, vcc_lo, v1, 0x42fe0000, v1
	s_wait_dscnt 0x0
	v_add_f32_e32 v3, v0, v8
	s_delay_alu instid0(VALU_DEP_2) | instskip(SKIP_2) | instid1(VALU_DEP_1)
	v_mul_f32_e32 v15, v14, v12
	ds_bpermute_b32 v8, v5, v3
	v_fma_f32 v16, -v2, v15, v14
	v_fmac_f32_e32 v15, v16, v12
	s_delay_alu instid0(VALU_DEP_1) | instskip(SKIP_1) | instid1(VALU_DEP_1)
	v_fma_f32 v0, -v2, v15, v14
	s_wait_alu 0xfffd
	v_div_fmas_f32 v0, v0, v12, v15
	v_mov_b32_e32 v12, 0
	s_delay_alu instid0(VALU_DEP_2)
	v_div_fixup_f32 v2, v0, 0x42fe0000, v1
	s_wait_alu 0xfffe
	v_add_co_u32 v0, s3, s4, v13
	s_wait_alu 0xf1ff
	v_add_co_ci_u32_e64 v1, null, s5, 0, s3
	v_cmpx_neq_f32_e32 0, v2
	s_cbranch_execz .LBB27_5
; %bb.4:
	v_div_scale_f32 v12, null, v2, v2, v7
	v_div_scale_f32 v13, null, v2, v2, v9
	;; [unrolled: 1-line block ×3, first 2 shown]
	s_delay_alu instid0(VALU_DEP_3) | instskip(SKIP_1) | instid1(VALU_DEP_3)
	v_rcp_f32_e32 v14, v12
	v_div_scale_f32 v16, null, v2, v2, v10
	v_rcp_f32_e32 v17, v13
	s_delay_alu instid0(VALU_DEP_2) | instskip(SKIP_1) | instid1(VALU_DEP_2)
	v_rcp_f32_e32 v18, v15
	v_div_scale_f32 v22, vcc_lo, v7, v2, v7
	v_rcp_f32_e32 v19, v16
	v_fma_f32 v20, -v12, v14, 1.0
	s_delay_alu instid0(TRANS32_DEP_3) | instskip(NEXT) | instid1(TRANS32_DEP_2)
	v_fma_f32 v21, -v13, v17, 1.0
	v_fma_f32 v23, -v15, v18, 1.0
	s_delay_alu instid0(VALU_DEP_3) | instskip(SKIP_1) | instid1(TRANS32_DEP_1)
	v_fmac_f32_e32 v14, v20, v14
	v_div_scale_f32 v20, s3, v9, v2, v9
	v_fma_f32 v24, -v16, v19, 1.0
	s_delay_alu instid0(VALU_DEP_4) | instskip(SKIP_1) | instid1(VALU_DEP_3)
	v_dual_fmac_f32 v17, v21, v17 :: v_dual_fmac_f32 v18, v23, v18
	v_div_scale_f32 v21, s4, v11, v2, v11
	v_dual_fmac_f32 v19, v24, v19 :: v_dual_mul_f32 v24, v22, v14
	s_delay_alu instid0(VALU_DEP_3) | instskip(SKIP_1) | instid1(VALU_DEP_4)
	v_mul_f32_e32 v25, v20, v17
	v_div_scale_f32 v23, s5, v10, v2, v10
	v_mul_f32_e32 v26, v21, v18
	s_delay_alu instid0(VALU_DEP_4) | instskip(NEXT) | instid1(VALU_DEP_4)
	v_fma_f32 v28, -v12, v24, v22
	v_fma_f32 v29, -v13, v25, v20
	s_delay_alu instid0(VALU_DEP_4) | instskip(NEXT) | instid1(VALU_DEP_4)
	v_mul_f32_e32 v27, v23, v19
	v_fma_f32 v30, -v15, v26, v21
	s_delay_alu instid0(VALU_DEP_3) | instskip(NEXT) | instid1(VALU_DEP_3)
	v_dual_fmac_f32 v24, v28, v14 :: v_dual_fmac_f32 v25, v29, v17
	v_fma_f32 v31, -v16, v27, v23
	s_delay_alu instid0(VALU_DEP_3) | instskip(NEXT) | instid1(VALU_DEP_3)
	v_fmac_f32_e32 v26, v30, v18
	v_fma_f32 v12, -v12, v24, v22
	s_delay_alu instid0(VALU_DEP_4) | instskip(NEXT) | instid1(VALU_DEP_4)
	v_fma_f32 v13, -v13, v25, v20
	v_fmac_f32_e32 v27, v31, v19
	s_delay_alu instid0(VALU_DEP_4)
	v_fma_f32 v15, -v15, v26, v21
	s_wait_alu 0xfffd
	v_div_fmas_f32 v12, v12, v14, v24
	s_mov_b32 vcc_lo, s3
	s_wait_alu 0xfffe
	v_div_fmas_f32 v13, v13, v17, v25
	s_mov_b32 vcc_lo, s4
	v_div_fixup_f32 v7, v12, v2, v7
	s_wait_alu 0xfffe
	v_div_fmas_f32 v14, v15, v18, v26
	v_fma_f32 v15, -v16, v27, v23
	s_mov_b32 vcc_lo, s5
	v_div_fixup_f32 v9, v13, v2, v9
	v_trunc_f32_e32 v17, v7
	v_div_fixup_f32 v11, v14, v2, v11
	s_wait_alu 0xfffe
	v_div_fmas_f32 v14, v15, v19, v27
	s_delay_alu instid0(VALU_DEP_2) | instskip(NEXT) | instid1(VALU_DEP_2)
	v_trunc_f32_e32 v13, v11
	v_div_fixup_f32 v10, v14, v2, v10
	v_trunc_f32_e32 v14, v9
	s_delay_alu instid0(VALU_DEP_3) | instskip(NEXT) | instid1(VALU_DEP_3)
	v_sub_f32_e32 v15, v11, v13
	v_trunc_f32_e32 v12, v10
	s_delay_alu instid0(VALU_DEP_3) | instskip(NEXT) | instid1(VALU_DEP_3)
	v_sub_f32_e32 v16, v9, v14
	v_cmp_ge_f32_e64 s3, |v15|, 0.5
	s_delay_alu instid0(VALU_DEP_3) | instskip(SKIP_1) | instid1(VALU_DEP_2)
	v_sub_f32_e32 v18, v10, v12
	s_wait_alu 0xf1ff
	v_cndmask_b32_e64 v15, 0, 1.0, s3
	v_cmp_ge_f32_e64 s3, |v16|, 0.5
	s_delay_alu instid0(VALU_DEP_2) | instskip(SKIP_1) | instid1(VALU_DEP_2)
	v_bfi_b32 v11, 0x7fffffff, v15, v11
	s_wait_alu 0xf1ff
	v_cndmask_b32_e64 v16, 0, 1.0, s3
	v_sub_f32_e32 v15, v7, v17
	v_cmp_ge_f32_e64 s3, |v18|, 0.5
	s_delay_alu instid0(VALU_DEP_3) | instskip(SKIP_1) | instid1(VALU_DEP_2)
	v_bfi_b32 v9, 0x7fffffff, v16, v9
	s_wait_alu 0xf1ff
	v_cndmask_b32_e64 v18, 0, 1.0, s3
	v_cmp_ge_f32_e64 s3, |v15|, 0.5
	s_delay_alu instid0(VALU_DEP_3) | instskip(NEXT) | instid1(VALU_DEP_3)
	v_add_f32_e32 v9, v14, v9
	v_bfi_b32 v10, 0x7fffffff, v18, v10
	v_add_f32_e32 v11, v13, v11
	s_wait_alu 0xf1ff
	v_cndmask_b32_e64 v13, 0, 1.0, s3
	v_cvt_i32_f32_e32 v9, v9
	v_add_f32_e32 v10, v12, v10
	v_cvt_i32_f32_e32 v11, v11
	s_delay_alu instid0(VALU_DEP_4) | instskip(NEXT) | instid1(VALU_DEP_4)
	v_bfi_b32 v7, 0x7fffffff, v13, v7
	v_and_b32_e32 v9, 0xff, v9
	s_delay_alu instid0(VALU_DEP_4) | instskip(NEXT) | instid1(VALU_DEP_4)
	v_cvt_i32_f32_e32 v10, v10
	v_and_b32_e32 v11, 0xff, v11
	s_delay_alu instid0(VALU_DEP_4) | instskip(NEXT) | instid1(VALU_DEP_4)
	v_add_f32_e32 v7, v17, v7
	v_lshlrev_b32_e32 v9, 8, v9
	s_delay_alu instid0(VALU_DEP_3) | instskip(NEXT) | instid1(VALU_DEP_3)
	v_lshlrev_b32_e32 v11, 16, v11
	v_cvt_i32_f32_e32 v7, v7
	s_delay_alu instid0(VALU_DEP_2) | instskip(NEXT) | instid1(VALU_DEP_2)
	v_lshl_or_b32 v10, v10, 24, v11
	v_and_b32_e32 v7, 0xff, v7
	s_delay_alu instid0(VALU_DEP_1)
	v_or3_b32 v12, v10, v9, v7
.LBB27_5:
	s_or_b32 exec_lo, exec_lo, s6
	v_and_b32_e32 v9, 7, v33
	v_lshlrev_b32_e32 v7, 2, v33
	s_delay_alu instid0(VALU_DEP_2)
	v_cmp_eq_u32_e64 s3, 0, v9
	ds_store_b32 v7, v12
	s_and_saveexec_b32 s4, s3
	s_cbranch_execz .LBB27_7
; %bb.6:
	s_wait_dscnt 0x1
	v_add_f32_e32 v3, v3, v8
	ds_store_b64 v33, v[2:3] offset:256
.LBB27_7:
	s_wait_alu 0xfffe
	s_or_b32 exec_lo, exec_lo, s4
	global_load_b128 v[11:14], v[0:1], off offset:512
	s_wait_loadcnt_dscnt 0x1
	v_dual_mul_f32 v3, s8, v11 :: v_dual_mul_f32 v8, s8, v12
	v_dual_mul_f32 v10, s8, v13 :: v_dual_mul_f32 v9, s8, v14
	s_delay_alu instid0(VALU_DEP_2) | instskip(SKIP_1) | instid1(VALU_DEP_2)
	v_max_num_f32_e64 v0, |v3|, |v8|
	v_fma_f32 v2, s8, v11, v8
	v_max3_num_f32 v0, v0, |v10|, |v9|
	s_delay_alu instid0(VALU_DEP_2)
	v_fmac_f32_e32 v2, s8, v13
	ds_bpermute_b32 v1, v4, v0
	v_fmac_f32_e32 v2, s8, v14
	s_mov_b32 s8, exec_lo
	ds_bpermute_b32 v4, v4, v2
	s_wait_dscnt 0x1
	v_max_num_f32_e32 v1, v1, v1
	s_delay_alu instid0(VALU_DEP_1) | instskip(SKIP_3) | instid1(VALU_DEP_1)
	v_max_num_f32_e32 v0, v0, v1
	ds_bpermute_b32 v1, v6, v0
	s_wait_dscnt 0x0
	v_max_num_f32_e32 v1, v1, v1
	v_max_num_f32_e32 v0, v0, v1
	ds_bpermute_b32 v1, v5, v0
	s_wait_dscnt 0x0
	v_max_num_f32_e32 v1, v1, v1
	s_delay_alu instid0(VALU_DEP_1) | instskip(NEXT) | instid1(VALU_DEP_1)
	v_dual_max_num_f32 v0, v0, v1 :: v_dual_add_f32 v1, v2, v4
	v_div_scale_f32 v11, null, 0x42fe0000, 0x42fe0000, v0
	ds_bpermute_b32 v4, v6, v1
	v_div_scale_f32 v6, vcc_lo, v0, 0x42fe0000, v0
	v_rcp_f32_e32 v12, v11
	s_delay_alu instid0(TRANS32_DEP_1) | instskip(NEXT) | instid1(VALU_DEP_1)
	v_fma_f32 v2, -v11, v12, 1.0
	v_fmac_f32_e32 v12, v2, v12
	s_wait_dscnt 0x0
	v_add_f32_e32 v1, v1, v4
	s_delay_alu instid0(VALU_DEP_2) | instskip(NEXT) | instid1(VALU_DEP_1)
	v_mul_f32_e32 v13, v6, v12
	v_fma_f32 v2, -v11, v13, v6
	s_delay_alu instid0(VALU_DEP_1) | instskip(SKIP_3) | instid1(VALU_DEP_1)
	v_fmac_f32_e32 v13, v2, v12
	ds_bpermute_b32 v2, v5, v1
	v_fma_f32 v4, -v11, v13, v6
	s_wait_alu 0xfffd
	v_div_fmas_f32 v4, v4, v12, v13
	s_delay_alu instid0(VALU_DEP_1) | instskip(SKIP_1) | instid1(VALU_DEP_2)
	v_div_fixup_f32 v0, v4, 0x42fe0000, v0
	v_mov_b32_e32 v4, 0
	v_cmpx_neq_f32_e32 0, v0
	s_cbranch_execz .LBB27_9
; %bb.8:
	v_div_scale_f32 v4, null, v0, v0, v3
	v_div_scale_f32 v5, null, v0, v0, v8
	;; [unrolled: 1-line block ×3, first 2 shown]
	s_delay_alu instid0(VALU_DEP_3) | instskip(SKIP_1) | instid1(VALU_DEP_3)
	v_rcp_f32_e32 v6, v4
	v_div_scale_f32 v12, null, v0, v0, v9
	v_rcp_f32_e32 v13, v5
	s_delay_alu instid0(VALU_DEP_2) | instskip(SKIP_1) | instid1(VALU_DEP_2)
	v_rcp_f32_e32 v14, v11
	v_div_scale_f32 v18, vcc_lo, v3, v0, v3
	v_rcp_f32_e32 v15, v12
	v_fma_f32 v16, -v4, v6, 1.0
	s_delay_alu instid0(TRANS32_DEP_3) | instskip(NEXT) | instid1(TRANS32_DEP_2)
	v_fma_f32 v17, -v5, v13, 1.0
	v_fma_f32 v19, -v11, v14, 1.0
	s_delay_alu instid0(VALU_DEP_3) | instskip(SKIP_1) | instid1(TRANS32_DEP_1)
	v_fmac_f32_e32 v6, v16, v6
	v_div_scale_f32 v16, s4, v8, v0, v8
	v_fma_f32 v20, -v12, v15, 1.0
	s_delay_alu instid0(VALU_DEP_4) | instskip(SKIP_1) | instid1(VALU_DEP_3)
	v_dual_fmac_f32 v13, v17, v13 :: v_dual_fmac_f32 v14, v19, v14
	v_div_scale_f32 v17, s5, v10, v0, v10
	v_dual_fmac_f32 v15, v20, v15 :: v_dual_mul_f32 v20, v18, v6
	s_delay_alu instid0(VALU_DEP_3) | instskip(SKIP_1) | instid1(VALU_DEP_4)
	v_mul_f32_e32 v21, v16, v13
	v_div_scale_f32 v19, s6, v9, v0, v9
	v_mul_f32_e32 v22, v17, v14
	s_delay_alu instid0(VALU_DEP_4) | instskip(NEXT) | instid1(VALU_DEP_4)
	v_fma_f32 v24, -v4, v20, v18
	v_fma_f32 v25, -v5, v21, v16
	s_delay_alu instid0(VALU_DEP_4) | instskip(NEXT) | instid1(VALU_DEP_4)
	v_mul_f32_e32 v23, v19, v15
	v_fma_f32 v26, -v11, v22, v17
	s_delay_alu instid0(VALU_DEP_3) | instskip(NEXT) | instid1(VALU_DEP_3)
	v_dual_fmac_f32 v20, v24, v6 :: v_dual_fmac_f32 v21, v25, v13
	v_fma_f32 v27, -v12, v23, v19
	s_delay_alu instid0(VALU_DEP_3) | instskip(NEXT) | instid1(VALU_DEP_3)
	v_fmac_f32_e32 v22, v26, v14
	v_fma_f32 v4, -v4, v20, v18
	s_delay_alu instid0(VALU_DEP_4) | instskip(NEXT) | instid1(VALU_DEP_4)
	v_fma_f32 v5, -v5, v21, v16
	v_fmac_f32_e32 v23, v27, v15
	s_delay_alu instid0(VALU_DEP_4)
	v_fma_f32 v11, -v11, v22, v17
	s_wait_alu 0xfffd
	v_div_fmas_f32 v4, v4, v6, v20
	s_mov_b32 vcc_lo, s4
	s_wait_alu 0xfffe
	v_div_fmas_f32 v5, v5, v13, v21
	s_mov_b32 vcc_lo, s5
	v_div_fixup_f32 v3, v4, v0, v3
	s_wait_alu 0xfffe
	v_div_fmas_f32 v6, v11, v14, v22
	v_fma_f32 v11, -v12, v23, v19
	s_mov_b32 vcc_lo, s6
	v_div_fixup_f32 v5, v5, v0, v8
	v_trunc_f32_e32 v13, v3
	v_div_fixup_f32 v6, v6, v0, v10
	s_wait_alu 0xfffe
	v_div_fmas_f32 v10, v11, v15, v23
	s_delay_alu instid0(VALU_DEP_2) | instskip(NEXT) | instid1(VALU_DEP_2)
	v_trunc_f32_e32 v8, v6
	v_div_fixup_f32 v9, v10, v0, v9
	v_trunc_f32_e32 v10, v5
	s_delay_alu instid0(VALU_DEP_3) | instskip(NEXT) | instid1(VALU_DEP_3)
	v_sub_f32_e32 v11, v6, v8
	v_trunc_f32_e32 v4, v9
	s_delay_alu instid0(VALU_DEP_3) | instskip(NEXT) | instid1(VALU_DEP_3)
	v_sub_f32_e32 v12, v5, v10
	v_cmp_ge_f32_e64 s4, |v11|, 0.5
	s_delay_alu instid0(VALU_DEP_3) | instskip(SKIP_1) | instid1(VALU_DEP_2)
	v_sub_f32_e32 v14, v9, v4
	s_wait_alu 0xf1ff
	v_cndmask_b32_e64 v11, 0, 1.0, s4
	v_cmp_ge_f32_e64 s4, |v12|, 0.5
	s_delay_alu instid0(VALU_DEP_2) | instskip(SKIP_1) | instid1(VALU_DEP_2)
	v_bfi_b32 v6, 0x7fffffff, v11, v6
	s_wait_alu 0xf1ff
	v_cndmask_b32_e64 v12, 0, 1.0, s4
	v_sub_f32_e32 v11, v3, v13
	v_cmp_ge_f32_e64 s4, |v14|, 0.5
	s_delay_alu instid0(VALU_DEP_3) | instskip(SKIP_2) | instid1(VALU_DEP_3)
	v_bfi_b32 v5, 0x7fffffff, v12, v5
	v_add_f32_e32 v6, v8, v6
	s_wait_alu 0xf1ff
	v_cndmask_b32_e64 v14, 0, 1.0, s4
	v_cmp_ge_f32_e64 s4, |v11|, 0.5
	v_add_f32_e32 v5, v10, v5
	v_cvt_i32_f32_e32 v6, v6
	s_delay_alu instid0(VALU_DEP_4) | instskip(SKIP_4) | instid1(VALU_DEP_3)
	v_bfi_b32 v9, 0x7fffffff, v14, v9
	s_wait_alu 0xf1ff
	v_cndmask_b32_e64 v8, 0, 1.0, s4
	v_cvt_i32_f32_e32 v5, v5
	v_and_b32_e32 v6, 0xff, v6
	v_bfi_b32 v3, 0x7fffffff, v8, v3
	v_add_f32_e32 v4, v4, v9
	s_delay_alu instid0(VALU_DEP_4) | instskip(NEXT) | instid1(VALU_DEP_3)
	v_and_b32_e32 v5, 0xff, v5
	v_dual_add_f32 v3, v13, v3 :: v_dual_lshlrev_b32 v6, 16, v6
	s_delay_alu instid0(VALU_DEP_3) | instskip(NEXT) | instid1(VALU_DEP_3)
	v_cvt_i32_f32_e32 v4, v4
	v_lshlrev_b32_e32 v5, 8, v5
	s_delay_alu instid0(VALU_DEP_3) | instskip(NEXT) | instid1(VALU_DEP_3)
	v_cvt_i32_f32_e32 v3, v3
	v_lshl_or_b32 v4, v4, 24, v6
	s_delay_alu instid0(VALU_DEP_2) | instskip(NEXT) | instid1(VALU_DEP_1)
	v_and_b32_e32 v3, 0xff, v3
	v_or3_b32 v4, v4, v5, v3
.LBB27_9:
	s_wait_alu 0xfffe
	s_or_b32 exec_lo, exec_lo, s8
	ds_store_b32 v7, v4 offset:128
	s_and_b32 exec_lo, exec_lo, s3
	s_cbranch_execz .LBB27_11
; %bb.10:
	s_wait_dscnt 0x1
	v_add_f32_e32 v1, v1, v2
	ds_store_b64 v33, v[0:1] offset:288
.LBB27_11:
	s_wait_alu 0xfffe
	s_or_b32 exec_lo, exec_lo, s9
	s_wait_dscnt 0x1
	v_dual_mov_b32 v11, 0 :: v_dual_and_b32 v2, 1, v33
	s_wait_storecnt_dscnt 0x0
	s_barrier_signal -1
	s_barrier_wait -1
	s_delay_alu instid0(VALU_DEP_1)
	v_lshlrev_b32_e32 v0, 2, v2
	global_inv scope:SCOPE_SE
	s_ashr_i32 s93, s92, 31
	s_ashr_i32 s3, s22, 31
	;; [unrolled: 1-line block ×3, first 2 shown]
	ds_load_2addr_b32 v[3:4], v0 offset1:2
	s_mul_u64 s[4:5], s[14:15], s[18:19]
	s_mul_u64 s[8:9], s[12:13], s[16:17]
	s_wait_kmcnt 0x0
	s_cmp_eq_u64 s[78:79], 0
	s_wait_dscnt 0x0
	scratch_store_b64 off, v[3:4], off offset:16 ; 8-byte Folded Spill
	ds_load_2addr_b32 v[3:4], v0 offset0:4 offset1:6
	s_wait_dscnt 0x0
	scratch_store_b64 off, v[3:4], off offset:24 ; 8-byte Folded Spill
	ds_load_2addr_b32 v[3:4], v0 offset0:8 offset1:10
	s_wait_dscnt 0x0
	scratch_store_b64 off, v[3:4], off offset:32 ; 8-byte Folded Spill
	ds_load_2addr_b32 v[3:4], v0 offset0:12 offset1:14
	s_wait_dscnt 0x0
	scratch_store_b64 off, v[3:4], off offset:40 ; 8-byte Folded Spill
	ds_load_b128 v[3:6], v11 offset:256
	s_wait_dscnt 0x0
	scratch_store_b128 off, v[3:6], off offset:48 ; 16-byte Folded Spill
	ds_load_b128 v[3:6], v11 offset:272
	s_wait_dscnt 0x0
	scratch_store_b128 off, v[3:6], off offset:64 ; 16-byte Folded Spill
	;; [unrolled: 3-line block ×4, first 2 shown]
	ds_load_2addr_b32 v[3:4], v0 offset0:16 offset1:18
	s_wait_dscnt 0x0
	scratch_store_b64 off, v[3:4], off offset:112 ; 8-byte Folded Spill
	ds_load_2addr_b32 v[3:4], v0 offset0:20 offset1:22
	s_wait_dscnt 0x0
	scratch_store_b64 off, v[3:4], off offset:120 ; 8-byte Folded Spill
	;; [unrolled: 3-line block ×12, first 2 shown]
	s_wait_loadcnt 0x0
	s_wait_storecnt 0x0
	s_barrier_signal -1
	s_barrier_wait -1
	global_inv scope:SCOPE_SE
	s_cbranch_scc1 .LBB27_13
; %bb.12:
	s_load_b32 s4, s[0:1], 0xd0
	s_mov_b32 s11, 0
	s_wait_kmcnt 0x0
	s_mul_i32 s4, s4, s90
	s_wait_alu 0xfffe
	s_add_co_i32 s10, s4, ttmp9
	s_wait_alu 0xfffe
	s_lshl_b64 s[10:11], s[10:11], 2
	s_wait_alu 0xfffe
	s_add_nc_u64 s[10:11], s[78:79], s[10:11]
	s_load_b32 s94, s[10:11], 0x0
.LBB27_13:
	v_lshlrev_b32_e32 v1, 5, v32
	s_and_b32 s95, ttmp7, 0xffff
	v_lshlrev_b32_e32 v14, 2, v33
	s_lshl_b32 s100, s95, 7
	s_mov_b32 s69, 0
	v_add_nc_u32_e32 v15, v1, v33
	s_wait_kmcnt 0x0
	s_cmp_ge_i32 s100, s94
	s_delay_alu instid0(VALU_DEP_1)
	v_lshlrev_b32_e32 v3, 1, v15
	scratch_store_b32 off, v3, off offset:552 ; 4-byte Folded Spill
	s_cbranch_scc1 .LBB27_29
; %bb.14:
	s_clause 0x1
	scratch_store_b32 off, v15, off offset:584
	scratch_store_b32 off, v32, off offset:580
	s_clause 0x1
	s_load_b64 s[96:97], s[0:1], 0x8c
	s_load_b128 s[84:87], s[0:1], 0x98
	s_mul_i32 s4, s5, s21
	s_xor_b32 s3, s93, s3
	s_wait_alu 0xfffe
	s_sub_co_i32 s4, s14, s4
	s_add_co_i32 s6, s5, 1
	s_wait_alu 0xfffe
	s_sub_co_i32 s8, s4, s21
	s_cmp_ge_u32 s4, s21
	v_and_b32_e32 v3, 0x7e, v33
	s_cselect_b32 s6, s6, s5
	s_wait_alu 0xfffe
	s_cselect_b32 s4, s8, s4
	s_add_co_i32 s8, s6, 1
	s_wait_alu 0xfffe
	s_cmp_ge_u32 s4, s21
	s_load_b64 s[4:5], s[0:1], 0xc8
	s_cselect_b32 s6, s8, s6
	s_mul_i32 s8, s9, s20
	s_wait_alu 0xfffe
	s_xor_b32 s6, s6, s3
	s_sub_co_i32 s8, s12, s8
	s_wait_alu 0xfffe
	s_sub_co_i32 s3, s6, s3
	s_sub_co_i32 s9, s8, s20
	s_wait_kmcnt 0x0
	s_wait_alu 0xfffe
	s_mul_i32 s78, s3, s97
	s_mul_i32 s98, s3, s87
	s_ashr_i32 s79, s78, 31
	s_ashr_i32 s99, s98, 31
	s_cmp_ge_u32 s8, s20
	s_mul_i32 s6, s7, ttmp9
	s_cselect_b32 s3, s9, s8
	s_clause 0x1
	s_load_b32 s68, s[0:1], 0xd4
	s_load_b64 s[8:9], s[0:1], 0xa8
	s_sub_co_i32 s7, s3, s20
	s_cmp_ge_u32 s3, s20
	v_add_nc_u32_e32 v7, v1, v3
	s_wait_alu 0xfffe
	s_cselect_b32 s3, s7, s3
	v_add_nc_u32_e32 v3, 0x80, v14
	s_wait_alu 0xfffe
	s_xor_b32 s3, s3, s91
	s_ashr_i32 s7, s6, 31
	s_wait_alu 0xfffe
	s_sub_co_i32 s10, s3, s91
	v_cmp_eq_u32_e64 s3, 0, v2
	v_bfe_u32 v2, v33, 3, 27
	s_wait_alu 0xfffe
	s_ashr_i32 s11, s10, 31
	s_cmp_lg_u64 s[74:75], 0
	v_lshrrev_b32_e32 v4, 5, v3
	v_and_b32_e32 v11, 12, v3
	v_mul_hi_u32_u24_e32 v3, 18, v2
	v_mul_u32_u24_e32 v2, 18, v2
	s_wait_alu 0xfffe
	s_mul_u64 s[4:5], s[4:5], s[10:11]
	s_cselect_b32 s87, -1, 0
	s_lshl_b32 s10, s100, 1
	s_mov_b32 s11, s69
	v_lshlrev_b32_e32 v5, 1, v7
	s_wait_alu 0xfffe
	s_add_nc_u64 s[4:5], s[4:5], s[10:11]
	s_add_nc_u64 s[6:7], s[74:75], s[6:7]
	v_mul_lo_u32 v6, v1, s86
	s_wait_alu 0xfffe
	s_add_nc_u64 s[4:5], s[6:7], s[4:5]
	s_wait_kmcnt 0x0
	v_mad_co_u64_u32 v[2:3], null, s8, s90, v[2:3]
	s_wait_alu 0xfffe
	v_add_co_u32 v15, s4, s4, v5
	s_wait_alu 0xf1ff
	v_add_co_ci_u32_e64 v16, null, s5, 0, s4
	s_mul_i32 s4, s9, s90
	s_mul_i32 s5, s8, s91
	v_mul_hi_u32_u24_e32 v5, 18, v4
	v_mul_u32_u24_e32 v4, 18, v4
	s_wait_alu 0xfffe
	s_add_co_i32 s5, s5, s4
	v_ashrrev_i32_e32 v9, 31, v6
	v_add_co_u32 v56, vcc_lo, v15, 2
	s_wait_alu 0xfffe
	v_add_nc_u32_e32 v15, s5, v3
	v_mad_co_u64_u32 v[3:4], null, s8, s90, v[4:5]
	s_wait_alu 0xfffd
	v_add_co_ci_u32_e64 v57, null, 0, v16, vcc_lo
	v_add_co_u32 v5, vcc_lo, v2, v6
	s_wait_alu 0xfffd
	v_add_co_ci_u32_e64 v24, null, v15, v9, vcc_lo
	v_add_co_u32 v16, vcc_lo, v2, v11
	s_wait_alu 0xfffd
	v_add_co_ci_u32_e64 v17, null, 0, v15, vcc_lo
	v_add_nc_u32_e32 v4, s5, v4
	s_delay_alu instid0(VALU_DEP_3) | instskip(SKIP_1) | instid1(VALU_DEP_3)
	v_add_co_u32 v25, vcc_lo, v16, v6
	s_wait_alu 0xfffd
	v_add_co_ci_u32_e64 v26, null, v17, v9, vcc_lo
	v_add_co_u32 v11, vcc_lo, v3, v11
	s_wait_alu 0xfffd
	v_add_co_ci_u32_e64 v18, null, 0, v4, vcc_lo
	v_add_co_u32 v27, vcc_lo, v3, v6
	v_add_nc_u32_e32 v8, s86, v6
	s_wait_alu 0xfffd
	v_add_co_ci_u32_e64 v28, null, v4, v9, vcc_lo
	v_add_co_u32 v6, vcc_lo, v11, v6
	s_wait_alu 0xfffd
	v_add_co_ci_u32_e64 v9, null, v18, v9, vcc_lo
	v_add_co_u32 v2, vcc_lo, v2, s98
	v_ashrrev_i32_e32 v12, 31, v8
	s_wait_alu 0xfffd
	v_add_co_ci_u32_e64 v15, null, s99, v15, vcc_lo
	v_add_co_u32 v16, vcc_lo, v16, s98
	s_wait_alu 0xfffd
	v_add_co_ci_u32_e64 v29, null, s99, v17, vcc_lo
	v_add_co_u32 v30, vcc_lo, v2, v8
	;; [unrolled: 3-line block ×3, first 2 shown]
	s_clause 0x1
	scratch_store_b32 off, v14, off offset:588
	scratch_store_b32 off, v33, off offset:576
	s_wait_alu 0xfffd
	v_add_co_ci_u32_e64 v33, null, v29, v12, vcc_lo
	v_add_co_u32 v3, vcc_lo, v3, s98
	v_add_nc_u32_e32 v10, s86, v8
	s_wait_alu 0xfffd
	v_add_co_ci_u32_e64 v4, null, s99, v4, vcc_lo
	v_add_co_u32 v11, vcc_lo, v11, s98
	s_wait_alu 0xfffd
	v_add_co_ci_u32_e64 v34, null, s99, v18, vcc_lo
	v_add_nc_u32_e32 v17, 31, v1
	v_add_co_u32 v35, vcc_lo, v3, v8
	v_ashrrev_i32_e32 v13, 31, v10
	s_wait_alu 0xfffd
	v_add_co_ci_u32_e64 v36, null, v4, v12, vcc_lo
	v_add_co_u32 v8, vcc_lo, v11, v8
	s_wait_alu 0xfffd
	v_add_co_ci_u32_e64 v12, null, v34, v12, vcc_lo
	v_mul_lo_u32 v17, s86, v17
	v_add_co_u32 v37, vcc_lo, v2, v10
	s_wait_alu 0xfffd
	v_add_co_ci_u32_e64 v38, null, v15, v13, vcc_lo
	v_add_co_u32 v39, vcc_lo, v16, v10
	v_add_nc_u32_e32 v18, 30, v1
	s_wait_alu 0xfffd
	v_add_co_ci_u32_e64 v40, null, v29, v13, vcc_lo
	v_add_co_u32 v41, vcc_lo, v3, v10
	v_add_nc_u32_e32 v14, s86, v10
	s_wait_alu 0xfffd
	v_add_co_ci_u32_e64 v42, null, v4, v13, vcc_lo
	v_add_co_u32 v10, vcc_lo, v11, v10
	s_wait_alu 0xfffd
	v_add_co_ci_u32_e64 v43, null, v34, v13, vcc_lo
	v_mul_lo_u32 v13, s86, v18
	v_ashrrev_i32_e32 v18, 31, v17
	v_add_co_u32 v44, vcc_lo, v3, v17
	v_add_co_u32 v45, s4, v16, v17
	v_add_co_u32 v130, s5, v2, v17
	v_add_co_u32 v47, s6, v11, v17
	v_add_nc_u32_e32 v17, 29, v1
	s_wait_alu 0xf1ff
	v_add_co_ci_u32_e64 v48, null, v34, v18, s6
	s_wait_alu 0xfffd
	v_add_co_ci_u32_e64 v49, null, v4, v18, vcc_lo
	v_mul_lo_u32 v17, s86, v17
	v_add_co_ci_u32_e64 v50, null, v29, v18, s4
	v_add_co_ci_u32_e64 v51, null, v15, v18, s5
	v_ashrrev_i32_e32 v18, 31, v13
	v_add_co_u32 v52, vcc_lo, v3, v13
	v_add_co_u32 v53, s4, v16, v13
	v_add_co_u32 v129, s5, v2, v13
	v_add_co_u32 v55, s6, v11, v13
	v_add_nc_u32_e32 v13, 28, v1
	s_wait_alu 0xf1ff
	v_add_co_ci_u32_e64 v58, null, v34, v18, s6
	s_wait_alu 0xfffd
	v_add_co_ci_u32_e64 v59, null, v4, v18, vcc_lo
	v_add_co_ci_u32_e64 v60, null, v29, v18, s4
	v_add_co_ci_u32_e64 v61, null, v15, v18, s5
	v_mul_lo_u32 v13, s86, v13
	v_ashrrev_i32_e32 v18, 31, v17
	v_add_co_u32 v136, vcc_lo, v3, v17
	v_add_co_u32 v63, s4, v16, v17
	v_add_co_u32 v140, s5, v2, v17
	v_add_co_u32 v65, s6, v11, v17
	v_add_nc_u32_e32 v17, 27, v1
	s_wait_alu 0xf1ff
	v_add_co_ci_u32_e64 v66, null, v34, v18, s6
	s_wait_alu 0xfffd
	v_add_co_ci_u32_e64 v67, null, v4, v18, vcc_lo
	v_mul_lo_u32 v17, s86, v17
	v_add_co_ci_u32_e64 v68, null, v29, v18, s4
	v_add_co_ci_u32_e64 v141, null, v15, v18, s5
	v_ashrrev_i32_e32 v18, 31, v13
	v_add_co_u32 v145, vcc_lo, v3, v13
	v_add_co_u32 v72, s4, v16, v13
	v_add_co_u32 v143, s5, v2, v13
	v_add_co_u32 v74, s6, v11, v13
	v_add_nc_u32_e32 v13, 26, v1
	s_wait_alu 0xf1ff
	v_add_co_ci_u32_e64 v75, null, v34, v18, s6
	s_wait_alu 0xfffd
	v_add_co_ci_u32_e64 v76, null, v4, v18, vcc_lo
	v_add_co_ci_u32_e64 v77, null, v29, v18, s4
	v_add_co_ci_u32_e64 v151, null, v15, v18, s5
	;; [unrolled: 26-line block ×5, first 2 shown]
	v_mul_lo_u32 v13, s86, v13
	v_ashrrev_i32_e32 v18, 31, v17
	v_add_co_u32 v202, vcc_lo, v3, v17
	v_add_co_u32 v203, s4, v16, v17
	v_add_co_u32 v201, s5, v2, v17
	;; [unrolled: 1-line block ×3, first 2 shown]
	v_add_nc_u32_e32 v17, 19, v1
	s_wait_alu 0xf1ff
	v_add_co_ci_u32_e64 v123, null, v34, v18, s6
	s_wait_alu 0xfffd
	v_add_co_ci_u32_e64 v230, null, v4, v18, vcc_lo
	v_mul_lo_u32 v17, s86, v17
	v_add_co_ci_u32_e64 v218, null, v29, v18, s4
	v_add_co_ci_u32_e64 v206, null, v15, v18, s5
	v_ashrrev_i32_e32 v18, 31, v13
	v_add_co_u32 v207, vcc_lo, v3, v13
	v_add_co_u32 v222, s4, v16, v13
	v_add_co_u32 v214, s5, v2, v13
	;; [unrolled: 1-line block ×3, first 2 shown]
	s_wait_alu 0xf1ff
	v_add_co_ci_u32_e64 v239, null, v34, v18, s6
	s_wait_alu 0xfffd
	v_add_co_ci_u32_e64 v234, null, v4, v18, vcc_lo
	v_add_co_ci_u32_e64 v223, null, v29, v18, s4
	v_add_co_ci_u32_e64 v215, null, v15, v18, s5
	v_ashrrev_i32_e32 v13, 31, v17
	v_add_co_u32 v220, vcc_lo, v3, v17
	v_add_co_u32 v221, s4, v16, v17
	v_add_co_u32 v227, s5, v2, v17
	;; [unrolled: 1-line block ×3, first 2 shown]
	v_add_nc_u32_e32 v17, s86, v14
	s_wait_alu 0xf1ff
	v_add_co_ci_u32_e64 v216, null, v34, v13, s6
	s_wait_alu 0xfffd
	v_add_co_ci_u32_e64 v225, null, v4, v13, vcc_lo
	v_add_nc_u32_e32 v18, s86, v17
	v_add_co_ci_u32_e64 v219, null, v29, v13, s4
	v_add_co_ci_u32_e64 v224, null, v15, v13, s5
	s_delay_alu instid0(VALU_DEP_3) | instskip(SKIP_3) | instid1(VALU_DEP_4)
	v_add_nc_u32_e32 v13, s86, v18
	v_lshlrev_b32_e32 v1, 1, v1
	v_ashrrev_i32_e32 v115, 31, v18
	v_add_co_u32 v156, s53, v3, v18
	v_add_nc_u32_e32 v19, s86, v13
	v_ashrrev_i32_e32 v114, 31, v13
	v_ashrrev_i32_e32 v116, 31, v17
	v_add_co_u32 v146, s59, v2, v17
	s_delay_alu instid0(VALU_DEP_4) | instskip(SKIP_3) | instid1(VALU_DEP_4)
	v_add_nc_u32_e32 v20, s86, v19
	v_ashrrev_i32_e32 v113, 31, v19
	v_add_co_u32 v144, s44, v11, v19
	v_add_co_u32 v153, s63, v2, v14
	v_add_nc_u32_e32 v21, s86, v20
	v_ashrrev_i32_e32 v112, 31, v20
	v_add_co_u32 v135, s41, v3, v20
	v_add_co_u32 v138, s42, v16, v20
	s_delay_alu instid0(VALU_DEP_4) | instskip(SKIP_3) | instid1(VALU_DEP_4)
	v_add_nc_u32_e32 v22, s86, v21
	v_ashrrev_i32_e32 v111, 31, v21
	v_add_co_u32 v134, s39, v2, v21
	v_add_co_u32 v142, s43, v2, v20
	v_add_nc_u32_e32 v23, s86, v22
	v_ashrrev_i32_e32 v110, 31, v22
	v_add_co_u32 v150, s57, v3, v17
	v_ashrrev_i32_e32 v118, 31, v14
	s_delay_alu instid0(VALU_DEP_4) | instskip(SKIP_3) | instid1(VALU_DEP_4)
	v_add_nc_u32_e32 v71, s86, v23
	v_ashrrev_i32_e32 v109, 31, v23
	v_add_co_u32 v148, s65, v3, v14
	v_add_co_u32 v147, s61, v16, v14
	v_add_nc_u32_e32 v102, s86, v71
	v_mul_lo_u32 v7, v7, s96
	scratch_store_b32 off, v1, off offset:572 ; 4-byte Folded Spill
	s_lshl_b32 s68, s68, 7
	v_add_nc_u32_e32 v103, s86, v102
	v_add_nc_u32_e32 v1, s96, v7
	s_delay_alu instid0(VALU_DEP_2) | instskip(SKIP_1) | instid1(VALU_DEP_2)
	v_add_nc_u32_e32 v104, s86, v103
	v_add_co_u32 v157, s18, v2, v103
	v_add_co_u32 v46, s14, v2, v104
	v_add_nc_u32_e32 v105, s86, v104
	v_add_co_u32 v249, s11, v11, v104
	scratch_store_b32 off, v46, off offset:616 ; 4-byte Folded Spill
	v_add_co_u32 v46, s15, v11, v103
	v_add_nc_u32_e32 v106, s86, v105
	v_add_co_u32 v240, s7, v11, v105
	scratch_store_b32 off, v46, off offset:632 ; 4-byte Folded Spill
	v_add_co_u32 v46, s16, v3, v103
	v_ashrrev_i32_e32 v107, 31, v106
	v_add_nc_u32_e32 v108, s86, v106
	v_add_co_u32 v231, vcc_lo, v11, v106
	scratch_store_b32 off, v46, off offset:604 ; 4-byte Folded Spill
	v_add_co_u32 v46, s17, v16, v103
	v_add_co_u32 v236, s4, v3, v106
	;; [unrolled: 1-line block ×3, first 2 shown]
	scratch_store_b32 off, v46, off offset:620 ; 4-byte Folded Spill
	v_add_co_u32 v46, s19, v11, v102
	v_add_co_u32 v238, s6, v2, v106
	v_ashrrev_i32_e32 v106, 31, v105
	scratch_store_b32 off, v46, off offset:608 ; 4-byte Folded Spill
	v_add_co_u32 v46, s20, v3, v102
	v_add_co_u32 v244, s8, v3, v105
	;; [unrolled: 1-line block ×3, first 2 shown]
	scratch_store_b32 off, v46, off offset:540 ; 4-byte Folded Spill
	v_add_co_u32 v46, s21, v16, v102
	v_add_co_u32 v248, s10, v2, v105
	v_ashrrev_i32_e32 v105, 31, v104
	scratch_store_b32 off, v46, off offset:592 ; 4-byte Folded Spill
	v_add_co_u32 v46, s22, v2, v102
	v_add_co_u32 v250, s12, v3, v104
	;; [unrolled: 1-line block ×3, first 2 shown]
	scratch_store_b32 off, v46, off offset:532 ; 4-byte Folded Spill
	v_add_co_u32 v46, s23, v11, v71
	v_ashrrev_i32_e32 v104, 31, v103
	v_ashrrev_i32_e32 v103, 31, v102
	;; [unrolled: 1-line block ×3, first 2 shown]
	scratch_store_b32 off, v46, off offset:544 ; 4-byte Folded Spill
	v_add_co_u32 v46, s24, v3, v71
	v_ashrrev_i32_e32 v117, 31, v108
	v_add_co_ci_u32_e64 v89, null, v34, v102, s23
	scratch_store_b32 off, v46, off offset:524 ; 4-byte Folded Spill
	v_add_co_u32 v46, s25, v16, v71
	v_add_co_ci_u32_e64 v81, null, v4, v102, s24
	v_add_co_ci_u32_e64 v73, null, v29, v102, s25
	scratch_store_b32 off, v46, off offset:536 ; 4-byte Folded Spill
	v_add_co_u32 v46, s26, v2, v71
	s_delay_alu instid0(VALU_DEP_1)
	v_add_co_ci_u32_e64 v95, null, v15, v102, s26
	v_add_co_u32 v71, s60, v16, v108
	scratch_store_b32 off, v46, off offset:512 ; 4-byte Folded Spill
	v_add_co_u32 v46, s27, v11, v23
	v_add_co_ci_u32_e64 v211, null, v29, v117, s60
	s_wait_alu 0xf1ff
	v_add_co_ci_u32_e64 v247, null, v4, v107, s4
	scratch_store_b32 off, v46, off offset:528 ; 4-byte Folded Spill
	v_add_co_u32 v46, s28, v3, v23
	v_add_co_ci_u32_e64 v235, null, v29, v107, s5
	v_add_co_ci_u32_e64 v246, null, v15, v107, s6
	scratch_store_b32 off, v46, off offset:504 ; 4-byte Folded Spill
	v_add_co_u32 v46, s29, v16, v23
	v_add_co_u32 v23, s30, v2, v23
	v_add_co_ci_u32_e64 v243, null, v4, v105, s12
	v_add_co_ci_u32_e64 v251, null, v34, v104, s15
	scratch_store_b32 off, v23, off offset:496 ; 4-byte Folded Spill
	v_add_co_u32 v23, s31, v11, v22
	v_add_co_ci_u32_e64 v124, null, v4, v104, s16
	v_add_co_ci_u32_e64 v62, null, v34, v103, s19
	scratch_store_b32 off, v23, off offset:508 ; 4-byte Folded Spill
	;; [unrolled: 4-line block ×3, first 2 shown]
	v_add_co_u32 v23, s34, v16, v22
	v_add_co_u32 v22, s35, v2, v22
	v_add_co_ci_u32_e64 v54, null, v4, v109, s28
	v_add_co_ci_u32_e64 v87, null, v29, v109, s29
	scratch_store_b32 off, v22, off offset:480 ; 4-byte Folded Spill
	v_add_co_u32 v22, s36, v11, v21
	v_add_co_ci_u32_e64 v94, null, v15, v109, s30
	v_add_co_ci_u32_e64 v79, null, v4, v110, s33
	scratch_store_b32 off, v22, off offset:492 ; 4-byte Folded Spill
	;; [unrolled: 4-line block ×3, first 2 shown]
	v_add_co_u32 v22, s38, v16, v21
	v_add_co_u32 v21, s40, v11, v20
	;; [unrolled: 1-line block ×3, first 2 shown]
	v_add_co_ci_u32_e64 v78, null, v29, v111, s38
	v_add_co_ci_u32_e64 v96, null, v34, v112, s40
	scratch_store_b32 off, v20, off offset:460 ; 4-byte Folded Spill
	v_add_co_u32 v20, s46, v16, v19
	v_add_co_u32 v19, s47, v2, v19
	s_delay_alu instid0(VALU_DEP_1)
	v_add_co_ci_u32_e64 v102, null, v15, v113, s47
	v_add_co_ci_u32_e64 v109, null, v4, v113, s45
	scratch_store_b32 off, v19, off offset:452 ; 4-byte Folded Spill
	v_add_co_u32 v19, s48, v11, v13
	scratch_store_b32 off, v102, off offset:660 ; 4-byte Folded Spill
	v_add_co_ci_u32_e64 v255, null, v15, v105, s14
	scratch_store_b32 off, v19, off offset:464 ; 4-byte Folded Spill
	v_add_co_u32 v19, s49, v3, v13
	s_delay_alu instid0(VALU_DEP_1)
	v_add_co_ci_u32_e64 v102, null, v4, v114, s49
	s_clause 0x1
	scratch_store_b32 off, v23, off offset:500
	scratch_store_b32 off, v19, off offset:404
	v_add_co_u32 v19, s50, v16, v13
	scratch_store_b32 off, v102, off offset:652 ; 4-byte Folded Spill
	v_add_co_ci_u32_e64 v102, null, v29, v114, s50
	v_add_co_u32 v13, s51, v2, v13
	v_add_co_u32 v23, s62, v2, v108
	scratch_store_b32 off, v102, off offset:656 ; 4-byte Folded Spill
	s_wait_alu 0xf1ff
	v_add_co_ci_u32_e64 v102, null, v15, v114, s51
	s_clause 0x1
	scratch_store_b32 off, v21, off offset:476
	scratch_store_b32 off, v13, off offset:396
	v_add_co_u32 v13, s52, v11, v18
	scratch_store_b32 off, v102, off offset:644 ; 4-byte Folded Spill
	v_add_co_ci_u32_e64 v102, null, v34, v115, s52
	s_clause 0x1
	scratch_store_b32 off, v46, off offset:520
	scratch_store_b32 off, v13, off offset:408
	v_add_co_u32 v13, s54, v16, v18
	scratch_store_b32 off, v102, off offset:648 ; 4-byte Folded Spill
	;; [unrolled: 6-line block ×3, first 2 shown]
	v_add_co_ci_u32_e64 v102, null, v29, v115, s54
	v_add_co_u32 v2, s64, v11, v14
	s_clause 0x1
	scratch_store_b32 off, v13, off
	scratch_store_b32 off, v102, off offset:640
	v_add_co_ci_u32_e64 v102, null, v15, v115, s55
	v_add_co_u32 v13, s56, v11, v17
	s_clause 0x1
	scratch_store_b32 off, v2, off offset:372
	scratch_store_b32 off, v102, off offset:624
	v_add_co_ci_u32_e64 v102, null, v34, v116, s56
	scratch_store_b32 off, v13, off offset:392 ; 4-byte Folded Spill
	v_add_co_u32 v2, s66, v11, v108
	scratch_store_b32 off, v102, off offset:628 ; 4-byte Folded Spill
	v_add_co_ci_u32_e64 v102, null, v4, v116, s57
	scratch_store_b32 off, v20, off offset:468 ; 4-byte Folded Spill
	s_wait_alu 0xf1ff
	v_add_co_ci_u32_e64 v11, null, v34, v117, s66
	v_add_co_u32 v3, s66, v3, v108
	v_add_co_u32 v13, s58, v16, v17
	s_wait_alu 0xf1ff
	v_add_co_ci_u32_e64 v14, null, v4, v117, s66
	v_add_co_ci_u32_e64 v108, null, v15, v117, s62
	s_wait_alu 0xfffd
	v_add_co_ci_u32_e64 v117, null, v34, v107, vcc_lo
	v_add_co_ci_u32_e64 v107, null, v34, v106, s7
	v_add_co_ci_u32_e64 v22, null, v4, v106, s8
	v_add_co_ci_u32_e64 v21, null, v34, v105, s11
	v_add_co_ci_u32_e64 v46, null, v34, v110, s31
	v_add_co_ci_u32_e64 v16, null, v4, v111, s37
	v_add_co_ci_u32_e64 v17, null, v15, v111, s39
	v_add_co_ci_u32_e64 v20, null, v34, v113, s44
	v_add_co_ci_u32_e64 v111, null, v34, v114, s48
	v_add_co_ci_u32_e64 v34, null, v34, v118, s64
	s_clause 0x1
	scratch_store_b32 off, v19, off offset:456
	scratch_store_b32 off, v13, off offset:368
	v_add_co_ci_u32_e64 v19, null, v4, v112, s41
	v_add_co_ci_u32_e64 v114, null, v4, v118, s65
	v_and_b32_e32 v4, 30, v121
	v_add_co_ci_u32_e64 v106, null, v15, v106, s10
	v_add_co_ci_u32_e64 v69, null, v15, v104, s18
	;; [unrolled: 1-line block ×8, first 2 shown]
	scratch_store_b32 off, v102, off offset:600 ; 4-byte Folded Spill
	v_add_co_ci_u32_e64 v102, null, v29, v116, s58
	v_add_co_ci_u32_e64 v116, null, v15, v116, s59
	;; [unrolled: 1-line block ×3, first 2 shown]
	v_add_nc_u32_e32 v4, 2, v4
	v_xor_b32_e32 v15, 1, v121
	v_add_co_ci_u32_e64 v254, null, v29, v105, s13
	v_add_co_ci_u32_e64 v149, null, v29, v104, s17
	s_delay_alu instid0(VALU_DEP_3)
	v_cmp_lt_i32_e32 vcc_lo, v15, v4
	v_add_co_ci_u32_e64 v100, null, v29, v103, s21
	v_add_co_ci_u32_e64 v115, null, v29, v118, s61
	s_wait_alu 0xfffd
	v_cndmask_b32_e32 v4, v121, v15, vcc_lo
	v_xor_b32_e32 v15, 4, v121
	v_xor_b32_e32 v29, 8, v121
	scratch_store_b32 off, v34, off offset:596 ; 4-byte Folded Spill
	v_xor_b32_e32 v34, 16, v121
	v_lshlrev_b32_e32 v152, 2, v4
	v_xor_b32_e32 v4, 2, v121
	s_mul_u64 s[10:11], s[84:85], s[90:91]
	s_add_nc_u64 s[12:13], s[70:71], s[78:79]
	s_wait_alu 0xfffe
	v_add_co_u32 v0, s4, s10, v0
	v_cmp_gt_i32_e32 vcc_lo, 32, v4
	s_add_nc_u64 s[14:15], s[72:73], s[98:99]
	s_mul_i32 s6, s86, s100
	s_mul_i32 s7, s96, s100
	;; [unrolled: 1-line block ×3, first 2 shown]
	s_wait_alu 0xfffd
	v_cndmask_b32_e32 v4, v121, v4, vcc_lo
	v_cmp_gt_i32_e32 vcc_lo, 32, v15
	s_mul_i32 s9, s68, s86
	scratch_store_b32 off, v152, off offset:324 ; 4-byte Folded Spill
	s_wait_alu 0xfffd
	v_dual_cndmask_b32 v15, v121, v15 :: v_dual_lshlrev_b32 v4, 2, v4
	v_cmp_gt_i32_e32 vcc_lo, 32, v29
	scratch_store_b32 off, v4, off offset:556 ; 4-byte Folded Spill
	s_wait_alu 0xfffd
	v_dual_cndmask_b32 v29, v121, v29 :: v_dual_lshlrev_b32 v4, 2, v15
	v_cmp_gt_i32_e32 vcc_lo, 32, v34
	v_add_co_ci_u32_e64 v15, null, s11, 0, s4
	scratch_store_b32 off, v4, off offset:560 ; 4-byte Folded Spill
	v_lshlrev_b32_e32 v4, 2, v29
	s_wait_alu 0xfffd
	v_cndmask_b32_e32 v34, v121, v34, vcc_lo
	v_add_co_u32 v29, vcc_lo, v0, v1
	s_lshl_b64 s[4:5], s[68:69], 1
	scratch_store_b32 off, v4, off offset:564 ; 4-byte Folded Spill
	v_lshlrev_b32_e32 v4, 2, v34
	scratch_store_b32 off, v4, off offset:568 ; 4-byte Folded Spill
	v_ashrrev_i32_e32 v4, 31, v1
	s_wait_alu 0xfffd
	s_delay_alu instid0(VALU_DEP_1) | instskip(SKIP_2) | instid1(VALU_DEP_2)
	v_add_co_ci_u32_e64 v34, null, v15, v4, vcc_lo
	v_add_co_u32 v121, vcc_lo, s12, v29
	s_wait_alu 0xfffd
	v_add_co_ci_u32_e64 v29, null, s13, v34, vcc_lo
	s_wait_alu 0xfffe
	v_add_co_u32 v25, vcc_lo, s14, v25
	s_wait_alu 0xfffd
	v_add_co_ci_u32_e64 v26, null, s15, v26, vcc_lo
	v_add_co_u32 v5, vcc_lo, s14, v5
	scratch_store_b32 off, v102, off offset:612 ; 4-byte Folded Spill
	s_add_nc_u64 s[12:13], s[12:13], s[10:11]
	s_add_nc_u64 s[10:11], s[10:11], s[78:79]
	scratch_store_b32 off, v5, off offset:328 ; 4-byte Folded Spill
	s_wait_alu 0xfffd
	v_add_co_ci_u32_e64 v5, null, s15, v24, vcc_lo
	s_wait_alu 0xfffe
	s_add_nc_u64 s[10:11], s[70:71], s[10:11]
	scratch_store_b32 off, v5, off offset:332 ; 4-byte Folded Spill
	v_add_co_u32 v5, vcc_lo, v25, 2
	scratch_store_b32 off, v5, off offset:336 ; 4-byte Folded Spill
	s_wait_alu 0xfffd
	v_add_co_ci_u32_e64 v5, null, 0, v26, vcc_lo
	scratch_store_b32 off, v5, off offset:340 ; 4-byte Folded Spill
	v_add_co_u32 v5, vcc_lo, s14, v6
	s_wait_alu 0xfffd
	v_add_co_ci_u32_e64 v6, null, s15, v9, vcc_lo
	v_add_co_u32 v9, vcc_lo, s14, v27
	scratch_store_b32 off, v9, off offset:344 ; 4-byte Folded Spill
	s_wait_alu 0xfffd
	v_add_co_ci_u32_e64 v9, null, s15, v28, vcc_lo
	v_add_co_u32 v5, vcc_lo, v5, 2
	scratch_store_b32 off, v5, off offset:352 ; 4-byte Folded Spill
	s_wait_alu 0xfffd
	v_add_co_ci_u32_e64 v5, null, 0, v6, vcc_lo
	scratch_store_b32 off, v5, off offset:356 ; 4-byte Folded Spill
	v_add_co_u32 v5, vcc_lo, s72, v30
	scratch_store_b32 off, v5, off offset:360 ; 4-byte Folded Spill
	s_wait_alu 0xfffd
	v_add_co_ci_u32_e64 v5, null, s73, v31, vcc_lo
	v_add_co_u32 v1, vcc_lo, s12, v1
	s_clause 0x2
	scratch_store_b32 off, v29, off offset:4
	scratch_store_b32 off, v1, off offset:8
	;; [unrolled: 1-line block ×3, first 2 shown]
	s_wait_alu 0xfffd
	v_add_co_ci_u32_e64 v1, null, s13, v4, vcc_lo
	v_add_co_u32 v0, vcc_lo, v0, s78
	s_clause 0x1
	scratch_store_b32 off, v9, off offset:348
	scratch_store_b32 off, v1, off offset:12
	s_wait_alu 0xfffd
	v_add_co_ci_u32_e64 v1, null, s79, v15, vcc_lo
	v_ashrrev_i32_e32 v4, 31, v7
	v_add_co_u32 v0, vcc_lo, v0, v7
	s_wait_alu 0xfffd
	s_delay_alu instid0(VALU_DEP_2)
	v_add_co_ci_u32_e64 v1, null, v1, v4, vcc_lo
	v_add_co_u32 v5, vcc_lo, s72, v32
	s_wait_alu 0xfffd
	v_add_co_ci_u32_e64 v6, null, s73, v33, vcc_lo
	v_add_co_u32 v102, vcc_lo, s70, v0
	s_wait_alu 0xfffd
	v_add_co_ci_u32_e64 v103, null, s71, v1, vcc_lo
	v_add_co_u32 v0, vcc_lo, v5, 2
	scratch_store_b32 off, v0, off offset:376 ; 4-byte Folded Spill
	s_wait_alu 0xfffd
	v_add_co_ci_u32_e64 v0, null, 0, v6, vcc_lo
	scratch_store_b32 off, v0, off offset:380 ; 4-byte Folded Spill
	v_add_co_u32 v0, vcc_lo, s72, v8
	s_wait_alu 0xfffd
	v_add_co_ci_u32_e64 v1, null, s73, v12, vcc_lo
	v_add_co_u32 v5, vcc_lo, s72, v35
	s_clause 0x1
	scratch_load_b32 v8, off, off offset:656 th:TH_LOAD_LU
	scratch_load_b32 v12, off, off offset:648 th:TH_LOAD_LU
	scratch_store_b32 off, v5, off offset:384 ; 4-byte Folded Spill
	s_wait_alu 0xfffd
	v_add_co_ci_u32_e64 v5, null, s73, v36, vcc_lo
	v_add_co_u32 v0, vcc_lo, v0, 2
	s_clause 0x1
	scratch_store_b32 off, v5, off offset:208
	scratch_store_b32 off, v0, off offset:212
	s_wait_alu 0xfffd
	v_add_co_ci_u32_e64 v0, null, 0, v1, vcc_lo
	scratch_store_b32 off, v0, off offset:216 ; 4-byte Folded Spill
	v_add_co_u32 v0, vcc_lo, s72, v39
	s_wait_alu 0xfffd
	v_add_co_ci_u32_e64 v1, null, s73, v40, vcc_lo
	v_add_co_u32 v5, vcc_lo, s72, v37
	scratch_store_b32 off, v5, off offset:388 ; 4-byte Folded Spill
	s_wait_alu 0xfffd
	v_add_co_ci_u32_e64 v5, null, s73, v38, vcc_lo
	v_add_co_u32 v125, vcc_lo, v0, 2
	s_wait_alu 0xfffd
	v_add_co_ci_u32_e64 v0, null, 0, v1, vcc_lo
	s_clause 0x1
	scratch_store_b32 off, v5, off offset:220
	scratch_store_b32 off, v0, off offset:224
	v_add_co_u32 v0, vcc_lo, s72, v41
	scratch_store_b32 off, v0, off offset:228 ; 4-byte Folded Spill
	s_wait_alu 0xfffd
	v_add_co_ci_u32_e64 v0, null, s73, v42, vcc_lo
	scratch_store_b32 off, v0, off offset:232 ; 4-byte Folded Spill
	v_add_co_u32 v0, vcc_lo, s72, v10
	s_wait_alu 0xfffd
	v_add_co_ci_u32_e64 v1, null, s73, v43, vcc_lo
	s_delay_alu instid0(VALU_DEP_2) | instskip(SKIP_1) | instid1(VALU_DEP_2)
	v_add_co_u32 v127, vcc_lo, v0, 2
	s_wait_alu 0xfffd
	v_add_co_ci_u32_e64 v128, null, 0, v1, vcc_lo
	s_wait_alu 0xfffe
	v_add_co_u32 v0, vcc_lo, s10, v7
	s_wait_alu 0xfffd
	v_add_co_ci_u32_e64 v1, null, s11, v4, vcc_lo
	v_add_co_u32 v4, vcc_lo, s72, v47
	s_wait_alu 0xfffd
	v_add_co_ci_u32_e64 v5, null, s73, v48, vcc_lo
	;; [unrolled: 3-line block ×3, first 2 shown]
	v_add_co_u32 v0, vcc_lo, v4, 2
	scratch_load_b32 v7, off, off offset:452 th:TH_LOAD_LU ; 4-byte Folded Reload
	s_mov_b32 s10, 0xbbbac73d
	scratch_store_b32 off, v0, off offset:412 ; 4-byte Folded Spill
	s_wait_alu 0xfffd
	v_add_co_ci_u32_e64 v0, null, 0, v5, vcc_lo
	scratch_store_b32 off, v0, off offset:416 ; 4-byte Folded Spill
	v_add_co_u32 v0, vcc_lo, s72, v45
	s_wait_alu 0xfffd
	v_add_co_ci_u32_e64 v1, null, s73, v50, vcc_lo
	v_add_co_u32 v4, vcc_lo, s72, v44
	scratch_store_b32 off, v4, off offset:420 ; 4-byte Folded Spill
	s_wait_alu 0xfffd
	v_add_co_ci_u32_e64 v4, null, s73, v49, vcc_lo
	v_add_co_u32 v0, vcc_lo, v0, 2
	s_clause 0x1
	scratch_store_b32 off, v4, off offset:424
	scratch_store_b32 off, v0, off offset:428
	s_wait_alu 0xfffd
	v_add_co_ci_u32_e64 v0, null, 0, v1, vcc_lo
	scratch_store_b32 off, v0, off offset:432 ; 4-byte Folded Spill
	v_add_co_u32 v0, vcc_lo, s72, v55
	s_wait_alu 0xfffd
	v_add_co_ci_u32_e64 v1, null, s73, v58, vcc_lo
	v_add_co_u32 v4, vcc_lo, s72, v130
	scratch_store_b32 off, v4, off offset:436 ; 4-byte Folded Spill
	s_wait_alu 0xfffd
	v_add_co_ci_u32_e64 v4, null, s73, v51, vcc_lo
	v_add_co_u32 v0, vcc_lo, v0, 2
	s_clause 0x1
	scratch_store_b32 off, v4, off offset:440
	scratch_store_b32 off, v0, off offset:444
	s_wait_alu 0xfffd
	v_add_co_ci_u32_e64 v0, null, 0, v1, vcc_lo
	scratch_store_b32 off, v0, off offset:448 ; 4-byte Folded Spill
	v_add_co_u32 v0, vcc_lo, s72, v53
	s_wait_alu 0xfffd
	v_add_co_ci_u32_e64 v1, null, s73, v60, vcc_lo
	v_add_co_u32 v4, vcc_lo, s72, v52
	scratch_store_b32 off, v4, off offset:236 ; 4-byte Folded Spill
	s_wait_alu 0xfffd
	v_add_co_ci_u32_e64 v4, null, s73, v59, vcc_lo
	v_add_co_u32 v130, vcc_lo, v0, 2
	s_wait_alu 0xfffd
	v_add_co_ci_u32_e64 v131, null, 0, v1, vcc_lo
	v_add_co_u32 v0, vcc_lo, s72, v65
	;; [unrolled: 3-line block ×3, first 2 shown]
	scratch_store_b32 off, v4, off offset:240 ; 4-byte Folded Spill
	s_wait_alu 0xfffd
	v_add_co_ci_u32_e64 v4, null, s73, v61, vcc_lo
	v_add_co_u32 v0, vcc_lo, v0, 2
	s_clause 0x1
	scratch_store_b32 off, v4, off offset:244
	scratch_store_b32 off, v0, off offset:248
	s_wait_alu 0xfffd
	v_add_co_ci_u32_e64 v0, null, 0, v1, vcc_lo
	scratch_store_b32 off, v0, off offset:252 ; 4-byte Folded Spill
	v_add_co_u32 v0, vcc_lo, s72, v63
	s_wait_alu 0xfffd
	v_add_co_ci_u32_e64 v1, null, s73, v68, vcc_lo
	v_add_co_u32 v137, vcc_lo, s72, v136
	s_wait_alu 0xfffd
	v_add_co_ci_u32_e64 v4, null, s73, v67, vcc_lo
	;; [unrolled: 3-line block ×5, first 2 shown]
	v_add_co_u32 v0, vcc_lo, v0, 2
	scratch_store_b32 off, v4, off offset:256 ; 4-byte Folded Spill
	v_mov_b32_e32 v67, 0
	scratch_store_b32 off, v0, off offset:260 ; 4-byte Folded Spill
	s_wait_alu 0xfffd
	v_add_co_ci_u32_e64 v0, null, 0, v1, vcc_lo
	scratch_store_b32 off, v0, off offset:264 ; 4-byte Folded Spill
	v_add_co_u32 v0, vcc_lo, s72, v72
	s_wait_alu 0xfffd
	v_add_co_ci_u32_e64 v1, null, s73, v77, vcc_lo
	v_add_co_u32 v4, vcc_lo, s72, v145
	scratch_store_b32 off, v4, off offset:268 ; 4-byte Folded Spill
	s_wait_alu 0xfffd
	v_add_co_ci_u32_e64 v4, null, s73, v76, vcc_lo
	v_add_co_u32 v0, vcc_lo, v0, 2
	s_clause 0x1
	scratch_store_b32 off, v4, off offset:272
	scratch_store_b32 off, v0, off offset:276
	s_wait_alu 0xfffd
	v_add_co_ci_u32_e64 v0, null, 0, v1, vcc_lo
	scratch_store_b32 off, v0, off offset:280 ; 4-byte Folded Spill
	v_add_co_u32 v0, vcc_lo, s72, v82
	s_wait_alu 0xfffd
	v_add_co_ci_u32_e64 v1, null, s73, v83, vcc_lo
	v_add_co_u32 v4, vcc_lo, s72, v143
	scratch_store_b32 off, v4, off offset:284 ; 4-byte Folded Spill
	s_wait_alu 0xfffd
	v_add_co_ci_u32_e64 v4, null, s73, v151, vcc_lo
	v_add_co_u32 v0, vcc_lo, v0, 2
	s_clause 0x1
	scratch_store_b32 off, v4, off offset:288
	scratch_store_b32 off, v0, off offset:292
	s_wait_alu 0xfffd
	v_add_co_ci_u32_e64 v0, null, 0, v1, vcc_lo
	scratch_store_b32 off, v0, off offset:296 ; 4-byte Folded Spill
	v_add_co_u32 v0, vcc_lo, s72, v80
	s_wait_alu 0xfffd
	v_add_co_ci_u32_e64 v1, null, s73, v85, vcc_lo
	v_add_co_u32 v4, vcc_lo, s72, v154
	v_mov_b32_e32 v154, 0
	scratch_store_b32 off, v4, off offset:300 ; 4-byte Folded Spill
	s_wait_alu 0xfffd
	v_add_co_ci_u32_e64 v4, null, s73, v84, vcc_lo
	v_add_co_u32 v0, vcc_lo, v0, 2
	s_clause 0x1
	scratch_store_b32 off, v4, off offset:304
	scratch_store_b32 off, v0, off offset:308
	s_wait_alu 0xfffd
	v_add_co_ci_u32_e64 v0, null, 0, v1, vcc_lo
	scratch_store_b32 off, v0, off offset:312 ; 4-byte Folded Spill
	v_add_co_u32 v0, vcc_lo, s72, v90
	s_wait_alu 0xfffd
	v_add_co_ci_u32_e64 v1, null, s73, v91, vcc_lo
	v_add_co_u32 v4, vcc_lo, s72, v155
	scratch_store_b32 off, v4, off offset:316 ; 4-byte Folded Spill
	s_wait_alu 0xfffd
	v_add_co_ci_u32_e64 v4, null, s73, v158, vcc_lo
	v_add_co_u32 v160, vcc_lo, v0, 2
	s_wait_alu 0xfffd
	v_add_co_ci_u32_e64 v161, null, 0, v1, vcc_lo
	v_add_co_u32 v0, vcc_lo, s72, v163
	;; [unrolled: 3-line block ×70, first 2 shown]
	s_clause 0x1
	scratch_load_b32 v0, off, off offset:632 th:TH_LOAD_LU
	scratch_load_b32 v2, off, off offset:616 th:TH_LOAD_LU
	s_wait_alu 0xfffd
	v_add_co_ci_u32_e64 v253, null, 0, v1, vcc_lo
	s_clause 0x1
	scratch_load_b32 v3, off, off offset:460 th:TH_LOAD_LU
	scratch_load_b32 v11, off, off offset:404 th:TH_LOAD_LU
	scratch_store_b32 off, v4, off offset:320 ; 4-byte Folded Spill
	v_mov_b32_e32 v126, 0
	s_wait_loadcnt 0x3
	v_add_co_u32 v0, vcc_lo, s72, v0
	s_wait_alu 0xfffd
	v_add_co_ci_u32_e64 v1, null, s73, v251, vcc_lo
	s_wait_loadcnt 0x2
	v_add_co_u32 v251, vcc_lo, s72, v2
	s_wait_alu 0xfffd
	v_add_co_ci_u32_e64 v254, null, s73, v255, vcc_lo
	v_add_co_u32 v255, vcc_lo, v0, 2
	s_clause 0x1
	scratch_load_b32 v0, off, off offset:620 th:TH_LOAD_LU
	scratch_load_b32 v2, off, off offset:604 th:TH_LOAD_LU
	s_wait_alu 0xfffd
	v_add_co_ci_u32_e64 v64, null, 0, v1, vcc_lo
	s_wait_loadcnt 0x1
	v_add_co_u32 v0, vcc_lo, s72, v0
	s_wait_alu 0xfffd
	v_add_co_ci_u32_e64 v1, null, s73, v149, vcc_lo
	s_wait_loadcnt 0x0
	v_add_co_u32 v58, vcc_lo, s72, v2
	s_wait_alu 0xfffd
	v_add_co_ci_u32_e64 v60, null, s73, v124, vcc_lo
	v_add_co_u32 v59, vcc_lo, v0, 2
	scratch_load_b32 v0, off, off offset:608 th:TH_LOAD_LU ; 4-byte Folded Reload
	s_wait_alu 0xfffd
	v_add_co_ci_u32_e64 v63, null, 0, v1, vcc_lo
	scratch_load_b32 v2, off, off offset:540 th:TH_LOAD_LU ; 4-byte Folded Reload
	v_mov_b32_e32 v124, 0xfeffffff
	s_wait_loadcnt 0x1
	v_add_co_u32 v0, vcc_lo, s72, v0
	s_wait_alu 0xfffd
	v_add_co_ci_u32_e64 v1, null, s73, v62, vcc_lo
	v_add_co_u32 v157, vcc_lo, s72, v157
	s_wait_alu 0xfffd
	v_add_co_ci_u32_e64 v66, null, s73, v69, vcc_lo
	v_add_co_u32 v155, vcc_lo, v0, 2
	scratch_load_b32 v0, off, off offset:592 th:TH_LOAD_LU ; 4-byte Folded Reload
	s_wait_alu 0xfffd
	v_add_co_ci_u32_e64 v68, null, 0, v1, vcc_lo
	s_wait_loadcnt 0x0
	v_add_co_u32 v0, vcc_lo, s72, v0
	s_wait_alu 0xfffd
	v_add_co_ci_u32_e64 v1, null, s73, v100, vcc_lo
	v_add_co_u32 v61, vcc_lo, s72, v2
	s_wait_alu 0xfffd
	v_add_co_ci_u32_e64 v65, null, s73, v88, vcc_lo
	v_add_co_u32 v24, vcc_lo, v0, 2
	s_clause 0x1
	scratch_load_b32 v0, off, off offset:544 th:TH_LOAD_LU
	scratch_load_b32 v2, off, off offset:532 th:TH_LOAD_LU
	s_wait_alu 0xfffd
	v_add_co_ci_u32_e64 v25, null, 0, v1, vcc_lo
	s_wait_loadcnt 0x1
	v_add_co_u32 v0, vcc_lo, s72, v0
	s_wait_alu 0xfffd
	v_add_co_ci_u32_e64 v1, null, s73, v89, vcc_lo
	s_wait_loadcnt 0x0
	v_add_co_u32 v26, vcc_lo, s72, v2
	s_wait_alu 0xfffd
	v_add_co_ci_u32_e64 v27, null, s73, v97, vcc_lo
	v_add_co_u32 v28, vcc_lo, v0, 2
	s_clause 0x1
	scratch_load_b32 v0, off, off offset:536 th:TH_LOAD_LU
	scratch_load_b32 v2, off, off offset:524 th:TH_LOAD_LU
	s_wait_alu 0xfffd
	v_add_co_ci_u32_e64 v29, null, 0, v1, vcc_lo
	s_wait_loadcnt 0x1
	v_add_co_u32 v0, vcc_lo, s72, v0
	s_wait_alu 0xfffd
	v_add_co_ci_u32_e64 v1, null, s73, v73, vcc_lo
	s_wait_loadcnt 0x0
	;; [unrolled: 14-line block ×7, first 2 shown]
	v_add_co_u32 v50, vcc_lo, s72, v2
	s_wait_alu 0xfffd
	v_add_co_ci_u32_e64 v51, null, s73, v13, vcc_lo
	v_add_co_u32 v52, vcc_lo, v0, 2
	s_clause 0x1
	scratch_load_b32 v0, off, off offset:484 th:TH_LOAD_LU
	scratch_load_b32 v2, off, off offset:472 th:TH_LOAD_LU
	s_wait_alu 0xfffd
	v_add_co_ci_u32_e64 v53, null, 0, v1, vcc_lo
	scratch_load_b32 v13, off, off offset:396 th:TH_LOAD_LU ; 4-byte Folded Reload
	s_wait_loadcnt 0x2
	v_add_co_u32 v0, vcc_lo, s72, v0
	s_wait_alu 0xfffd
	v_add_co_ci_u32_e64 v1, null, s73, v78, vcc_lo
	s_wait_loadcnt 0x1
	v_add_co_u32 v54, vcc_lo, s72, v2
	s_wait_alu 0xfffd
	v_add_co_ci_u32_e64 v55, null, s73, v16, vcc_lo
	v_add_co_u32 v69, vcc_lo, v0, 2
	scratch_load_b32 v0, off, off offset:476 th:TH_LOAD_LU ; 4-byte Folded Reload
	s_wait_alu 0xfffd
	v_add_co_ci_u32_e64 v70, null, 0, v1, vcc_lo
	s_wait_loadcnt 0x0
	v_add_co_u32 v0, vcc_lo, s72, v0
	s_wait_alu 0xfffd
	v_add_co_ci_u32_e64 v1, null, s73, v96, vcc_lo
	v_add_co_u32 v129, vcc_lo, s72, v134
	s_wait_alu 0xfffd
	v_add_co_ci_u32_e64 v2, null, s73, v17, vcc_lo
	v_add_co_u32 v134, vcc_lo, v0, 2
	s_wait_alu 0xfffd
	v_add_co_ci_u32_e64 v174, null, 0, v1, vcc_lo
	v_add_co_u32 v0, vcc_lo, s72, v138
	s_wait_alu 0xfffd
	v_add_co_ci_u32_e64 v1, null, s73, v18, vcc_lo
	v_add_co_u32 v5, vcc_lo, s72, v135
	s_wait_alu 0xfffd
	v_add_co_ci_u32_e64 v6, null, s73, v19, vcc_lo
	v_add_co_u32 v135, vcc_lo, v0, 2
	s_wait_alu 0xfffd
	v_add_co_ci_u32_e64 v138, null, 0, v1, vcc_lo
	v_add_co_u32 v0, vcc_lo, s72, v144
	s_wait_alu 0xfffd
	v_add_co_ci_u32_e64 v1, null, s73, v20, vcc_lo
	v_add_co_u32 v144, vcc_lo, s72, v142
	s_wait_alu 0xfffd
	v_add_co_ci_u32_e64 v9, null, s73, v112, vcc_lo
	v_add_co_u32 v10, vcc_lo, v0, 2
	scratch_load_b32 v0, off, off offset:468 th:TH_LOAD_LU ; 4-byte Folded Reload
	s_wait_alu 0xfffd
	v_add_co_ci_u32_e64 v142, null, 0, v1, vcc_lo
	s_wait_loadcnt 0x0
	v_add_co_u32 v0, vcc_lo, s72, v0
	s_wait_alu 0xfffd
	v_add_co_ci_u32_e64 v1, null, s73, v110, vcc_lo
	v_add_co_u32 v145, vcc_lo, s72, v3
	scratch_load_b32 v3, off, off offset:464 th:TH_LOAD_LU ; 4-byte Folded Reload
	s_wait_alu 0xfffd
	v_add_co_ci_u32_e64 v149, null, s73, v109, vcc_lo
	v_add_co_u32 v0, vcc_lo, v0, 2
	s_wait_alu 0xfffd
	v_add_co_ci_u32_e64 v1, null, 0, v1, vcc_lo
	s_wait_loadcnt 0x0
	v_add_co_u32 v3, vcc_lo, s72, v3
	s_wait_alu 0xfffd
	v_add_co_ci_u32_e64 v4, null, s73, v111, vcc_lo
	v_add_co_u32 v143, vcc_lo, s72, v7
	scratch_load_b32 v7, off, off offset:660 th:TH_LOAD_LU ; 4-byte Folded Reload
	s_wait_loadcnt 0x0
	s_wait_alu 0xfffd
	v_add_co_ci_u32_e64 v14, null, s73, v7, vcc_lo
	scratch_load_b32 v7, off, off offset:456 th:TH_LOAD_LU ; 4-byte Folded Reload
	v_add_co_u32 v3, vcc_lo, v3, 2
	s_wait_alu 0xfffd
	v_add_co_ci_u32_e64 v4, null, 0, v4, vcc_lo
	s_wait_loadcnt 0x0
	v_add_co_u32 v7, vcc_lo, s72, v7
	s_wait_alu 0xfffd
	v_add_co_ci_u32_e64 v8, null, s73, v8, vcc_lo
	v_add_co_u32 v71, vcc_lo, s72, v11
	scratch_load_b32 v11, off, off offset:652 th:TH_LOAD_LU ; 4-byte Folded Reload
	s_wait_loadcnt 0x0
	s_wait_alu 0xfffd
	v_add_co_ci_u32_e64 v72, null, s73, v11, vcc_lo
	scratch_load_b32 v11, off, off offset:408 th:TH_LOAD_LU ; 4-byte Folded Reload
	v_add_co_u32 v7, vcc_lo, v7, 2
	s_wait_alu 0xfffd
	v_add_co_ci_u32_e64 v8, null, 0, v8, vcc_lo
	s_wait_loadcnt 0x0
	v_add_co_u32 v11, vcc_lo, s72, v11
	s_wait_alu 0xfffd
	v_add_co_ci_u32_e64 v12, null, s73, v12, vcc_lo
	v_add_co_u32 v73, vcc_lo, s72, v13
	scratch_load_b32 v13, off, off offset:644 th:TH_LOAD_LU ; 4-byte Folded Reload
	s_wait_loadcnt 0x0
	s_wait_alu 0xfffd
	v_add_co_ci_u32_e64 v74, null, s73, v13, vcc_lo
	v_add_co_u32 v75, vcc_lo, v11, 2
	scratch_load_b32 v11, off, off offset:400 th:TH_LOAD_LU ; 4-byte Folded Reload
	s_wait_alu 0xfffd
	v_add_co_ci_u32_e64 v12, null, 0, v12, vcc_lo
	scratch_load_b32 v13, off, off offset:576 ; 4-byte Folded Reload
	s_wait_loadcnt 0x1
	v_add_co_u32 v15, vcc_lo, s72, v11
	scratch_load_b32 v11, off, off offset:640 th:TH_LOAD_LU ; 4-byte Folded Reload
	s_wait_loadcnt 0x1
	v_and_b32_e32 v89, 4, v13
	v_mov_b32_e32 v13, 0
	s_wait_loadcnt 0x0
	s_wait_alu 0xfffd
	v_add_co_ci_u32_e64 v16, null, s73, v11, vcc_lo
	scratch_load_b32 v11, off, off offset:636 th:TH_LOAD_LU ; 4-byte Folded Reload
	v_add_co_u32 v76, vcc_lo, s72, v156
	s_wait_loadcnt 0x0
	s_wait_alu 0xfffd
	v_add_co_ci_u32_e64 v77, null, s73, v11, vcc_lo
	scratch_load_b32 v11, off, off offset:392 th:TH_LOAD_LU ; 4-byte Folded Reload
	v_add_co_u32 v156, vcc_lo, v15, 2
	s_wait_alu 0xfffd
	v_add_co_ci_u32_e64 v78, null, 0, v16, vcc_lo
	scratch_store_b32 off, v13, off offset:392 ; 4-byte Folded Spill
	s_wait_loadcnt 0x0
	v_add_co_u32 v16, vcc_lo, s72, v11
	scratch_load_b32 v11, off, off offset:628 th:TH_LOAD_LU ; 4-byte Folded Reload
	s_wait_loadcnt 0x0
	s_wait_alu 0xfffd
	v_add_co_ci_u32_e64 v17, null, s73, v11, vcc_lo
	scratch_load_b32 v11, off, off th:TH_LOAD_LU ; 4-byte Folded Reload
	s_wait_loadcnt 0x0
	v_add_co_u32 v79, vcc_lo, s72, v11
	scratch_load_b32 v11, off, off offset:624 th:TH_LOAD_LU ; 4-byte Folded Reload
	s_wait_loadcnt 0x0
	s_wait_alu 0xfffd
	v_add_co_ci_u32_e64 v80, null, s73, v11, vcc_lo
	scratch_load_b32 v11, off, off offset:368 th:TH_LOAD_LU ; 4-byte Folded Reload
	v_add_co_u32 v81, vcc_lo, v16, 2
	s_wait_alu 0xfffd
	v_add_co_ci_u32_e64 v82, null, 0, v17, vcc_lo
	s_wait_loadcnt 0x0
	v_add_co_u32 v16, vcc_lo, s72, v11
	scratch_load_b32 v11, off, off offset:612 th:TH_LOAD_LU ; 4-byte Folded Reload
	s_wait_loadcnt 0x0
	s_wait_alu 0xfffd
	v_add_co_ci_u32_e64 v17, null, s73, v11, vcc_lo
	scratch_load_b32 v11, off, off offset:600 th:TH_LOAD_LU ; 4-byte Folded Reload
	v_add_co_u32 v83, vcc_lo, s72, v150
	s_wait_loadcnt 0x0
	s_wait_alu 0xfffd
	v_add_co_ci_u32_e64 v84, null, s73, v11, vcc_lo
	scratch_load_b32 v11, off, off offset:372 th:TH_LOAD_LU ; 4-byte Folded Reload
	v_add_co_u32 v85, vcc_lo, v16, 2
	s_wait_alu 0xfffd
	v_add_co_ci_u32_e64 v86, null, 0, v17, vcc_lo
	s_wait_loadcnt 0x0
	v_add_co_u32 v16, vcc_lo, s72, v11
	scratch_load_b32 v11, off, off offset:596 th:TH_LOAD_LU ; 4-byte Folded Reload
	s_wait_loadcnt 0x0
	s_wait_alu 0xfffd
	v_add_co_ci_u32_e64 v17, null, s73, v11, vcc_lo
	v_add_co_u32 v87, vcc_lo, s72, v146
	s_wait_alu 0xfffd
	v_add_co_ci_u32_e64 v88, null, s73, v116, vcc_lo
	v_add_co_u32 v11, vcc_lo, v16, 2
	;; [unrolled: 3-line block ×6, first 2 shown]
	scratch_store_b32 off, v11, off offset:476 ; 4-byte Folded Spill
	s_wait_alu 0xfffd
	v_add_co_ci_u32_e64 v153, null, s73, v113, vcc_lo
	v_mov_b32_e32 v11, 0
.LBB27_15:                              ; =>This Inner Loop Header: Depth=1
	v_add_co_u32 v16, vcc_lo, v104, s7
	s_wait_alu 0xfffd
	v_add_co_ci_u32_e64 v17, null, 0, v105, vcc_lo
	s_clause 0x1
	scratch_store_b32 off, v104, off offset:404
	scratch_store_b32 off, v105, off offset:408
	s_clause 0x7
	global_load_b32 v18, v[16:17], off offset:-140
	global_load_b32 v19, v[16:17], off offset:-120
	;; [unrolled: 1-line block ×7, first 2 shown]
	global_load_b32 v91, v[16:17], off
	v_add_co_u32 v16, vcc_lo, v102, s7
	s_wait_alu 0xfffd
	v_add_co_ci_u32_e64 v17, null, 0, v103, vcc_lo
	s_clause 0x1
	scratch_store_b32 off, v102, off offset:368
	scratch_store_b32 off, v103, off offset:372
	s_clause 0x7
	global_load_b32 v93, v[16:17], off offset:4
	global_load_b32 v94, v[16:17], off offset:12
	;; [unrolled: 1-line block ×8, first 2 shown]
	s_clause 0x1
	scratch_load_b64 v[103:104], off, off offset:16
	scratch_load_b128 v[105:108], off, off offset:48
	s_wait_loadcnt 0x11
	v_cvt_f32_f16_e32 v92, v18
	v_lshrrev_b32_e32 v18, 16, v18
	s_delay_alu instid0(VALU_DEP_1)
	v_cvt_f32_f16_e32 v18, v18
	s_wait_loadcnt 0x9
	v_and_b32_e32 v101, 0xf0f0f0f, v93
	s_wait_loadcnt 0x8
	v_lshrrev_b32_e32 v102, 4, v94
	v_and_b32_e32 v94, 0xf0f0f0f, v94
	v_lshrrev_b32_e32 v93, 4, v93
	s_delay_alu instid0(VALU_DEP_3) | instskip(SKIP_1) | instid1(VALU_DEP_3)
	v_and_b32_e32 v102, 0xf0f0f0f, v102
	s_wait_loadcnt 0x1
	v_dot4_i32_iu8 v94, v94, v104, 0 neg_lo:[1,1,0]
	s_wait_loadcnt 0x0
	v_mul_f32_e32 v92, v105, v92
	v_dot4_i32_iu8 v101, v101, v103, 0 neg_lo:[1,1,0]
	scratch_load_b64 v[103:104], off, off offset:24 ; 8-byte Folded Reload
	v_dual_mul_f32 v18, v106, v18 :: v_dual_and_b32 v93, 0xf0f0f0f, v93
	v_cvt_f32_i32_e32 v94, v94
	v_cvt_f32_i32_e32 v101, v101
	s_delay_alu instid0(VALU_DEP_3) | instskip(NEXT) | instid1(VALU_DEP_1)
	v_mul_f32_e32 v18, 0x3e000000, v18
	v_fma_f32 v101, v92, v101, v18
	s_delay_alu instid0(VALU_DEP_4)
	v_fma_f32 v94, v92, v94, v18
	s_wait_loadcnt 0x0
	v_dot4_i32_iu8 v102, v102, v104, 0 neg_lo:[1,1,0]
	scratch_load_b64 v[104:105], off, off offset:32 ; 8-byte Folded Reload
	v_dot4_i32_iu8 v93, v93, v103, 0 neg_lo:[1,1,0]
	v_lshrrev_b32_e32 v103, 4, v96
	v_and_b32_e32 v96, 0xf0f0f0f, v96
	v_cvt_f32_i32_e32 v102, v102
	s_delay_alu instid0(VALU_DEP_4) | instskip(NEXT) | instid1(VALU_DEP_1)
	v_cvt_f32_i32_e32 v93, v93
	v_fma_f32 v93, v92, v93, v18
	s_delay_alu instid0(VALU_DEP_3) | instskip(SKIP_4) | instid1(VALU_DEP_4)
	v_fmac_f32_e32 v18, v92, v102
	v_cvt_f32_f16_e32 v92, v19
	v_lshrrev_b32_e32 v19, 16, v19
	v_and_b32_e32 v102, 0xf0f0f0f, v95
	v_lshrrev_b32_e32 v95, 4, v95
	v_dual_mul_f32 v92, v107, v92 :: v_dual_and_b32 v103, 0xf0f0f0f, v103
	s_delay_alu instid0(VALU_DEP_4) | instskip(NEXT) | instid1(VALU_DEP_3)
	v_cvt_f32_f16_e32 v19, v19
	v_and_b32_e32 v95, 0xf0f0f0f, v95
	s_delay_alu instid0(VALU_DEP_2)
	v_mul_f32_e32 v19, v108, v19
	scratch_load_b64 v[108:109], off, off offset:112 ; 8-byte Folded Reload
	v_mul_f32_e32 v19, 0x3e000000, v19
	s_wait_loadcnt 0x1
	v_dot4_i32_iu8 v102, v102, v104, 0 neg_lo:[1,1,0]
	v_dot4_i32_iu8 v96, v96, v105, 0 neg_lo:[1,1,0]
	scratch_load_b64 v[104:105], off, off offset:40 ; 8-byte Folded Reload
	v_cvt_f32_i32_e32 v102, v102
	v_cvt_f32_i32_e32 v96, v96
	s_delay_alu instid0(VALU_DEP_2) | instskip(NEXT) | instid1(VALU_DEP_2)
	v_fma_f32 v102, v92, v102, v19
	v_fma_f32 v96, v92, v96, v19
	s_wait_loadcnt 0x0
	v_dot4_i32_iu8 v95, v95, v104, 0 neg_lo:[1,1,0]
	v_dot4_i32_iu8 v103, v103, v105, 0 neg_lo:[1,1,0]
	v_lshrrev_b32_e32 v104, 4, v98
	v_and_b32_e32 v98, 0xf0f0f0f, v98
	s_delay_alu instid0(VALU_DEP_4) | instskip(NEXT) | instid1(VALU_DEP_4)
	v_cvt_f32_i32_e32 v95, v95
	v_cvt_f32_i32_e32 v103, v103
	s_delay_alu instid0(VALU_DEP_4) | instskip(NEXT) | instid1(VALU_DEP_4)
	v_and_b32_e32 v104, 0xf0f0f0f, v104
	v_dot4_i32_iu8 v98, v98, v109, 0 neg_lo:[1,1,0]
	scratch_load_b64 v[109:110], off, off offset:128 ; 8-byte Folded Reload
	v_fma_f32 v95, v92, v95, v19
	v_fmac_f32_e32 v19, v92, v103
	v_cvt_f32_f16_e32 v92, v20
	v_and_b32_e32 v103, 0xf0f0f0f, v97
	v_lshrrev_b32_e32 v20, 16, v20
	v_lshrrev_b32_e32 v97, 4, v97
	v_cvt_f32_i32_e32 v98, v98
	s_delay_alu instid0(VALU_DEP_4)
	v_dot4_i32_iu8 v103, v103, v108, 0 neg_lo:[1,1,0]
	scratch_load_b128 v[105:108], off, off offset:64 ; 16-byte Folded Reload
	v_cvt_f32_f16_e32 v20, v20
	v_and_b32_e32 v97, 0xf0f0f0f, v97
	v_cvt_f32_i32_e32 v103, v103
	s_wait_loadcnt 0x0
	v_mul_f32_e32 v92, v105, v92
	v_mul_f32_e32 v20, v106, v20
	scratch_load_b64 v[105:106], off, off offset:120 ; 8-byte Folded Reload
	v_mul_f32_e32 v20, 0x3e000000, v20
	s_delay_alu instid0(VALU_DEP_1)
	v_fma_f32 v103, v92, v103, v20
	v_fma_f32 v98, v92, v98, v20
	s_wait_loadcnt 0x0
	v_dot4_i32_iu8 v97, v97, v105, 0 neg_lo:[1,1,0]
	v_dot4_i32_iu8 v104, v104, v106, 0 neg_lo:[1,1,0]
	v_lshrrev_b32_e32 v105, 4, v100
	v_and_b32_e32 v100, 0xf0f0f0f, v100
	s_delay_alu instid0(VALU_DEP_4) | instskip(NEXT) | instid1(VALU_DEP_4)
	v_cvt_f32_i32_e32 v97, v97
	v_cvt_f32_i32_e32 v104, v104
	s_delay_alu instid0(VALU_DEP_3) | instskip(NEXT) | instid1(VALU_DEP_3)
	v_dot4_i32_iu8 v100, v100, v110, 0 neg_lo:[1,1,0]
	v_fma_f32 v97, v92, v97, v20
	s_delay_alu instid0(VALU_DEP_3)
	v_fmac_f32_e32 v20, v92, v104
	v_cvt_f32_f16_e32 v92, v21
	v_and_b32_e32 v105, 0xf0f0f0f, v105
	v_lshrrev_b32_e32 v21, 16, v21
	v_and_b32_e32 v104, 0xf0f0f0f, v99
	v_lshrrev_b32_e32 v99, 4, v99
	v_mul_f32_e32 v92, v107, v92
	scratch_load_b64 v[106:107], off, off offset:136 ; 8-byte Folded Reload
	v_cvt_f32_f16_e32 v21, v21
	v_dot4_i32_iu8 v104, v104, v109, 0 neg_lo:[1,1,0]
	v_and_b32_e32 v99, 0xf0f0f0f, v99
	v_cvt_f32_i32_e32 v100, v100
	s_delay_alu instid0(VALU_DEP_4) | instskip(NEXT) | instid1(VALU_DEP_4)
	v_mul_f32_e32 v21, v108, v21
	v_cvt_f32_i32_e32 v104, v104
	s_delay_alu instid0(VALU_DEP_2) | instskip(NEXT) | instid1(VALU_DEP_1)
	v_mul_f32_e32 v21, 0x3e000000, v21
	v_fma_f32 v104, v92, v104, v21
	v_fma_f32 v100, v92, v100, v21
	s_wait_loadcnt 0x0
	v_dot4_i32_iu8 v99, v99, v106, 0 neg_lo:[1,1,0]
	v_dot4_i32_iu8 v105, v105, v107, 0 neg_lo:[1,1,0]
	s_delay_alu instid0(VALU_DEP_2) | instskip(NEXT) | instid1(VALU_DEP_2)
	v_cvt_f32_i32_e32 v99, v99
	v_cvt_f32_i32_e32 v105, v105
	s_delay_alu instid0(VALU_DEP_2) | instskip(NEXT) | instid1(VALU_DEP_2)
	v_fma_f32 v99, v92, v99, v21
	v_fmac_f32_e32 v21, v92, v105
	s_clause 0x7
	global_load_b32 v92, v[16:17], off offset:84
	global_load_b32 v105, v[16:17], off offset:92
	;; [unrolled: 1-line block ×8, first 2 shown]
	scratch_load_b64 v[116:117], off, off offset:144 ; 8-byte Folded Reload
	v_cvt_f32_f16_e32 v17, v22
	v_lshrrev_b32_e32 v22, 16, v22
	s_delay_alu instid0(VALU_DEP_1)
	v_cvt_f32_f16_e32 v22, v22
	s_wait_loadcnt 0x8
	v_and_b32_e32 v111, 0xf0f0f0f, v92
	s_wait_loadcnt 0x7
	v_lshrrev_b32_e32 v112, 4, v105
	v_and_b32_e32 v105, 0xf0f0f0f, v105
	v_lshrrev_b32_e32 v92, 4, v92
	s_delay_alu instid0(VALU_DEP_3)
	v_and_b32_e32 v112, 0xf0f0f0f, v112
	s_wait_loadcnt 0x0
	v_dot4_i32_iu8 v111, v111, v116, 0 neg_lo:[1,1,0]
	scratch_load_b128 v[113:116], off, off offset:80 ; 16-byte Folded Reload
	v_dot4_i32_iu8 v105, v105, v117, 0 neg_lo:[1,1,0]
	scratch_load_b64 v[117:118], off, off offset:160 ; 8-byte Folded Reload
	v_and_b32_e32 v92, 0xf0f0f0f, v92
	v_cvt_f32_i32_e32 v111, v111
	v_cvt_f32_i32_e32 v105, v105
	s_wait_loadcnt 0x1
	v_dual_mul_f32 v17, v113, v17 :: v_dual_mul_f32 v22, v114, v22
	scratch_load_b64 v[113:114], off, off offset:152 ; 8-byte Folded Reload
	v_mul_f32_e32 v22, 0x3e000000, v22
	s_delay_alu instid0(VALU_DEP_1)
	v_fma_f32 v111, v17, v111, v22
	v_fma_f32 v105, v17, v105, v22
	s_wait_loadcnt 0x0
	v_dot4_i32_iu8 v92, v92, v113, 0 neg_lo:[1,1,0]
	v_dot4_i32_iu8 v112, v112, v114, 0 neg_lo:[1,1,0]
	v_lshrrev_b32_e32 v113, 4, v107
	v_and_b32_e32 v107, 0xf0f0f0f, v107
	s_delay_alu instid0(VALU_DEP_4) | instskip(NEXT) | instid1(VALU_DEP_4)
	v_cvt_f32_i32_e32 v92, v92
	v_cvt_f32_i32_e32 v112, v112
	s_delay_alu instid0(VALU_DEP_4) | instskip(NEXT) | instid1(VALU_DEP_4)
	v_and_b32_e32 v113, 0xf0f0f0f, v113
	v_dot4_i32_iu8 v107, v107, v118, 0 neg_lo:[1,1,0]
	scratch_load_b64 v[118:119], off, off offset:176 ; 8-byte Folded Reload
	v_fma_f32 v92, v17, v92, v22
	v_fmac_f32_e32 v22, v17, v112
	v_cvt_f32_f16_e32 v17, v23
	v_lshrrev_b32_e32 v23, 16, v23
	v_and_b32_e32 v112, 0xf0f0f0f, v106
	v_lshrrev_b32_e32 v106, 4, v106
	v_cvt_f32_i32_e32 v107, v107
	v_mul_f32_e32 v17, v115, v17
	scratch_load_b64 v[114:115], off, off offset:168 ; 8-byte Folded Reload
	v_cvt_f32_f16_e32 v23, v23
	v_and_b32_e32 v106, 0xf0f0f0f, v106
	v_dot4_i32_iu8 v112, v112, v117, 0 neg_lo:[1,1,0]
	s_delay_alu instid0(VALU_DEP_3) | instskip(NEXT) | instid1(VALU_DEP_2)
	v_mul_f32_e32 v23, v116, v23
	v_cvt_f32_i32_e32 v112, v112
	s_delay_alu instid0(VALU_DEP_2) | instskip(NEXT) | instid1(VALU_DEP_1)
	v_mul_f32_e32 v23, 0x3e000000, v23
	v_fma_f32 v112, v17, v112, v23
	v_fma_f32 v107, v17, v107, v23
	s_wait_loadcnt 0x0
	v_dot4_i32_iu8 v106, v106, v114, 0 neg_lo:[1,1,0]
	v_dot4_i32_iu8 v113, v113, v115, 0 neg_lo:[1,1,0]
	v_lshrrev_b32_e32 v114, 4, v109
	v_and_b32_e32 v109, 0xf0f0f0f, v109
	s_delay_alu instid0(VALU_DEP_4) | instskip(NEXT) | instid1(VALU_DEP_4)
	v_cvt_f32_i32_e32 v106, v106
	v_cvt_f32_i32_e32 v113, v113
	s_delay_alu instid0(VALU_DEP_4) | instskip(NEXT) | instid1(VALU_DEP_4)
	v_and_b32_e32 v114, 0xf0f0f0f, v114
	v_dot4_i32_iu8 v109, v109, v119, 0 neg_lo:[1,1,0]
	scratch_load_b64 v[119:120], off, off offset:192 ; 8-byte Folded Reload
	v_fma_f32 v106, v17, v106, v23
	v_fmac_f32_e32 v23, v17, v113
	v_and_b32_e32 v113, 0xf0f0f0f, v108
	v_cvt_f32_f16_e32 v17, v90
	v_lshrrev_b32_e32 v90, 16, v90
	v_lshrrev_b32_e32 v108, 4, v108
	v_cvt_f32_i32_e32 v109, v109
	v_dot4_i32_iu8 v113, v113, v118, 0 neg_lo:[1,1,0]
	scratch_load_b128 v[115:118], off, off offset:96 ; 16-byte Folded Reload
	v_cvt_f32_f16_e32 v90, v90
	v_and_b32_e32 v108, 0xf0f0f0f, v108
	v_cvt_f32_i32_e32 v113, v113
	s_wait_loadcnt 0x0
	s_delay_alu instid0(VALU_DEP_3) | instskip(SKIP_2) | instid1(VALU_DEP_1)
	v_dual_mul_f32 v17, v115, v17 :: v_dual_mul_f32 v90, v116, v90
	scratch_load_b64 v[115:116], off, off offset:184 ; 8-byte Folded Reload
	v_mul_f32_e32 v90, 0x3e000000, v90
	v_fma_f32 v113, v17, v113, v90
	v_fma_f32 v109, v17, v109, v90
	s_wait_loadcnt 0x0
	v_dot4_i32_iu8 v108, v108, v115, 0 neg_lo:[1,1,0]
	v_dot4_i32_iu8 v114, v114, v116, 0 neg_lo:[1,1,0]
	v_lshrrev_b32_e32 v115, 4, v16
	v_and_b32_e32 v16, 0xf0f0f0f, v16
	s_delay_alu instid0(VALU_DEP_4) | instskip(NEXT) | instid1(VALU_DEP_4)
	v_cvt_f32_i32_e32 v108, v108
	v_cvt_f32_i32_e32 v114, v114
	s_delay_alu instid0(VALU_DEP_4) | instskip(NEXT) | instid1(VALU_DEP_4)
	v_and_b32_e32 v115, 0xf0f0f0f, v115
	v_dot4_i32_iu8 v16, v16, v120, 0 neg_lo:[1,1,0]
	s_delay_alu instid0(VALU_DEP_4) | instskip(NEXT) | instid1(VALU_DEP_4)
	v_fma_f32 v108, v17, v108, v90
	v_fmac_f32_e32 v90, v17, v114
	v_cvt_f32_f16_e32 v17, v91
	v_lshrrev_b32_e32 v91, 16, v91
	v_and_b32_e32 v114, 0xf0f0f0f, v110
	v_lshrrev_b32_e32 v110, 4, v110
	v_cvt_f32_i32_e32 v16, v16
	v_mul_f32_e32 v17, v117, v17
	scratch_load_b64 v[116:117], off, off offset:200 ; 8-byte Folded Reload
	v_cvt_f32_f16_e32 v91, v91
	v_and_b32_e32 v110, 0xf0f0f0f, v110
	v_dot4_i32_iu8 v114, v114, v119, 0 neg_lo:[1,1,0]
	s_delay_alu instid0(VALU_DEP_3) | instskip(NEXT) | instid1(VALU_DEP_2)
	v_mul_f32_e32 v91, v118, v91
	v_cvt_f32_i32_e32 v114, v114
	s_delay_alu instid0(VALU_DEP_2) | instskip(NEXT) | instid1(VALU_DEP_1)
	v_mul_f32_e32 v91, 0x3e000000, v91
	v_fma_f32 v114, v17, v114, v91
	v_fma_f32 v16, v17, v16, v91
	s_wait_loadcnt 0x0
	v_dot4_i32_iu8 v110, v110, v116, 0 neg_lo:[1,1,0]
	v_dot4_i32_iu8 v115, v115, v117, 0 neg_lo:[1,1,0]
	s_delay_alu instid0(VALU_DEP_2) | instskip(NEXT) | instid1(VALU_DEP_2)
	v_cvt_f32_i32_e32 v110, v110
	v_cvt_f32_i32_e32 v115, v115
	s_delay_alu instid0(VALU_DEP_2) | instskip(NEXT) | instid1(VALU_DEP_2)
	v_fma_f32 v110, v17, v110, v91
	v_fmac_f32_e32 v91, v17, v115
	v_add_f32_e32 v17, 0, v101
	s_delay_alu instid0(VALU_DEP_1) | instskip(NEXT) | instid1(VALU_DEP_1)
	v_add_f32_e32 v17, v17, v94
	v_add_f32_e32 v17, v17, v93
	s_delay_alu instid0(VALU_DEP_1) | instskip(NEXT) | instid1(VALU_DEP_1)
	v_add_f32_e32 v17, v17, v18
	;; [unrolled: 3-line block ×15, first 2 shown]
	v_add_f32_e32 v16, v16, v110
	s_delay_alu instid0(VALU_DEP_1) | instskip(SKIP_3) | instid1(VALU_DEP_1)
	v_add_f32_e32 v16, v16, v91
	ds_bpermute_b32 v17, v152, v16
	s_wait_dscnt 0x0
	v_add_f32_e32 v16, v16, v17
                                        ; implicit-def: $vgpr17
	v_cmp_ngt_f32_e64 s11, 0x3f200000, |v16|
	s_and_saveexec_b32 s12, s11
	s_wait_alu 0xfffe
	s_xor_b32 s11, exec_lo, s12
	s_cbranch_execz .LBB27_17
; %bb.16:                               ;   in Loop: Header=BB27_15 Depth=1
	v_add_f32_e64 v17, |v16|, |v16|
	s_delay_alu instid0(VALU_DEP_1) | instskip(SKIP_1) | instid1(VALU_DEP_2)
	v_mul_f32_e32 v18, 0x3fb8aa3b, v17
	v_cmp_ngt_f32_e32 vcc_lo, 0xc2ce8ed0, v17
	v_rndne_f32_e32 v19, v18
	v_fma_f32 v20, 0x3fb8aa3b, v17, -v18
	s_delay_alu instid0(VALU_DEP_2) | instskip(NEXT) | instid1(VALU_DEP_2)
	v_sub_f32_e32 v18, v18, v19
	v_fmac_f32_e32 v20, 0x32a5705f, v17
	v_cvt_i32_f32_e32 v19, v19
	s_delay_alu instid0(VALU_DEP_2) | instskip(NEXT) | instid1(VALU_DEP_1)
	v_add_f32_e32 v18, v18, v20
	v_exp_f32_e32 v18, v18
	s_delay_alu instid0(TRANS32_DEP_1) | instskip(SKIP_1) | instid1(VALU_DEP_1)
	v_ldexp_f32 v18, v18, v19
	s_wait_alu 0xfffd
	v_cndmask_b32_e32 v18, 0, v18, vcc_lo
	v_cmp_nlt_f32_e32 vcc_lo, 0x42b17218, v17
	s_wait_alu 0xfffd
	s_delay_alu instid0(VALU_DEP_2) | instskip(NEXT) | instid1(VALU_DEP_1)
	v_cndmask_b32_e32 v17, 0x7f800000, v18, vcc_lo
	v_add_f32_e32 v17, 1.0, v17
	s_delay_alu instid0(VALU_DEP_1) | instskip(NEXT) | instid1(TRANS32_DEP_1)
	v_rcp_f32_e32 v17, v17
	v_fma_f32 v17, v17, -2.0, 1.0
.LBB27_17:                              ;   in Loop: Header=BB27_15 Depth=1
	s_wait_alu 0xfffe
	s_and_not1_saveexec_b32 s11, s11
	s_cbranch_execz .LBB27_19
; %bb.18:                               ;   in Loop: Header=BB27_15 Depth=1
	v_mul_f32_e32 v17, v16, v16
	s_delay_alu instid0(VALU_DEP_1) | instskip(NEXT) | instid1(VALU_DEP_1)
	v_fmaak_f32 v18, s10, v17, 0x3ca908c9
	v_fmaak_f32 v18, v17, v18, 0xbd5c1c4e
	s_delay_alu instid0(VALU_DEP_1) | instskip(NEXT) | instid1(VALU_DEP_1)
	v_fmaak_f32 v18, v17, v18, 0x3e088382
	v_fmaak_f32 v18, v17, v18, 0xbeaaaa99
	s_delay_alu instid0(VALU_DEP_1) | instskip(NEXT) | instid1(VALU_DEP_1)
	v_mul_f32_e64 v18, |v16|, v18
	v_fma_f32 v17, v17, v18, |v16|
.LBB27_19:                              ;   in Loop: Header=BB27_15 Depth=1
	s_wait_alu 0xfffe
	s_or_b32 exec_lo, exec_lo, s11
	s_delay_alu instid0(VALU_DEP_1) | instskip(SKIP_1) | instid1(VALU_DEP_1)
	v_bfi_b32 v16, 0x7fffffff, v17, v16
	s_and_not1_b32 vcc_lo, exec_lo, s87
	v_mul_f32_e32 v18, s67, v16
	s_wait_alu 0xfffe
	s_cbranch_vccnz .LBB27_21
; %bb.20:                               ;   in Loop: Header=BB27_15 Depth=1
	global_load_u16 v16, v[56:57], off offset:-2
	scratch_load_b32 v17, off, off offset:548 ; 4-byte Folded Reload
	s_wait_loadcnt 0x0
	v_fma_mix_f32 v18, v17, v16, v18 op_sel_hi:[0,1,0]
.LBB27_21:                              ;   in Loop: Header=BB27_15 Depth=1
	s_clause 0x1
	scratch_load_b32 v16, off, off offset:8
	scratch_load_b32 v17, off, off offset:12
	s_wait_loadcnt 0x1
	v_add_co_u32 v16, vcc_lo, v16, s7
	s_wait_loadcnt 0x0
	s_wait_alu 0xfffd
	v_add_co_ci_u32_e64 v17, null, 0, v17, vcc_lo
	s_clause 0x7
	global_load_b32 v19, v[16:17], off
	global_load_b32 v20, v[16:17], off offset:20
	global_load_b32 v21, v[16:17], off offset:40
	;; [unrolled: 1-line block ×7, first 2 shown]
	scratch_load_b32 v17, off, off offset:4 ; 4-byte Folded Reload
	v_add_co_u32 v16, vcc_lo, v121, s7
	s_wait_loadcnt 0x8
	v_cvt_f32_f16_e32 v93, v19
	v_lshrrev_b32_e32 v19, 16, v19
	s_delay_alu instid0(VALU_DEP_1)
	v_cvt_f32_f16_e32 v19, v19
	s_wait_loadcnt 0x0
	s_wait_alu 0xfffd
	v_add_co_ci_u32_e64 v17, null, 0, v17, vcc_lo
	s_clause 0x7
	global_load_b32 v94, v[16:17], off offset:4
	global_load_b32 v95, v[16:17], off offset:12
	;; [unrolled: 1-line block ×8, first 2 shown]
	s_clause 0x1
	scratch_load_b64 v[104:105], off, off offset:16
	scratch_load_b128 v[106:109], off, off offset:48
	s_wait_loadcnt 0x9
	v_dual_mov_b32 v123, v121 :: v_dual_and_b32 v102, 0xf0f0f0f, v94
	s_wait_loadcnt 0x8
	v_lshrrev_b32_e32 v103, 4, v95
	v_and_b32_e32 v95, 0xf0f0f0f, v95
	v_lshrrev_b32_e32 v94, 4, v94
	s_delay_alu instid0(VALU_DEP_3)
	v_and_b32_e32 v103, 0xf0f0f0f, v103
	s_wait_loadcnt 0x1
	v_dot4_i32_iu8 v102, v102, v104, 0 neg_lo:[1,1,0]
	v_dot4_i32_iu8 v95, v95, v105, 0 neg_lo:[1,1,0]
	scratch_load_b64 v[104:105], off, off offset:24 ; 8-byte Folded Reload
	s_wait_loadcnt 0x1
	v_dual_mul_f32 v93, v106, v93 :: v_dual_and_b32 v94, 0xf0f0f0f, v94
	v_mul_f32_e32 v19, v107, v19
	v_cvt_f32_i32_e32 v102, v102
	v_cvt_f32_i32_e32 v95, v95
	s_delay_alu instid0(VALU_DEP_3) | instskip(NEXT) | instid1(VALU_DEP_1)
	v_mul_f32_e32 v19, 0x3e000000, v19
	v_fma_f32 v102, v93, v102, v19
	s_delay_alu instid0(VALU_DEP_3)
	v_fma_f32 v95, v93, v95, v19
	s_wait_loadcnt 0x0
	v_dot4_i32_iu8 v103, v103, v105, 0 neg_lo:[1,1,0]
	scratch_load_b64 v[105:106], off, off offset:32 ; 8-byte Folded Reload
	v_dot4_i32_iu8 v94, v94, v104, 0 neg_lo:[1,1,0]
	v_lshrrev_b32_e32 v104, 4, v97
	v_and_b32_e32 v97, 0xf0f0f0f, v97
	v_cvt_f32_i32_e32 v103, v103
	s_delay_alu instid0(VALU_DEP_4) | instskip(NEXT) | instid1(VALU_DEP_4)
	v_cvt_f32_i32_e32 v94, v94
	v_and_b32_e32 v104, 0xf0f0f0f, v104
	s_delay_alu instid0(VALU_DEP_2) | instskip(NEXT) | instid1(VALU_DEP_4)
	v_fma_f32 v94, v93, v94, v19
	v_fmac_f32_e32 v19, v93, v103
	v_cvt_f32_f16_e32 v93, v20
	v_lshrrev_b32_e32 v20, 16, v20
	v_and_b32_e32 v103, 0xf0f0f0f, v96
	v_lshrrev_b32_e32 v96, 4, v96
	s_delay_alu instid0(VALU_DEP_4) | instskip(NEXT) | instid1(VALU_DEP_4)
	v_mul_f32_e32 v93, v108, v93
	v_cvt_f32_f16_e32 v20, v20
	s_delay_alu instid0(VALU_DEP_3) | instskip(NEXT) | instid1(VALU_DEP_2)
	v_and_b32_e32 v96, 0xf0f0f0f, v96
	v_mul_f32_e32 v20, v109, v20
	scratch_load_b64 v[109:110], off, off offset:112 ; 8-byte Folded Reload
	v_mul_f32_e32 v20, 0x3e000000, v20
	s_wait_loadcnt 0x1
	v_dot4_i32_iu8 v103, v103, v105, 0 neg_lo:[1,1,0]
	v_dot4_i32_iu8 v97, v97, v106, 0 neg_lo:[1,1,0]
	scratch_load_b64 v[105:106], off, off offset:40 ; 8-byte Folded Reload
	v_cvt_f32_i32_e32 v103, v103
	v_cvt_f32_i32_e32 v97, v97
	s_delay_alu instid0(VALU_DEP_2) | instskip(NEXT) | instid1(VALU_DEP_2)
	v_fma_f32 v103, v93, v103, v20
	v_fma_f32 v97, v93, v97, v20
	s_wait_loadcnt 0x0
	v_dot4_i32_iu8 v96, v96, v105, 0 neg_lo:[1,1,0]
	v_dot4_i32_iu8 v104, v104, v106, 0 neg_lo:[1,1,0]
	v_lshrrev_b32_e32 v105, 4, v99
	v_and_b32_e32 v99, 0xf0f0f0f, v99
	s_delay_alu instid0(VALU_DEP_4) | instskip(NEXT) | instid1(VALU_DEP_4)
	v_cvt_f32_i32_e32 v96, v96
	v_cvt_f32_i32_e32 v104, v104
	s_delay_alu instid0(VALU_DEP_4) | instskip(NEXT) | instid1(VALU_DEP_4)
	v_and_b32_e32 v105, 0xf0f0f0f, v105
	v_dot4_i32_iu8 v99, v99, v110, 0 neg_lo:[1,1,0]
	scratch_load_b64 v[110:111], off, off offset:128 ; 8-byte Folded Reload
	v_fma_f32 v96, v93, v96, v20
	v_fmac_f32_e32 v20, v93, v104
	v_and_b32_e32 v104, 0xf0f0f0f, v98
	v_cvt_f32_f16_e32 v93, v21
	v_lshrrev_b32_e32 v21, 16, v21
	v_lshrrev_b32_e32 v98, 4, v98
	v_cvt_f32_i32_e32 v99, v99
	v_dot4_i32_iu8 v104, v104, v109, 0 neg_lo:[1,1,0]
	scratch_load_b128 v[106:109], off, off offset:64 ; 16-byte Folded Reload
	v_cvt_f32_f16_e32 v21, v21
	v_and_b32_e32 v98, 0xf0f0f0f, v98
	v_cvt_f32_i32_e32 v104, v104
	s_wait_loadcnt 0x0
	v_mul_f32_e32 v93, v106, v93
	v_mul_f32_e32 v21, v107, v21
	scratch_load_b64 v[106:107], off, off offset:120 ; 8-byte Folded Reload
	v_mul_f32_e32 v21, 0x3e000000, v21
	s_delay_alu instid0(VALU_DEP_1)
	v_fma_f32 v104, v93, v104, v21
	v_fma_f32 v99, v93, v99, v21
	s_wait_loadcnt 0x0
	v_dot4_i32_iu8 v98, v98, v106, 0 neg_lo:[1,1,0]
	v_dot4_i32_iu8 v105, v105, v107, 0 neg_lo:[1,1,0]
	v_lshrrev_b32_e32 v106, 4, v101
	v_and_b32_e32 v101, 0xf0f0f0f, v101
	s_delay_alu instid0(VALU_DEP_4) | instskip(NEXT) | instid1(VALU_DEP_4)
	v_cvt_f32_i32_e32 v98, v98
	v_cvt_f32_i32_e32 v105, v105
	s_delay_alu instid0(VALU_DEP_4) | instskip(NEXT) | instid1(VALU_DEP_4)
	v_and_b32_e32 v106, 0xf0f0f0f, v106
	v_dot4_i32_iu8 v101, v101, v111, 0 neg_lo:[1,1,0]
	s_delay_alu instid0(VALU_DEP_4) | instskip(NEXT) | instid1(VALU_DEP_4)
	v_fma_f32 v98, v93, v98, v21
	v_fmac_f32_e32 v21, v93, v105
	v_cvt_f32_f16_e32 v93, v22
	v_lshrrev_b32_e32 v22, 16, v22
	v_and_b32_e32 v105, 0xf0f0f0f, v100
	v_lshrrev_b32_e32 v100, 4, v100
	v_cvt_f32_i32_e32 v101, v101
	v_mul_f32_e32 v93, v108, v93
	scratch_load_b64 v[107:108], off, off offset:136 ; 8-byte Folded Reload
	v_cvt_f32_f16_e32 v22, v22
	v_and_b32_e32 v100, 0xf0f0f0f, v100
	v_dot4_i32_iu8 v105, v105, v110, 0 neg_lo:[1,1,0]
	s_delay_alu instid0(VALU_DEP_3) | instskip(NEXT) | instid1(VALU_DEP_2)
	v_mul_f32_e32 v22, v109, v22
	v_cvt_f32_i32_e32 v105, v105
	s_delay_alu instid0(VALU_DEP_2) | instskip(NEXT) | instid1(VALU_DEP_1)
	v_mul_f32_e32 v22, 0x3e000000, v22
	v_fma_f32 v105, v93, v105, v22
	v_fma_f32 v101, v93, v101, v22
	s_wait_loadcnt 0x0
	v_dot4_i32_iu8 v100, v100, v107, 0 neg_lo:[1,1,0]
	v_dot4_i32_iu8 v106, v106, v108, 0 neg_lo:[1,1,0]
	s_delay_alu instid0(VALU_DEP_2) | instskip(NEXT) | instid1(VALU_DEP_2)
	v_cvt_f32_i32_e32 v100, v100
	v_cvt_f32_i32_e32 v106, v106
	s_delay_alu instid0(VALU_DEP_2) | instskip(NEXT) | instid1(VALU_DEP_2)
	v_fma_f32 v100, v93, v100, v22
	v_fmac_f32_e32 v22, v93, v106
	s_clause 0x7
	global_load_b32 v93, v[16:17], off offset:84
	global_load_b32 v106, v[16:17], off offset:92
	;; [unrolled: 1-line block ×8, first 2 shown]
	scratch_load_b64 v[118:119], off, off offset:144 ; 8-byte Folded Reload
	v_cvt_f32_f16_e32 v17, v23
	v_lshrrev_b32_e32 v23, 16, v23
	scratch_load_b64 v[121:122], off, off offset:176 ; 8-byte Folded Reload
	v_cvt_f32_f16_e32 v23, v23
	s_wait_loadcnt 0x9
	v_and_b32_e32 v112, 0xf0f0f0f, v93
	s_wait_loadcnt 0x8
	v_lshrrev_b32_e32 v113, 4, v106
	v_lshrrev_b32_e32 v93, 4, v93
	v_and_b32_e32 v106, 0xf0f0f0f, v106
	s_delay_alu instid0(VALU_DEP_3) | instskip(NEXT) | instid1(VALU_DEP_3)
	v_and_b32_e32 v113, 0xf0f0f0f, v113
	v_and_b32_e32 v93, 0xf0f0f0f, v93
	s_wait_loadcnt 0x1
	v_dot4_i32_iu8 v112, v112, v118, 0 neg_lo:[1,1,0]
	scratch_load_b128 v[115:118], off, off offset:80 ; 16-byte Folded Reload
	v_dot4_i32_iu8 v106, v106, v119, 0 neg_lo:[1,1,0]
	v_cvt_f32_i32_e32 v112, v112
	s_delay_alu instid0(VALU_DEP_2) | instskip(SKIP_4) | instid1(VALU_DEP_1)
	v_cvt_f32_i32_e32 v106, v106
	s_wait_loadcnt 0x0
	v_mul_f32_e32 v17, v115, v17
	scratch_load_b64 v[114:115], off, off offset:152 ; 8-byte Folded Reload
	v_mul_f32_e32 v23, v116, v23
	v_mul_f32_e32 v23, 0x3e000000, v23
	s_wait_loadcnt 0x0
	v_dot4_i32_iu8 v113, v113, v115, 0 neg_lo:[1,1,0]
	scratch_load_b64 v[115:116], off, off offset:160 ; 8-byte Folded Reload
	v_dot4_i32_iu8 v93, v93, v114, 0 neg_lo:[1,1,0]
	v_lshrrev_b32_e32 v114, 4, v108
	v_and_b32_e32 v108, 0xf0f0f0f, v108
	v_cvt_f32_i32_e32 v113, v113
	v_fma_f32 v112, v17, v112, v23
	v_cvt_f32_i32_e32 v93, v93
	v_fma_f32 v106, v17, v106, v23
	v_and_b32_e32 v114, 0xf0f0f0f, v114
	s_delay_alu instid0(VALU_DEP_3)
	v_fma_f32 v93, v17, v93, v23
	v_fmac_f32_e32 v23, v17, v113
	v_cvt_f32_f16_e32 v17, v90
	v_lshrrev_b32_e32 v90, 16, v90
	v_and_b32_e32 v113, 0xf0f0f0f, v107
	v_lshrrev_b32_e32 v107, 4, v107
	s_delay_alu instid0(VALU_DEP_4) | instskip(NEXT) | instid1(VALU_DEP_4)
	v_mul_f32_e32 v17, v117, v17
	v_cvt_f32_f16_e32 v90, v90
	s_delay_alu instid0(VALU_DEP_1)
	v_dual_mul_f32 v90, v118, v90 :: v_dual_and_b32 v107, 0xf0f0f0f, v107
	scratch_load_b128 v[117:120], off, off offset:96 ; 16-byte Folded Reload
	v_mul_f32_e32 v90, 0x3e000000, v90
	s_wait_loadcnt 0x1
	v_dot4_i32_iu8 v113, v113, v115, 0 neg_lo:[1,1,0]
	v_dot4_i32_iu8 v108, v108, v116, 0 neg_lo:[1,1,0]
	scratch_load_b64 v[115:116], off, off offset:168 ; 8-byte Folded Reload
	v_cvt_f32_i32_e32 v113, v113
	v_cvt_f32_i32_e32 v108, v108
	s_wait_loadcnt 0x0
	v_dot4_i32_iu8 v107, v107, v115, 0 neg_lo:[1,1,0]
	v_dot4_i32_iu8 v114, v114, v116, 0 neg_lo:[1,1,0]
	v_lshrrev_b32_e32 v115, 4, v110
	v_and_b32_e32 v110, 0xf0f0f0f, v110
	v_fma_f32 v113, v17, v113, v90
	v_cvt_f32_i32_e32 v107, v107
	v_cvt_f32_i32_e32 v114, v114
	v_fma_f32 v108, v17, v108, v90
	v_and_b32_e32 v115, 0xf0f0f0f, v115
	v_dot4_i32_iu8 v110, v110, v122, 0 neg_lo:[1,1,0]
	v_fma_f32 v107, v17, v107, v90
	v_fmac_f32_e32 v90, v17, v114
	v_cvt_f32_f16_e32 v17, v91
	v_lshrrev_b32_e32 v91, 16, v91
	v_cvt_f32_i32_e32 v110, v110
	s_delay_alu instid0(VALU_DEP_3) | instskip(SKIP_4) | instid1(VALU_DEP_3)
	v_mul_f32_e32 v17, v117, v17
	scratch_load_b64 v[116:117], off, off offset:184 ; 8-byte Folded Reload
	v_cvt_f32_f16_e32 v91, v91
	v_and_b32_e32 v114, 0xf0f0f0f, v109
	v_lshrrev_b32_e32 v109, 4, v109
	v_mul_f32_e32 v91, v118, v91
	s_delay_alu instid0(VALU_DEP_3) | instskip(NEXT) | instid1(VALU_DEP_3)
	v_dot4_i32_iu8 v114, v114, v121, 0 neg_lo:[1,1,0]
	v_and_b32_e32 v109, 0xf0f0f0f, v109
	s_delay_alu instid0(VALU_DEP_3) | instskip(NEXT) | instid1(VALU_DEP_3)
	v_mul_f32_e32 v91, 0x3e000000, v91
	v_cvt_f32_i32_e32 v114, v114
	s_wait_loadcnt 0x0
	v_dot4_i32_iu8 v115, v115, v117, 0 neg_lo:[1,1,0]
	scratch_load_b64 v[117:118], off, off offset:192 ; 8-byte Folded Reload
	v_dot4_i32_iu8 v109, v109, v116, 0 neg_lo:[1,1,0]
	v_lshrrev_b32_e32 v116, 4, v16
	v_and_b32_e32 v16, 0xf0f0f0f, v16
	v_cvt_f32_i32_e32 v115, v115
	v_fma_f32 v114, v17, v114, v91
	v_cvt_f32_i32_e32 v109, v109
	v_fma_f32 v110, v17, v110, v91
	v_and_b32_e32 v116, 0xf0f0f0f, v116
	s_delay_alu instid0(VALU_DEP_3)
	v_fma_f32 v109, v17, v109, v91
	v_fmac_f32_e32 v91, v17, v115
	v_and_b32_e32 v115, 0xf0f0f0f, v111
	v_cvt_f32_f16_e32 v17, v92
	v_lshrrev_b32_e32 v92, 16, v92
	v_lshrrev_b32_e32 v111, 4, v111
	s_delay_alu instid0(VALU_DEP_3) | instskip(NEXT) | instid1(VALU_DEP_3)
	v_mul_f32_e32 v17, v119, v17
	v_cvt_f32_f16_e32 v92, v92
	s_delay_alu instid0(VALU_DEP_1) | instskip(NEXT) | instid1(VALU_DEP_1)
	v_dual_mul_f32 v92, v120, v92 :: v_dual_and_b32 v111, 0xf0f0f0f, v111
	v_mul_f32_e32 v92, 0x3e000000, v92
	s_wait_loadcnt 0x0
	v_dot4_i32_iu8 v115, v115, v117, 0 neg_lo:[1,1,0]
	v_dot4_i32_iu8 v16, v16, v118, 0 neg_lo:[1,1,0]
	scratch_load_b64 v[117:118], off, off offset:200 ; 8-byte Folded Reload
	v_cvt_f32_i32_e32 v115, v115
	v_cvt_f32_i32_e32 v16, v16
	s_delay_alu instid0(VALU_DEP_2) | instskip(NEXT) | instid1(VALU_DEP_2)
	v_fma_f32 v115, v17, v115, v92
	v_fma_f32 v16, v17, v16, v92
	s_wait_loadcnt 0x0
	v_dot4_i32_iu8 v111, v111, v117, 0 neg_lo:[1,1,0]
	v_dot4_i32_iu8 v116, v116, v118, 0 neg_lo:[1,1,0]
	s_delay_alu instid0(VALU_DEP_2) | instskip(NEXT) | instid1(VALU_DEP_2)
	v_cvt_f32_i32_e32 v111, v111
	v_cvt_f32_i32_e32 v116, v116
	s_delay_alu instid0(VALU_DEP_2) | instskip(NEXT) | instid1(VALU_DEP_2)
	v_fma_f32 v111, v17, v111, v92
	v_dual_fmac_f32 v92, v17, v116 :: v_dual_add_f32 v17, 0, v102
	s_delay_alu instid0(VALU_DEP_1) | instskip(NEXT) | instid1(VALU_DEP_1)
	v_add_f32_e32 v17, v17, v95
	v_add_f32_e32 v17, v17, v94
	s_delay_alu instid0(VALU_DEP_1) | instskip(NEXT) | instid1(VALU_DEP_1)
	v_add_f32_e32 v17, v17, v19
	v_add_f32_e32 v17, v17, v103
	;; [unrolled: 3-line block ×7, first 2 shown]
	s_delay_alu instid0(VALU_DEP_1) | instskip(SKIP_2) | instid1(VALU_DEP_1)
	v_add_f32_e32 v17, v17, v22
	scratch_load_b32 v22, off, off offset:324 ; 4-byte Folded Reload
	v_add_f32_e32 v17, v17, v112
	v_add_f32_e32 v17, v17, v106
	s_delay_alu instid0(VALU_DEP_1) | instskip(NEXT) | instid1(VALU_DEP_1)
	v_add_f32_e32 v17, v17, v93
	v_add_f32_e32 v17, v17, v23
	s_delay_alu instid0(VALU_DEP_1) | instskip(NEXT) | instid1(VALU_DEP_1)
	;; [unrolled: 3-line block ×7, first 2 shown]
	v_add_f32_e32 v16, v16, v111
	v_add_f32_e32 v16, v16, v92
	s_wait_loadcnt 0x0
	ds_bpermute_b32 v17, v22, v16
	s_wait_dscnt 0x0
	v_add_f32_e32 v16, v16, v17
                                        ; implicit-def: $vgpr17
	s_delay_alu instid0(VALU_DEP_1)
	v_cmp_ngt_f32_e64 s11, 0x3f200000, |v16|
	s_and_saveexec_b32 s12, s11
	s_wait_alu 0xfffe
	s_xor_b32 s11, exec_lo, s12
	s_cbranch_execz .LBB27_23
; %bb.22:                               ;   in Loop: Header=BB27_15 Depth=1
	v_add_f32_e64 v17, |v16|, |v16|
	s_delay_alu instid0(VALU_DEP_1) | instskip(SKIP_1) | instid1(VALU_DEP_2)
	v_mul_f32_e32 v19, 0x3fb8aa3b, v17
	v_cmp_ngt_f32_e32 vcc_lo, 0xc2ce8ed0, v17
	v_rndne_f32_e32 v20, v19
	v_fma_f32 v21, 0x3fb8aa3b, v17, -v19
	s_delay_alu instid0(VALU_DEP_2) | instskip(NEXT) | instid1(VALU_DEP_2)
	v_sub_f32_e32 v19, v19, v20
	v_fmac_f32_e32 v21, 0x32a5705f, v17
	v_cvt_i32_f32_e32 v20, v20
	s_delay_alu instid0(VALU_DEP_2) | instskip(NEXT) | instid1(VALU_DEP_1)
	v_add_f32_e32 v19, v19, v21
	v_exp_f32_e32 v19, v19
	s_delay_alu instid0(TRANS32_DEP_1) | instskip(SKIP_1) | instid1(VALU_DEP_1)
	v_ldexp_f32 v19, v19, v20
	s_wait_alu 0xfffd
	v_cndmask_b32_e32 v19, 0, v19, vcc_lo
	v_cmp_nlt_f32_e32 vcc_lo, 0x42b17218, v17
	s_wait_alu 0xfffd
	s_delay_alu instid0(VALU_DEP_2) | instskip(NEXT) | instid1(VALU_DEP_1)
	v_cndmask_b32_e32 v17, 0x7f800000, v19, vcc_lo
	v_add_f32_e32 v17, 1.0, v17
	s_delay_alu instid0(VALU_DEP_1) | instskip(NEXT) | instid1(TRANS32_DEP_1)
	v_rcp_f32_e32 v17, v17
	v_fma_f32 v17, v17, -2.0, 1.0
.LBB27_23:                              ;   in Loop: Header=BB27_15 Depth=1
	s_wait_alu 0xfffe
	s_or_saveexec_b32 s11, s11
	s_clause 0xb
	scratch_load_b32 v90, off, off offset:328
	scratch_load_b32 v114, off, off offset:332
	;; [unrolled: 1-line block ×12, first 2 shown]
	s_wait_alu 0xfffe
	s_xor_b32 exec_lo, exec_lo, s11
	s_cbranch_execz .LBB27_25
; %bb.24:                               ;   in Loop: Header=BB27_15 Depth=1
	v_mul_f32_e32 v17, v16, v16
	s_delay_alu instid0(VALU_DEP_1) | instskip(NEXT) | instid1(VALU_DEP_1)
	v_fmaak_f32 v19, s10, v17, 0x3ca908c9
	v_fmaak_f32 v19, v17, v19, 0xbd5c1c4e
	s_delay_alu instid0(VALU_DEP_1) | instskip(NEXT) | instid1(VALU_DEP_1)
	v_fmaak_f32 v19, v17, v19, 0x3e088382
	v_fmaak_f32 v19, v17, v19, 0xbeaaaa99
	s_delay_alu instid0(VALU_DEP_1) | instskip(NEXT) | instid1(VALU_DEP_1)
	v_mul_f32_e64 v19, |v16|, v19
	v_fma_f32 v17, v17, v19, |v16|
.LBB27_25:                              ;   in Loop: Header=BB27_15 Depth=1
	s_or_b32 exec_lo, exec_lo, s11
	s_delay_alu instid0(VALU_DEP_1)
	v_bfi_b32 v16, 0x7fffffff, v17, v16
	s_and_not1_b32 vcc_lo, exec_lo, s87
	s_clause 0x1
	scratch_store_b32 off, v123, off
	scratch_store_b64 off, v[56:57], off offset:512
	v_mul_f32_e32 v16, s67, v16
	s_wait_alu 0xfffe
	s_cbranch_vccnz .LBB27_27
; %bb.26:                               ;   in Loop: Header=BB27_15 Depth=1
	global_load_u16 v17, v[56:57], off
	scratch_load_b32 v19, off, off offset:548 ; 4-byte Folded Reload
	s_wait_loadcnt 0x0
	v_fma_mix_f32 v16, v19, v17, v16 op_sel_hi:[0,1,0]
.LBB27_27:                              ;   in Loop: Header=BB27_15 Depth=1
	s_delay_alu instid0(VALU_DEP_1)
	v_add_f32_e32 v19, 0x40051340, v16
	v_cndmask_b32_e64 v16, v16, v18, s3
	v_add_f32_e32 v17, 0x40051340, v18
	s_add_co_i32 s100, s100, s68
	scratch_load_b32 v18, off, off offset:568 ; 4-byte Folded Reload
	s_cmp_ge_i32 s100, s94
	scratch_load_b32 v93, off, off offset:572 ; 4-byte Folded Reload
	v_max3_num_f32 v17, v124, v17, v19
	scratch_load_b32 v19, off, off offset:556 ; 4-byte Folded Reload
	v_mov_b32_e32 v152, v151
	s_wait_loadcnt 0x0
	ds_bpermute_b32 v19, v19, v17
	s_wait_dscnt 0x0
	v_max_num_f32_e32 v19, v19, v19
	s_delay_alu instid0(VALU_DEP_1)
	v_max_num_f32_e32 v17, v17, v19
	scratch_load_b32 v19, off, off offset:560 ; 4-byte Folded Reload
	s_wait_loadcnt 0x0
	ds_bpermute_b32 v19, v19, v17
	s_wait_dscnt 0x0
	v_max_num_f32_e32 v19, v19, v19
	s_delay_alu instid0(VALU_DEP_1)
	v_max_num_f32_e32 v17, v17, v19
	scratch_load_b32 v19, off, off offset:564 ; 4-byte Folded Reload
	s_wait_loadcnt 0x0
	ds_bpermute_b32 v19, v19, v17
	s_wait_dscnt 0x0
	v_max_num_f32_e32 v19, v19, v19
	s_delay_alu instid0(VALU_DEP_1) | instskip(SKIP_3) | instid1(VALU_DEP_1)
	v_max_num_f32_e32 v17, v17, v19
	ds_bpermute_b32 v18, v18, v17
	s_wait_dscnt 0x0
	v_max_num_f32_e32 v18, v18, v18
	v_max_num_f32_e32 v56, v17, v18
	s_delay_alu instid0(VALU_DEP_1) | instskip(NEXT) | instid1(VALU_DEP_1)
	v_sub_f32_e32 v16, v16, v56
	v_mul_f32_e32 v17, 0x3fb8aa3b, v16
	v_cmp_ngt_f32_e32 vcc_lo, 0xc2ce8ed0, v16
	s_delay_alu instid0(VALU_DEP_2) | instskip(SKIP_1) | instid1(VALU_DEP_1)
	v_fma_f32 v18, 0x3fb8aa3b, v16, -v17
	v_rndne_f32_e32 v19, v17
	v_dual_fmac_f32 v18, 0x32a5705f, v16 :: v_dual_sub_f32 v17, v17, v19
	s_delay_alu instid0(VALU_DEP_1) | instskip(SKIP_1) | instid1(VALU_DEP_2)
	v_add_f32_e32 v17, v17, v18
	v_cvt_i32_f32_e32 v18, v19
	v_exp_f32_e32 v17, v17
	s_delay_alu instid0(TRANS32_DEP_1) | instskip(SKIP_1) | instid1(VALU_DEP_1)
	v_ldexp_f32 v17, v17, v18
	s_wait_alu 0xfffd
	v_cndmask_b32_e32 v17, 0, v17, vcc_lo
	v_cmp_nlt_f32_e32 vcc_lo, 0x42b17218, v16
	s_wait_alu 0xfffd
	s_delay_alu instid0(VALU_DEP_2)
	v_cndmask_b32_e32 v91, 0x7f800000, v17, vcc_lo
	scratch_load_b32 v17, off, off offset:552 ; 4-byte Folded Reload
	v_cvt_f16_f32_e32 v16, v91
	s_wait_loadcnt 0x0
	ds_store_b16 v17, v16
	ds_load_b128 v[20:23], v93
	ds_load_b128 v[16:19], v93 offset:16
	s_wait_dscnt 0x1
	v_lshrrev_b32_e32 v97, 16, v20
	v_lshrrev_b32_e32 v94, 16, v22
	v_and_b32_e32 v99, 0xffff, v20
	v_and_b32_e32 v20, 0xffff, v22
	s_wait_dscnt 0x0
	v_lshrrev_b32_e32 v121, 16, v16
	v_and_b32_e32 v16, 0xffff, v16
	v_lshrrev_b32_e32 v92, 16, v21
	v_lshrrev_b32_e32 v113, 16, v23
	scratch_store_b32 off, v20, off offset:460 ; 4-byte Folded Spill
	v_and_b32_e32 v20, 0xffff, v23
	s_clause 0x1
	scratch_store_b32 off, v94, off offset:456
	scratch_store_b32 off, v16, off offset:464
	v_and_b32_e32 v16, 0xffff, v17
	v_and_b32_e32 v95, 0xffff, v21
	scratch_store_b32 off, v20, off offset:452 ; 4-byte Folded Spill
	v_lshrrev_b32_e32 v112, 16, v17
	v_lshrrev_b32_e32 v111, 16, v18
	scratch_store_b32 off, v16, off offset:508 ; 4-byte Folded Spill
	v_and_b32_e32 v16, 0xffff, v18
	v_lshrrev_b32_e32 v110, 16, v19
	v_mul_u32_u24_e32 v97, 0x10001, v97
	v_mul_u32_u24_e32 v92, 0x10001, v92
	scratch_store_b32 off, v16, off offset:532 ; 4-byte Folded Spill
	v_and_b32_e32 v16, 0xffff, v19
	scratch_store_b32 off, v16, off offset:536 ; 4-byte Folded Spill
	ds_load_b128 v[16:19], v93 offset:32
	ds_load_b128 v[20:23], v93 offset:48
	s_wait_dscnt 0x1
	v_lshrrev_b32_e32 v100, 16, v16
	v_and_b32_e32 v101, 0xffff, v16
	s_wait_dscnt 0x0
	v_lshrrev_b32_e32 v16, 16, v20
	v_lshrrev_b32_e32 v94, 16, v19
	;; [unrolled: 1-line block ×4, first 2 shown]
	v_and_b32_e32 v98, 0xffff, v17
	scratch_store_b32 off, v16, off offset:544 ; 4-byte Folded Spill
	v_lshrrev_b32_e32 v16, 16, v21
	v_and_b32_e32 v17, 0xffff, v19
	v_and_b32_e32 v21, 0xffff, v21
	v_mul_u32_u24_e32 v96, 0x10001, v96
	v_mul_u32_u24_e32 v93, 0x10001, v93
	scratch_store_b32 off, v16, off offset:528 ; 4-byte Folded Spill
	v_lshrrev_b32_e32 v16, 16, v22
	v_and_b32_e32 v22, 0xffff, v22
	scratch_store_b32 off, v16, off offset:524 ; 4-byte Folded Spill
	v_lshrrev_b32_e32 v16, 16, v23
	scratch_store_b32 off, v94, off offset:540 ; 4-byte Folded Spill
	v_and_b32_e32 v94, 0xffff, v18
	v_add_co_u32 v18, vcc_lo, v115, s6
	s_wait_alu 0xfffd
	v_add_co_ci_u32_e64 v19, null, 0, v116, vcc_lo
	scratch_store_b32 off, v16, off offset:520 ; 4-byte Folded Spill
	v_and_b32_e32 v16, 0xffff, v20
	v_and_b32_e32 v20, 0xffff, v23
	global_load_b32 v23, v[18:19], off
	v_add_co_u32 v18, vcc_lo, v119, s6
	s_wait_alu 0xfffd
	v_add_co_ci_u32_e64 v19, null, 0, v120, vcc_lo
	v_mul_u32_u24_e32 v94, 0x10001, v94
	global_load_b32 v102, v[18:19], off
	v_add_co_u32 v18, vcc_lo, v90, s6
	s_wait_alu 0xfffd
	v_add_co_ci_u32_e64 v19, null, 0, v114, vcc_lo
	global_load_u16 v103, v[18:19], off
	v_add_co_u32 v18, vcc_lo, v117, s6
	s_wait_alu 0xfffd
	v_add_co_ci_u32_e64 v19, null, 0, v118, vcc_lo
	global_load_u16 v18, v[18:19], off
	v_sub_f32_e32 v19, v124, v56
	v_mul_u32_u24_e32 v98, 0x10001, v98
	s_delay_alu instid0(VALU_DEP_2) | instskip(SKIP_1) | instid1(VALU_DEP_2)
	v_mul_f32_e32 v104, 0x3fb8aa3b, v19
	v_cmp_ngt_f32_e32 vcc_lo, 0xc2ce8ed0, v19
	v_fma_f32 v105, 0x3fb8aa3b, v19, -v104
	v_rndne_f32_e32 v106, v104
	s_delay_alu instid0(VALU_DEP_1) | instskip(NEXT) | instid1(VALU_DEP_1)
	v_dual_fmac_f32 v105, 0x32a5705f, v19 :: v_dual_sub_f32 v104, v104, v106
	v_add_f32_e32 v104, v104, v105
	v_cvt_i32_f32_e32 v105, v106
	v_mul_u32_u24_e32 v99, 0x10001, v99
	s_delay_alu instid0(VALU_DEP_3) | instskip(NEXT) | instid1(TRANS32_DEP_1)
	v_exp_f32_e32 v104, v104
	v_ldexp_f32 v104, v104, v105
	s_wait_alu 0xfffd
	s_delay_alu instid0(VALU_DEP_1) | instskip(SKIP_3) | instid1(VALU_DEP_3)
	v_cndmask_b32_e32 v104, 0, v104, vcc_lo
	v_cmp_nlt_f32_e32 vcc_lo, 0x42b17218, v19
	v_mul_u32_u24_e32 v95, 0x10001, v95
	s_wait_alu 0xfffd
	v_cndmask_b32_e32 v19, 0x7f800000, v104, vcc_lo
	s_delay_alu instid0(VALU_DEP_1)
	v_fma_f32 v11, v11, v19, v91
	scratch_store_b32 off, v56, off offset:488 ; 4-byte Folded Spill
	v_cvt_f16_f32_e32 v19, v19
	scratch_store_b32 off, v11, off offset:472 ; 4-byte Folded Spill
	scratch_load_b32 v11, off, off offset:392 th:TH_LOAD_LU ; 4-byte Folded Reload
	v_and_b32_e32 v19, 0xffff, v19
	s_delay_alu instid0(VALU_DEP_1) | instskip(NEXT) | instid1(VALU_DEP_1)
	v_mul_u32_u24_e32 v19, 0x10001, v19
	v_pk_mul_f16 v91, v67, v19
	v_pk_mul_f16 v104, v154, v19
	;; [unrolled: 1-line block ×3, first 2 shown]
	v_dual_mov_b32 v67, v132 :: v_dual_mov_b32 v154, v153
	v_mul_u32_u24_e32 v17, 0x10001, v17
	v_mul_u32_u24_e32 v16, 0x10001, v16
	v_mov_b32_e32 v132, v14
	s_wait_loadcnt 0x4
	v_ashrrev_i32_e32 v23, v89, v23
	s_delay_alu instid0(VALU_DEP_1) | instskip(SKIP_2) | instid1(VALU_DEP_2)
	v_and_b32_e32 v23, 0xf0f0f0f, v23
	s_wait_loadcnt 0x3
	v_ashrrev_i32_e32 v102, v89, v102
	v_lshlrev_b16 v106, 8, v23
	v_and_b32_e32 v107, 0xf00, v23
	v_lshrrev_b32_e32 v23, 16, v23
	s_delay_alu instid0(VALU_DEP_4) | instskip(NEXT) | instid1(VALU_DEP_4)
	v_and_b32_e32 v102, 0xf0f0f0f, v102
	v_add_nc_u16 v106, 0xf800, v106
	s_wait_loadcnt 0x2
	v_mul_u32_u24_e32 v103, 0x10001, v103
	s_delay_alu instid0(VALU_DEP_3) | instskip(NEXT) | instid1(VALU_DEP_3)
	v_and_b32_e32 v108, 0xf00, v102
	v_lshrrev_b16 v106, 8, v106
	s_wait_loadcnt 0x1
	v_mul_u32_u24_e32 v18, 0x10001, v18
	s_delay_alu instid0(VALU_DEP_2) | instskip(SKIP_2) | instid1(VALU_DEP_3)
	v_or_b32_e32 v106, v107, v106
	v_lshlrev_b16 v107, 8, v102
	v_lshrrev_b32_e32 v102, 16, v102
	v_add_nc_u16 v106, 0xf800, v106
	s_delay_alu instid0(VALU_DEP_3) | instskip(NEXT) | instid1(VALU_DEP_1)
	v_add_nc_u16 v107, 0xf800, v107
	v_lshrrev_b16 v107, 8, v107
	s_delay_alu instid0(VALU_DEP_1) | instskip(SKIP_2) | instid1(VALU_DEP_3)
	v_or_b32_e32 v107, v108, v107
	v_lshlrev_b16 v108, 8, v23
	v_and_b32_e32 v23, 0xf00, v23
	v_add_nc_u16 v107, 0xf800, v107
	s_delay_alu instid0(VALU_DEP_3) | instskip(NEXT) | instid1(VALU_DEP_1)
	v_add_nc_u16 v108, 0xf800, v108
	v_lshrrev_b16 v108, 8, v108
	s_delay_alu instid0(VALU_DEP_1) | instskip(SKIP_2) | instid1(VALU_DEP_3)
	v_or_b32_e32 v23, v23, v108
	v_lshlrev_b16 v108, 8, v102
	v_and_b32_e32 v102, 0xf00, v102
	v_add_nc_u16 v23, 0xf800, v23
	s_delay_alu instid0(VALU_DEP_3) | instskip(NEXT) | instid1(VALU_DEP_1)
	v_add_nc_u16 v108, 0xf800, v108
	v_lshrrev_b16 v108, 8, v108
	s_delay_alu instid0(VALU_DEP_1) | instskip(SKIP_2) | instid1(VALU_DEP_3)
	v_or_b32_e32 v102, v102, v108
	v_lshrrev_b32_e32 v108, 8, v106
	v_bfe_i32 v106, v106, 0, 8
	v_add_nc_u16 v102, 0xf800, v102
	s_delay_alu instid0(VALU_DEP_3) | instskip(NEXT) | instid1(VALU_DEP_3)
	v_bfe_i32 v108, v108, 0, 8
	v_cvt_f16_i16_e32 v106, v106
	s_wait_loadcnt 0x0
	v_pk_mul_f16 v19, v11, v19
	s_delay_alu instid0(VALU_DEP_3) | instskip(NEXT) | instid1(VALU_DEP_1)
	v_cvt_f16_i16_e32 v108, v108
	v_pack_b32_f16 v106, v106, v108
	v_lshrrev_b32_e32 v108, 8, v107
	v_bfe_i32 v107, v107, 0, 8
	s_delay_alu instid0(VALU_DEP_3) | instskip(NEXT) | instid1(VALU_DEP_3)
	v_pk_mul_f16 v106, v106, v103
	v_bfe_i32 v108, v108, 0, 8
	s_delay_alu instid0(VALU_DEP_3) | instskip(NEXT) | instid1(VALU_DEP_3)
	v_cvt_f16_i16_e32 v107, v107
	v_pk_fma_f16 v91, v106, v99, v91
	s_delay_alu instid0(VALU_DEP_3) | instskip(NEXT) | instid1(VALU_DEP_1)
	v_cvt_f16_i16_e32 v108, v108
	v_pack_b32_f16 v107, v107, v108
	v_lshrrev_b32_e32 v108, 8, v23
	v_bfe_i32 v23, v23, 0, 8
	s_delay_alu instid0(VALU_DEP_2) | instskip(NEXT) | instid1(VALU_DEP_2)
	v_bfe_i32 v108, v108, 0, 8
	v_cvt_f16_i16_e32 v23, v23
	s_delay_alu instid0(VALU_DEP_2) | instskip(NEXT) | instid1(VALU_DEP_1)
	v_cvt_f16_i16_e32 v108, v108
	v_pack_b32_f16 v23, v23, v108
	v_lshrrev_b32_e32 v108, 8, v102
	v_bfe_i32 v102, v102, 0, 8
	s_delay_alu instid0(VALU_DEP_3) | instskip(NEXT) | instid1(VALU_DEP_3)
	v_pk_mul_f16 v23, v23, v103
	v_bfe_i32 v108, v108, 0, 8
	s_delay_alu instid0(VALU_DEP_3) | instskip(SKIP_1) | instid1(VALU_DEP_4)
	v_cvt_f16_i16_e32 v102, v102
	v_pk_mul_f16 v103, v107, v18
	v_pk_fma_f16 v23, v23, v99, v104
	s_delay_alu instid0(VALU_DEP_4) | instskip(NEXT) | instid1(VALU_DEP_1)
	v_cvt_f16_i16_e32 v108, v108
	v_pack_b32_f16 v102, v102, v108
	s_delay_alu instid0(VALU_DEP_1) | instskip(SKIP_1) | instid1(VALU_DEP_2)
	v_pk_mul_f16 v18, v102, v18
	v_pk_fma_f16 v102, v103, v99, v105
	v_pk_fma_f16 v99, v18, v99, v19
	v_add_co_u32 v18, vcc_lo, v13, s6
	s_wait_alu 0xfffd
	v_add_co_ci_u32_e64 v19, null, 0, v15, vcc_lo
	global_load_b32 v103, v[18:19], off
	s_clause 0x1
	scratch_load_b32 v122, off, off offset:212
	scratch_load_b32 v124, off, off offset:216
	s_wait_loadcnt 0x1
	v_add_co_u32 v18, vcc_lo, v122, s6
	s_wait_loadcnt 0x0
	s_wait_alu 0xfffd
	v_add_co_ci_u32_e64 v19, null, 0, v124, vcc_lo
	global_load_b32 v104, v[18:19], off
	s_clause 0x2
	scratch_load_b32 v108, off, off offset:360 th:TH_LOAD_LU
	scratch_load_b32 v123, off, off offset:208
	scratch_load_b32 v126, off, off offset:224
	s_wait_loadcnt 0x3
	v_ashrrev_i32_e32 v104, v89, v104
	s_wait_loadcnt 0x2
	v_add_co_u32 v18, vcc_lo, v108, s6
	s_wait_alu 0xfffd
	v_add_co_ci_u32_e64 v19, null, 0, v109, vcc_lo
	v_and_b32_e32 v104, 0xf0f0f0f, v104
	global_load_u16 v105, v[18:19], off
	v_add_co_u32 v18, vcc_lo, v62, s6
	s_wait_loadcnt 0x2
	s_wait_alu 0xfffd
	v_add_co_ci_u32_e64 v19, null, 0, v123, vcc_lo
	v_and_b32_e32 v107, 0xf00, v104
	global_load_u16 v18, v[18:19], off
	v_ashrrev_i32_e32 v19, v89, v103
	s_delay_alu instid0(VALU_DEP_1) | instskip(NEXT) | instid1(VALU_DEP_1)
	v_and_b32_e32 v19, 0xf0f0f0f, v19
	v_lshlrev_b16 v103, 8, v19
	v_and_b32_e32 v106, 0xf00, v19
	v_lshrrev_b32_e32 v19, 16, v19
	s_delay_alu instid0(VALU_DEP_3) | instskip(NEXT) | instid1(VALU_DEP_1)
	v_add_nc_u16 v103, 0xf800, v103
	v_lshrrev_b16 v103, 8, v103
	s_delay_alu instid0(VALU_DEP_1) | instskip(SKIP_2) | instid1(VALU_DEP_3)
	v_or_b32_e32 v103, v106, v103
	v_lshlrev_b16 v106, 8, v104
	v_lshrrev_b32_e32 v104, 16, v104
	v_add_nc_u16 v103, 0xf800, v103
	s_delay_alu instid0(VALU_DEP_3) | instskip(NEXT) | instid1(VALU_DEP_1)
	v_add_nc_u16 v106, 0xf800, v106
	v_lshrrev_b16 v106, 8, v106
	s_delay_alu instid0(VALU_DEP_1) | instskip(SKIP_2) | instid1(VALU_DEP_3)
	v_or_b32_e32 v106, v107, v106
	v_lshlrev_b16 v107, 8, v19
	v_and_b32_e32 v19, 0xf00, v19
	v_add_nc_u16 v106, 0xf800, v106
	s_delay_alu instid0(VALU_DEP_3) | instskip(NEXT) | instid1(VALU_DEP_1)
	v_add_nc_u16 v107, 0xf800, v107
	v_lshrrev_b16 v107, 8, v107
	s_delay_alu instid0(VALU_DEP_1) | instskip(SKIP_2) | instid1(VALU_DEP_3)
	v_or_b32_e32 v19, v19, v107
	v_lshlrev_b16 v107, 8, v104
	v_and_b32_e32 v104, 0xf00, v104
	v_add_nc_u16 v19, 0xf800, v19
	s_delay_alu instid0(VALU_DEP_3) | instskip(NEXT) | instid1(VALU_DEP_1)
	v_add_nc_u16 v107, 0xf800, v107
	v_lshrrev_b16 v107, 8, v107
	s_delay_alu instid0(VALU_DEP_1) | instskip(SKIP_2) | instid1(VALU_DEP_3)
	v_or_b32_e32 v104, v104, v107
	v_lshrrev_b32_e32 v107, 8, v103
	v_bfe_i32 v103, v103, 0, 8
	v_add_nc_u16 v104, 0xf800, v104
	s_delay_alu instid0(VALU_DEP_3) | instskip(NEXT) | instid1(VALU_DEP_3)
	v_bfe_i32 v107, v107, 0, 8
	v_cvt_f16_i16_e32 v103, v103
	s_delay_alu instid0(VALU_DEP_2) | instskip(NEXT) | instid1(VALU_DEP_1)
	v_cvt_f16_i16_e32 v107, v107
	v_pack_b32_f16 v103, v103, v107
	v_lshrrev_b32_e32 v107, 8, v106
	v_bfe_i32 v106, v106, 0, 8
	s_delay_alu instid0(VALU_DEP_2) | instskip(NEXT) | instid1(VALU_DEP_2)
	v_bfe_i32 v107, v107, 0, 8
	v_cvt_f16_i16_e32 v106, v106
	s_delay_alu instid0(VALU_DEP_2) | instskip(NEXT) | instid1(VALU_DEP_1)
	v_cvt_f16_i16_e32 v107, v107
	v_pack_b32_f16 v106, v106, v107
	v_lshrrev_b32_e32 v107, 8, v19
	v_bfe_i32 v19, v19, 0, 8
	s_delay_alu instid0(VALU_DEP_2) | instskip(NEXT) | instid1(VALU_DEP_2)
	;; [unrolled: 8-line block ×3, first 2 shown]
	v_bfe_i32 v107, v107, 0, 8
	v_cvt_f16_i16_e32 v104, v104
	s_delay_alu instid0(VALU_DEP_2) | instskip(NEXT) | instid1(VALU_DEP_1)
	v_cvt_f16_i16_e32 v107, v107
	v_pack_b32_f16 v104, v104, v107
	s_wait_loadcnt 0x1
	v_mul_u32_u24_e32 v105, 0x10001, v105
	s_delay_alu instid0(VALU_DEP_1) | instskip(SKIP_3) | instid1(VALU_DEP_3)
	v_pk_mul_f16 v103, v103, v105
	v_pk_mul_f16 v19, v19, v105
	s_wait_loadcnt 0x0
	v_mul_u32_u24_e32 v18, 0x10001, v18
	v_pk_fma_f16 v91, v103, v97, v91
	s_delay_alu instid0(VALU_DEP_3) | instskip(NEXT) | instid1(VALU_DEP_3)
	v_pk_fma_f16 v23, v19, v97, v23
	v_pk_mul_f16 v105, v106, v18
	v_pk_mul_f16 v18, v104, v18
	s_delay_alu instid0(VALU_DEP_2) | instskip(NEXT) | instid1(VALU_DEP_2)
	v_pk_fma_f16 v102, v105, v97, v102
	v_pk_fma_f16 v97, v18, v97, v99
	v_add_co_u32 v18, vcc_lo, v125, s6
	s_wait_alu 0xfffd
	v_add_co_ci_u32_e64 v19, null, 0, v126, vcc_lo
	global_load_b32 v99, v[18:19], off
	v_add_co_u32 v18, vcc_lo, v127, s6
	s_wait_alu 0xfffd
	v_add_co_ci_u32_e64 v19, null, 0, v128, vcc_lo
	global_load_b32 v103, v[18:19], off
	scratch_load_b32 v107, off, off offset:388 th:TH_LOAD_LU ; 4-byte Folded Reload
	s_clause 0x2
	scratch_store_b32 off, v125, off offset:392
	scratch_store_b32 off, v127, off offset:396
	scratch_store_b32 off, v128, off offset:400
	s_clause 0x2
	scratch_load_b32 v125, off, off offset:220
	scratch_load_b32 v127, off, off offset:228
	;; [unrolled: 1-line block ×3, first 2 shown]
	s_wait_loadcnt 0x4
	v_ashrrev_i32_e32 v103, v89, v103
	s_wait_loadcnt 0x3
	v_add_co_u32 v18, vcc_lo, v107, s6
	s_wait_loadcnt 0x2
	s_wait_alu 0xfffd
	v_add_co_ci_u32_e64 v19, null, 0, v125, vcc_lo
	v_and_b32_e32 v103, 0xf0f0f0f, v103
	global_load_u16 v104, v[18:19], off
	s_wait_loadcnt 0x2
	v_add_co_u32 v18, vcc_lo, v127, s6
	s_wait_loadcnt 0x1
	s_wait_alu 0xfffd
	v_add_co_ci_u32_e64 v19, null, 0, v128, vcc_lo
	v_and_b32_e32 v106, 0xf00, v103
	global_load_u16 v18, v[18:19], off
	v_ashrrev_i32_e32 v19, v89, v99
	s_delay_alu instid0(VALU_DEP_1) | instskip(NEXT) | instid1(VALU_DEP_1)
	v_and_b32_e32 v19, 0xf0f0f0f, v19
	v_lshlrev_b16 v99, 8, v19
	v_and_b32_e32 v105, 0xf00, v19
	v_lshrrev_b32_e32 v19, 16, v19
	s_delay_alu instid0(VALU_DEP_3) | instskip(NEXT) | instid1(VALU_DEP_1)
	v_add_nc_u16 v99, 0xf800, v99
	v_lshrrev_b16 v99, 8, v99
	s_delay_alu instid0(VALU_DEP_1) | instskip(SKIP_2) | instid1(VALU_DEP_3)
	v_or_b32_e32 v99, v105, v99
	v_lshlrev_b16 v105, 8, v103
	v_lshrrev_b32_e32 v103, 16, v103
	v_add_nc_u16 v99, 0xf800, v99
	s_delay_alu instid0(VALU_DEP_3) | instskip(NEXT) | instid1(VALU_DEP_1)
	v_add_nc_u16 v105, 0xf800, v105
	v_lshrrev_b16 v105, 8, v105
	s_delay_alu instid0(VALU_DEP_1) | instskip(SKIP_2) | instid1(VALU_DEP_3)
	v_or_b32_e32 v105, v106, v105
	v_lshlrev_b16 v106, 8, v19
	v_and_b32_e32 v19, 0xf00, v19
	v_add_nc_u16 v105, 0xf800, v105
	s_delay_alu instid0(VALU_DEP_3) | instskip(NEXT) | instid1(VALU_DEP_1)
	v_add_nc_u16 v106, 0xf800, v106
	v_lshrrev_b16 v106, 8, v106
	s_delay_alu instid0(VALU_DEP_1) | instskip(SKIP_2) | instid1(VALU_DEP_3)
	v_or_b32_e32 v19, v19, v106
	v_lshlrev_b16 v106, 8, v103
	v_and_b32_e32 v103, 0xf00, v103
	v_add_nc_u16 v19, 0xf800, v19
	s_delay_alu instid0(VALU_DEP_3) | instskip(NEXT) | instid1(VALU_DEP_1)
	v_add_nc_u16 v106, 0xf800, v106
	v_lshrrev_b16 v106, 8, v106
	s_delay_alu instid0(VALU_DEP_1) | instskip(SKIP_2) | instid1(VALU_DEP_3)
	v_or_b32_e32 v103, v103, v106
	v_lshrrev_b32_e32 v106, 8, v99
	v_bfe_i32 v99, v99, 0, 8
	v_add_nc_u16 v103, 0xf800, v103
	s_delay_alu instid0(VALU_DEP_3) | instskip(NEXT) | instid1(VALU_DEP_3)
	v_bfe_i32 v106, v106, 0, 8
	v_cvt_f16_i16_e32 v99, v99
	s_delay_alu instid0(VALU_DEP_2) | instskip(NEXT) | instid1(VALU_DEP_1)
	v_cvt_f16_i16_e32 v106, v106
	v_pack_b32_f16 v99, v99, v106
	v_lshrrev_b32_e32 v106, 8, v105
	v_bfe_i32 v105, v105, 0, 8
	s_delay_alu instid0(VALU_DEP_2) | instskip(NEXT) | instid1(VALU_DEP_2)
	v_bfe_i32 v106, v106, 0, 8
	v_cvt_f16_i16_e32 v105, v105
	s_delay_alu instid0(VALU_DEP_2) | instskip(NEXT) | instid1(VALU_DEP_1)
	v_cvt_f16_i16_e32 v106, v106
	v_pack_b32_f16 v105, v105, v106
	v_lshrrev_b32_e32 v106, 8, v19
	v_bfe_i32 v19, v19, 0, 8
	s_delay_alu instid0(VALU_DEP_2) | instskip(NEXT) | instid1(VALU_DEP_2)
	;; [unrolled: 8-line block ×3, first 2 shown]
	v_bfe_i32 v106, v106, 0, 8
	v_cvt_f16_i16_e32 v103, v103
	s_delay_alu instid0(VALU_DEP_2) | instskip(NEXT) | instid1(VALU_DEP_1)
	v_cvt_f16_i16_e32 v106, v106
	v_pack_b32_f16 v103, v103, v106
	s_wait_loadcnt 0x1
	v_mul_u32_u24_e32 v104, 0x10001, v104
	s_delay_alu instid0(VALU_DEP_1) | instskip(SKIP_3) | instid1(VALU_DEP_3)
	v_pk_mul_f16 v99, v99, v104
	v_pk_mul_f16 v19, v19, v104
	s_wait_loadcnt 0x0
	v_mul_u32_u24_e32 v18, 0x10001, v18
	v_pk_fma_f16 v91, v99, v95, v91
	s_delay_alu instid0(VALU_DEP_3) | instskip(NEXT) | instid1(VALU_DEP_3)
	v_pk_fma_f16 v23, v19, v95, v23
	v_pk_mul_f16 v104, v105, v18
	v_pk_mul_f16 v18, v103, v18
	s_delay_alu instid0(VALU_DEP_2) | instskip(NEXT) | instid1(VALU_DEP_2)
	v_pk_fma_f16 v99, v104, v95, v102
	v_pk_fma_f16 v95, v18, v95, v97
	v_add_co_u32 v18, vcc_lo, v147, s6
	s_wait_alu 0xfffd
	v_add_co_ci_u32_e64 v19, null, 0, v150, vcc_lo
	global_load_b32 v97, v[18:19], off
	scratch_load_b32 v57, off, off offset:476 th:TH_LOAD_LU ; 4-byte Folded Reload
	s_clause 0x1
	scratch_store_b32 off, v147, off offset:480
	scratch_store_b32 off, v150, off offset:484
	v_dual_mov_b32 v147, v146 :: v_dual_mov_b32 v150, v148
	scratch_load_b32 v11, off, off offset:460 th:TH_LOAD_LU ; 4-byte Folded Reload
	v_mul_u32_u24_e32 v21, 0x10001, v21
	v_mul_u32_u24_e32 v22, 0x10001, v22
	scratch_store_b32 off, v145, off offset:460 ; 4-byte Folded Spill
	s_wait_loadcnt 0x1
	v_add_co_u32 v18, vcc_lo, v57, s6
	s_wait_alu 0xfffd
	v_add_co_ci_u32_e64 v19, null, 0, v67, vcc_lo
	global_load_b32 v102, v[18:19], off
	v_add_co_u32 v18, vcc_lo, v152, s6
	s_wait_alu 0xfffd
	v_add_co_ci_u32_e64 v19, null, 0, v154, vcc_lo
	global_load_u16 v103, v[18:19], off
	v_add_co_u32 v18, vcc_lo, v147, s6
	s_wait_alu 0xfffd
	v_add_co_ci_u32_e64 v19, null, 0, v150, vcc_lo
	global_load_u16 v18, v[18:19], off
	v_ashrrev_i32_e32 v19, v89, v97
	s_delay_alu instid0(VALU_DEP_1) | instskip(NEXT) | instid1(VALU_DEP_1)
	v_and_b32_e32 v19, 0xf0f0f0f, v19
	v_lshlrev_b16 v97, 8, v19
	v_and_b32_e32 v104, 0xf00, v19
	v_lshrrev_b32_e32 v19, 16, v19
	s_delay_alu instid0(VALU_DEP_3) | instskip(NEXT) | instid1(VALU_DEP_1)
	v_add_nc_u16 v97, 0xf800, v97
	v_lshrrev_b16 v97, 8, v97
	s_delay_alu instid0(VALU_DEP_1) | instskip(NEXT) | instid1(VALU_DEP_1)
	v_or_b32_e32 v97, v104, v97
	v_add_nc_u16 v97, 0xf800, v97
	s_wait_loadcnt 0x2
	v_ashrrev_i32_e32 v102, v89, v102
	s_delay_alu instid0(VALU_DEP_1) | instskip(SKIP_2) | instid1(VALU_DEP_2)
	v_and_b32_e32 v102, 0xf0f0f0f, v102
	s_wait_loadcnt 0x1
	v_mul_u32_u24_e32 v103, 0x10001, v103
	v_lshlrev_b16 v104, 8, v102
	v_and_b32_e32 v105, 0xf00, v102
	v_lshrrev_b32_e32 v102, 16, v102
	s_delay_alu instid0(VALU_DEP_3) | instskip(SKIP_2) | instid1(VALU_DEP_2)
	v_add_nc_u16 v104, 0xf800, v104
	s_wait_loadcnt 0x0
	v_mul_u32_u24_e32 v18, 0x10001, v18
	v_lshrrev_b16 v104, 8, v104
	s_delay_alu instid0(VALU_DEP_1) | instskip(SKIP_2) | instid1(VALU_DEP_2)
	v_or_b32_e32 v104, v105, v104
	v_lshlrev_b16 v105, 8, v19
	v_and_b32_e32 v19, 0xf00, v19
	v_add_nc_u16 v105, 0xf800, v105
	s_delay_alu instid0(VALU_DEP_1) | instskip(NEXT) | instid1(VALU_DEP_1)
	v_lshrrev_b16 v105, 8, v105
	v_or_b32_e32 v19, v19, v105
	v_lshrrev_b32_e32 v105, 8, v97
	v_bfe_i32 v97, v97, 0, 8
	s_delay_alu instid0(VALU_DEP_3) | instskip(NEXT) | instid1(VALU_DEP_3)
	v_add_nc_u16 v19, 0xf800, v19
	v_bfe_i32 v105, v105, 0, 8
	s_delay_alu instid0(VALU_DEP_3) | instskip(NEXT) | instid1(VALU_DEP_2)
	v_cvt_f16_i16_e32 v97, v97
	v_cvt_f16_i16_e32 v105, v105
	s_delay_alu instid0(VALU_DEP_1) | instskip(SKIP_2) | instid1(VALU_DEP_3)
	v_pack_b32_f16 v97, v97, v105
	v_lshrrev_b32_e32 v105, 8, v19
	v_bfe_i32 v19, v19, 0, 8
	v_pk_mul_f16 v97, v97, v103
	s_delay_alu instid0(VALU_DEP_3) | instskip(NEXT) | instid1(VALU_DEP_3)
	v_bfe_i32 v105, v105, 0, 8
	v_cvt_f16_i16_e32 v19, v19
	s_delay_alu instid0(VALU_DEP_3) | instskip(NEXT) | instid1(VALU_DEP_3)
	v_pk_fma_f16 v91, v97, v92, v91
	v_cvt_f16_i16_e32 v105, v105
	s_delay_alu instid0(VALU_DEP_1) | instskip(NEXT) | instid1(VALU_DEP_1)
	v_pack_b32_f16 v19, v19, v105
	v_pk_mul_f16 v19, v19, v103
	v_lshlrev_b16 v103, 8, v102
	v_and_b32_e32 v102, 0xf00, v102
	s_delay_alu instid0(VALU_DEP_3) | instskip(NEXT) | instid1(VALU_DEP_3)
	v_pk_fma_f16 v23, v19, v92, v23
	v_add_nc_u16 v103, 0xf800, v103
	s_delay_alu instid0(VALU_DEP_1) | instskip(NEXT) | instid1(VALU_DEP_1)
	v_lshrrev_b16 v103, 8, v103
	v_or_b32_e32 v102, v102, v103
	v_add_nc_u16 v103, 0xf800, v104
	s_delay_alu instid0(VALU_DEP_2) | instskip(NEXT) | instid1(VALU_DEP_2)
	v_add_nc_u16 v102, 0xf800, v102
	v_lshrrev_b32_e32 v104, 8, v103
	v_bfe_i32 v103, v103, 0, 8
	s_delay_alu instid0(VALU_DEP_2) | instskip(NEXT) | instid1(VALU_DEP_2)
	v_bfe_i32 v104, v104, 0, 8
	v_cvt_f16_i16_e32 v103, v103
	s_delay_alu instid0(VALU_DEP_2) | instskip(NEXT) | instid1(VALU_DEP_1)
	v_cvt_f16_i16_e32 v104, v104
	v_pack_b32_f16 v103, v103, v104
	v_lshrrev_b32_e32 v104, 8, v102
	v_bfe_i32 v102, v102, 0, 8
	s_delay_alu instid0(VALU_DEP_3) | instskip(NEXT) | instid1(VALU_DEP_3)
	v_pk_mul_f16 v103, v103, v18
	v_bfe_i32 v104, v104, 0, 8
	s_delay_alu instid0(VALU_DEP_3) | instskip(NEXT) | instid1(VALU_DEP_3)
	v_cvt_f16_i16_e32 v102, v102
	v_pk_fma_f16 v97, v103, v92, v99
	s_delay_alu instid0(VALU_DEP_3) | instskip(NEXT) | instid1(VALU_DEP_1)
	v_cvt_f16_i16_e32 v104, v104
	v_pack_b32_f16 v102, v102, v104
	s_delay_alu instid0(VALU_DEP_1) | instskip(NEXT) | instid1(VALU_DEP_1)
	v_pk_mul_f16 v18, v102, v18
	v_pk_fma_f16 v92, v18, v92, v95
	v_add_co_u32 v18, vcc_lo, v85, s6
	s_wait_alu 0xfffd
	v_add_co_ci_u32_e64 v19, null, 0, v86, vcc_lo
	global_load_b32 v95, v[18:19], off
	v_add_co_u32 v18, vcc_lo, v87, s6
	s_wait_alu 0xfffd
	v_add_co_ci_u32_e64 v19, null, 0, v88, vcc_lo
	global_load_u16 v99, v[18:19], off
	v_add_co_u32 v18, vcc_lo, v81, s6
	s_wait_alu 0xfffd
	v_add_co_ci_u32_e64 v19, null, 0, v82, vcc_lo
	global_load_b32 v102, v[18:19], off
	v_add_co_u32 v18, vcc_lo, v83, s6
	s_wait_alu 0xfffd
	v_add_co_ci_u32_e64 v19, null, 0, v84, vcc_lo
	global_load_u16 v18, v[18:19], off
	s_wait_loadcnt 0x3
	v_ashrrev_i32_e32 v19, v89, v95
	s_delay_alu instid0(VALU_DEP_1) | instskip(SKIP_2) | instid1(VALU_DEP_2)
	v_and_b32_e32 v19, 0xf0f0f0f, v19
	s_wait_loadcnt 0x2
	v_mul_u32_u24_e32 v99, 0x10001, v99
	v_lshlrev_b16 v95, 8, v19
	v_and_b32_e32 v103, 0xf00, v19
	v_lshrrev_b32_e32 v19, 16, v19
	s_delay_alu instid0(VALU_DEP_3) | instskip(NEXT) | instid1(VALU_DEP_1)
	v_add_nc_u16 v95, 0xf800, v95
	v_lshrrev_b16 v95, 8, v95
	s_wait_loadcnt 0x0
	v_mul_u32_u24_e32 v18, 0x10001, v18
	s_delay_alu instid0(VALU_DEP_2) | instskip(SKIP_2) | instid1(VALU_DEP_3)
	v_or_b32_e32 v95, v103, v95
	v_lshlrev_b16 v103, 8, v19
	v_and_b32_e32 v19, 0xf00, v19
	v_add_nc_u16 v95, 0xf800, v95
	s_delay_alu instid0(VALU_DEP_3) | instskip(NEXT) | instid1(VALU_DEP_1)
	v_add_nc_u16 v103, 0xf800, v103
	v_lshrrev_b16 v103, 8, v103
	s_delay_alu instid0(VALU_DEP_1) | instskip(NEXT) | instid1(VALU_DEP_4)
	v_or_b32_e32 v19, v19, v103
	v_lshrrev_b32_e32 v103, 8, v95
	v_bfe_i32 v95, v95, 0, 8
	s_delay_alu instid0(VALU_DEP_3) | instskip(NEXT) | instid1(VALU_DEP_3)
	v_add_nc_u16 v19, 0xf800, v19
	v_bfe_i32 v103, v103, 0, 8
	s_delay_alu instid0(VALU_DEP_3) | instskip(NEXT) | instid1(VALU_DEP_2)
	v_cvt_f16_i16_e32 v95, v95
	v_cvt_f16_i16_e32 v103, v103
	s_delay_alu instid0(VALU_DEP_1) | instskip(SKIP_2) | instid1(VALU_DEP_3)
	v_pack_b32_f16 v95, v95, v103
	v_lshrrev_b32_e32 v103, 8, v19
	v_bfe_i32 v19, v19, 0, 8
	v_pk_mul_f16 v95, v95, v99
	s_delay_alu instid0(VALU_DEP_3) | instskip(NEXT) | instid1(VALU_DEP_3)
	v_bfe_i32 v103, v103, 0, 8
	v_cvt_f16_i16_e32 v19, v19
	s_delay_alu instid0(VALU_DEP_2) | instskip(NEXT) | instid1(VALU_DEP_1)
	v_cvt_f16_i16_e32 v103, v103
	v_pack_b32_f16 v19, v19, v103
	s_delay_alu instid0(VALU_DEP_1) | instskip(SKIP_1) | instid1(VALU_DEP_1)
	v_pk_mul_f16 v19, v19, v99
	v_ashrrev_i32_e32 v99, v89, v102
	v_and_b32_e32 v99, 0xf0f0f0f, v99
	s_delay_alu instid0(VALU_DEP_1) | instskip(SKIP_2) | instid1(VALU_DEP_3)
	v_lshlrev_b16 v102, 8, v99
	v_and_b32_e32 v103, 0xf00, v99
	v_lshrrev_b32_e32 v99, 16, v99
	v_add_nc_u16 v102, 0xf800, v102
	s_delay_alu instid0(VALU_DEP_1) | instskip(NEXT) | instid1(VALU_DEP_1)
	v_lshrrev_b16 v102, 8, v102
	v_or_b32_e32 v102, v103, v102
	s_delay_alu instid0(VALU_DEP_4) | instskip(SKIP_1) | instid1(VALU_DEP_3)
	v_lshlrev_b16 v103, 8, v99
	v_and_b32_e32 v99, 0xf00, v99
	v_add_nc_u16 v102, 0xf800, v102
	s_delay_alu instid0(VALU_DEP_3) | instskip(NEXT) | instid1(VALU_DEP_1)
	v_add_nc_u16 v103, 0xf800, v103
	v_lshrrev_b16 v103, 8, v103
	s_delay_alu instid0(VALU_DEP_1) | instskip(NEXT) | instid1(VALU_DEP_4)
	v_or_b32_e32 v99, v99, v103
	v_lshrrev_b32_e32 v103, 8, v102
	v_bfe_i32 v102, v102, 0, 8
	s_delay_alu instid0(VALU_DEP_3) | instskip(NEXT) | instid1(VALU_DEP_3)
	v_add_nc_u16 v99, 0xf800, v99
	v_bfe_i32 v103, v103, 0, 8
	s_delay_alu instid0(VALU_DEP_3) | instskip(NEXT) | instid1(VALU_DEP_2)
	v_cvt_f16_i16_e32 v102, v102
	v_cvt_f16_i16_e32 v103, v103
	s_delay_alu instid0(VALU_DEP_1) | instskip(SKIP_2) | instid1(VALU_DEP_3)
	v_pack_b32_f16 v102, v102, v103
	v_lshrrev_b32_e32 v103, 8, v99
	v_bfe_i32 v99, v99, 0, 8
	v_pk_mul_f16 v102, v102, v18
	s_delay_alu instid0(VALU_DEP_3) | instskip(NEXT) | instid1(VALU_DEP_3)
	v_bfe_i32 v103, v103, 0, 8
	v_cvt_f16_i16_e32 v99, v99
	s_delay_alu instid0(VALU_DEP_2) | instskip(NEXT) | instid1(VALU_DEP_1)
	v_cvt_f16_i16_e32 v103, v103
	v_pack_b32_f16 v99, v99, v103
	s_delay_alu instid0(VALU_DEP_1)
	v_pk_mul_f16 v18, v99, v18
	v_mul_u32_u24_e32 v99, 0x10001, v11
	scratch_load_b32 v11, off, off offset:456 th:TH_LOAD_LU ; 4-byte Folded Reload
	v_pk_fma_f16 v92, v18, v99, v92
	v_add_co_u32 v18, vcc_lo, v156, s6
	v_pk_fma_f16 v23, v19, v99, v23
	s_wait_alu 0xfffd
	v_add_co_ci_u32_e64 v19, null, 0, v78, vcc_lo
	v_pk_fma_f16 v91, v95, v99, v91
	v_pk_fma_f16 v95, v102, v99, v97
	global_load_b32 v97, v[18:19], off
	v_add_co_u32 v18, vcc_lo, v79, s6
	s_wait_alu 0xfffd
	v_add_co_ci_u32_e64 v19, null, 0, v80, vcc_lo
	global_load_u16 v99, v[18:19], off
	v_add_co_u32 v18, vcc_lo, v75, s6
	s_wait_alu 0xfffd
	v_add_co_ci_u32_e64 v19, null, 0, v12, vcc_lo
	global_load_b32 v102, v[18:19], off
	v_add_co_u32 v18, vcc_lo, v76, s6
	s_wait_alu 0xfffd
	v_add_co_ci_u32_e64 v19, null, 0, v77, vcc_lo
	global_load_u16 v18, v[18:19], off
	s_wait_loadcnt 0x3
	v_ashrrev_i32_e32 v19, v89, v97
	s_delay_alu instid0(VALU_DEP_1) | instskip(SKIP_2) | instid1(VALU_DEP_2)
	v_and_b32_e32 v19, 0xf0f0f0f, v19
	s_wait_loadcnt 0x2
	v_mul_u32_u24_e32 v99, 0x10001, v99
	v_lshlrev_b16 v97, 8, v19
	v_and_b32_e32 v103, 0xf00, v19
	v_lshrrev_b32_e32 v19, 16, v19
	s_delay_alu instid0(VALU_DEP_3) | instskip(NEXT) | instid1(VALU_DEP_1)
	v_add_nc_u16 v97, 0xf800, v97
	v_lshrrev_b16 v97, 8, v97
	s_wait_loadcnt 0x0
	v_mul_u32_u24_e32 v18, 0x10001, v18
	s_delay_alu instid0(VALU_DEP_2) | instskip(SKIP_2) | instid1(VALU_DEP_3)
	v_or_b32_e32 v97, v103, v97
	v_lshlrev_b16 v103, 8, v19
	v_and_b32_e32 v19, 0xf00, v19
	v_add_nc_u16 v97, 0xf800, v97
	s_delay_alu instid0(VALU_DEP_3) | instskip(NEXT) | instid1(VALU_DEP_1)
	v_add_nc_u16 v103, 0xf800, v103
	v_lshrrev_b16 v103, 8, v103
	s_delay_alu instid0(VALU_DEP_1) | instskip(NEXT) | instid1(VALU_DEP_4)
	v_or_b32_e32 v19, v19, v103
	v_lshrrev_b32_e32 v103, 8, v97
	v_bfe_i32 v97, v97, 0, 8
	s_delay_alu instid0(VALU_DEP_3) | instskip(NEXT) | instid1(VALU_DEP_3)
	v_add_nc_u16 v19, 0xf800, v19
	v_bfe_i32 v103, v103, 0, 8
	s_delay_alu instid0(VALU_DEP_3) | instskip(NEXT) | instid1(VALU_DEP_2)
	v_cvt_f16_i16_e32 v97, v97
	v_cvt_f16_i16_e32 v103, v103
	s_delay_alu instid0(VALU_DEP_1) | instskip(SKIP_2) | instid1(VALU_DEP_3)
	v_pack_b32_f16 v97, v97, v103
	v_lshrrev_b32_e32 v103, 8, v19
	v_bfe_i32 v19, v19, 0, 8
	v_pk_mul_f16 v97, v97, v99
	s_delay_alu instid0(VALU_DEP_3) | instskip(NEXT) | instid1(VALU_DEP_3)
	v_bfe_i32 v103, v103, 0, 8
	v_cvt_f16_i16_e32 v19, v19
	s_delay_alu instid0(VALU_DEP_2) | instskip(NEXT) | instid1(VALU_DEP_1)
	v_cvt_f16_i16_e32 v103, v103
	v_pack_b32_f16 v19, v19, v103
	s_delay_alu instid0(VALU_DEP_1) | instskip(SKIP_1) | instid1(VALU_DEP_1)
	v_pk_mul_f16 v19, v19, v99
	v_ashrrev_i32_e32 v99, v89, v102
	v_and_b32_e32 v99, 0xf0f0f0f, v99
	s_delay_alu instid0(VALU_DEP_1) | instskip(SKIP_2) | instid1(VALU_DEP_3)
	v_lshlrev_b16 v102, 8, v99
	v_and_b32_e32 v103, 0xf00, v99
	v_lshrrev_b32_e32 v99, 16, v99
	v_add_nc_u16 v102, 0xf800, v102
	s_delay_alu instid0(VALU_DEP_1) | instskip(NEXT) | instid1(VALU_DEP_1)
	v_lshrrev_b16 v102, 8, v102
	v_or_b32_e32 v102, v103, v102
	s_delay_alu instid0(VALU_DEP_4) | instskip(SKIP_1) | instid1(VALU_DEP_3)
	v_lshlrev_b16 v103, 8, v99
	v_and_b32_e32 v99, 0xf00, v99
	v_add_nc_u16 v102, 0xf800, v102
	s_delay_alu instid0(VALU_DEP_3) | instskip(NEXT) | instid1(VALU_DEP_1)
	v_add_nc_u16 v103, 0xf800, v103
	v_lshrrev_b16 v103, 8, v103
	s_delay_alu instid0(VALU_DEP_1) | instskip(NEXT) | instid1(VALU_DEP_4)
	v_or_b32_e32 v99, v99, v103
	v_lshrrev_b32_e32 v103, 8, v102
	v_bfe_i32 v102, v102, 0, 8
	s_delay_alu instid0(VALU_DEP_3) | instskip(NEXT) | instid1(VALU_DEP_3)
	v_add_nc_u16 v99, 0xf800, v99
	v_bfe_i32 v103, v103, 0, 8
	s_delay_alu instid0(VALU_DEP_3) | instskip(NEXT) | instid1(VALU_DEP_2)
	v_cvt_f16_i16_e32 v102, v102
	v_cvt_f16_i16_e32 v103, v103
	s_delay_alu instid0(VALU_DEP_1) | instskip(SKIP_2) | instid1(VALU_DEP_3)
	v_pack_b32_f16 v102, v102, v103
	v_lshrrev_b32_e32 v103, 8, v99
	v_bfe_i32 v99, v99, 0, 8
	v_pk_mul_f16 v102, v102, v18
	s_delay_alu instid0(VALU_DEP_3) | instskip(NEXT) | instid1(VALU_DEP_3)
	v_bfe_i32 v103, v103, 0, 8
	v_cvt_f16_i16_e32 v99, v99
	s_delay_alu instid0(VALU_DEP_2) | instskip(NEXT) | instid1(VALU_DEP_1)
	v_cvt_f16_i16_e32 v103, v103
	v_pack_b32_f16 v99, v99, v103
	s_delay_alu instid0(VALU_DEP_1)
	v_pk_mul_f16 v18, v99, v18
	v_mul_u32_u24_e32 v99, 0x10001, v11
	scratch_load_b32 v11, off, off offset:452 th:TH_LOAD_LU ; 4-byte Folded Reload
	s_clause 0x1
	scratch_store_b32 off, v142, off offset:456
	scratch_store_b32 off, v135, off offset:452
	v_pk_fma_f16 v92, v18, v99, v92
	v_add_co_u32 v18, vcc_lo, v7, s6
	v_pk_fma_f16 v23, v19, v99, v23
	s_wait_alu 0xfffd
	v_add_co_ci_u32_e64 v19, null, 0, v8, vcc_lo
	v_pk_fma_f16 v91, v97, v99, v91
	v_pk_fma_f16 v95, v102, v99, v95
	global_load_b32 v97, v[18:19], off
	v_add_co_u32 v18, vcc_lo, v73, s6
	s_wait_alu 0xfffd
	v_add_co_ci_u32_e64 v19, null, 0, v74, vcc_lo
	global_load_u16 v99, v[18:19], off
	v_add_co_u32 v18, vcc_lo, v3, s6
	s_wait_alu 0xfffd
	v_add_co_ci_u32_e64 v19, null, 0, v4, vcc_lo
	global_load_b32 v102, v[18:19], off
	v_add_co_u32 v18, vcc_lo, v71, s6
	s_wait_alu 0xfffd
	v_add_co_ci_u32_e64 v19, null, 0, v72, vcc_lo
	global_load_u16 v18, v[18:19], off
	s_wait_loadcnt 0x3
	v_ashrrev_i32_e32 v19, v89, v97
	s_delay_alu instid0(VALU_DEP_1) | instskip(SKIP_2) | instid1(VALU_DEP_2)
	v_and_b32_e32 v19, 0xf0f0f0f, v19
	s_wait_loadcnt 0x2
	v_mul_u32_u24_e32 v99, 0x10001, v99
	v_lshlrev_b16 v97, 8, v19
	v_and_b32_e32 v103, 0xf00, v19
	v_lshrrev_b32_e32 v19, 16, v19
	s_delay_alu instid0(VALU_DEP_3) | instskip(NEXT) | instid1(VALU_DEP_1)
	v_add_nc_u16 v97, 0xf800, v97
	v_lshrrev_b16 v97, 8, v97
	s_wait_loadcnt 0x0
	v_mul_u32_u24_e32 v18, 0x10001, v18
	s_delay_alu instid0(VALU_DEP_2) | instskip(SKIP_2) | instid1(VALU_DEP_3)
	v_or_b32_e32 v97, v103, v97
	v_lshlrev_b16 v103, 8, v19
	v_and_b32_e32 v19, 0xf00, v19
	v_add_nc_u16 v97, 0xf800, v97
	s_delay_alu instid0(VALU_DEP_3) | instskip(NEXT) | instid1(VALU_DEP_1)
	v_add_nc_u16 v103, 0xf800, v103
	v_lshrrev_b16 v103, 8, v103
	s_delay_alu instid0(VALU_DEP_1) | instskip(NEXT) | instid1(VALU_DEP_4)
	v_or_b32_e32 v19, v19, v103
	v_lshrrev_b32_e32 v103, 8, v97
	v_bfe_i32 v97, v97, 0, 8
	s_delay_alu instid0(VALU_DEP_3) | instskip(NEXT) | instid1(VALU_DEP_3)
	v_add_nc_u16 v19, 0xf800, v19
	v_bfe_i32 v103, v103, 0, 8
	s_delay_alu instid0(VALU_DEP_3) | instskip(NEXT) | instid1(VALU_DEP_2)
	v_cvt_f16_i16_e32 v97, v97
	v_cvt_f16_i16_e32 v103, v103
	s_delay_alu instid0(VALU_DEP_1) | instskip(SKIP_2) | instid1(VALU_DEP_3)
	v_pack_b32_f16 v97, v97, v103
	v_lshrrev_b32_e32 v103, 8, v19
	v_bfe_i32 v19, v19, 0, 8
	v_pk_mul_f16 v97, v97, v99
	s_delay_alu instid0(VALU_DEP_3) | instskip(NEXT) | instid1(VALU_DEP_3)
	v_bfe_i32 v103, v103, 0, 8
	v_cvt_f16_i16_e32 v19, v19
	s_delay_alu instid0(VALU_DEP_2) | instskip(NEXT) | instid1(VALU_DEP_1)
	v_cvt_f16_i16_e32 v103, v103
	v_pack_b32_f16 v19, v19, v103
	s_delay_alu instid0(VALU_DEP_1) | instskip(SKIP_1) | instid1(VALU_DEP_1)
	v_pk_mul_f16 v19, v19, v99
	v_ashrrev_i32_e32 v99, v89, v102
	v_and_b32_e32 v99, 0xf0f0f0f, v99
	s_delay_alu instid0(VALU_DEP_1) | instskip(SKIP_2) | instid1(VALU_DEP_3)
	v_lshlrev_b16 v102, 8, v99
	v_and_b32_e32 v103, 0xf00, v99
	v_lshrrev_b32_e32 v99, 16, v99
	v_add_nc_u16 v102, 0xf800, v102
	s_delay_alu instid0(VALU_DEP_1) | instskip(NEXT) | instid1(VALU_DEP_1)
	v_lshrrev_b16 v102, 8, v102
	v_or_b32_e32 v102, v103, v102
	s_delay_alu instid0(VALU_DEP_4) | instskip(SKIP_1) | instid1(VALU_DEP_3)
	v_lshlrev_b16 v103, 8, v99
	v_and_b32_e32 v99, 0xf00, v99
	v_add_nc_u16 v102, 0xf800, v102
	s_delay_alu instid0(VALU_DEP_3) | instskip(NEXT) | instid1(VALU_DEP_1)
	v_add_nc_u16 v103, 0xf800, v103
	v_lshrrev_b16 v103, 8, v103
	s_delay_alu instid0(VALU_DEP_1) | instskip(NEXT) | instid1(VALU_DEP_4)
	v_or_b32_e32 v99, v99, v103
	v_lshrrev_b32_e32 v103, 8, v102
	v_bfe_i32 v102, v102, 0, 8
	s_delay_alu instid0(VALU_DEP_3) | instskip(NEXT) | instid1(VALU_DEP_3)
	v_add_nc_u16 v99, 0xf800, v99
	v_bfe_i32 v103, v103, 0, 8
	s_delay_alu instid0(VALU_DEP_3) | instskip(NEXT) | instid1(VALU_DEP_2)
	v_cvt_f16_i16_e32 v102, v102
	v_cvt_f16_i16_e32 v103, v103
	s_delay_alu instid0(VALU_DEP_1) | instskip(SKIP_2) | instid1(VALU_DEP_3)
	v_pack_b32_f16 v102, v102, v103
	v_lshrrev_b32_e32 v103, 8, v99
	v_bfe_i32 v99, v99, 0, 8
	v_pk_mul_f16 v102, v102, v18
	s_delay_alu instid0(VALU_DEP_3) | instskip(NEXT) | instid1(VALU_DEP_3)
	v_bfe_i32 v103, v103, 0, 8
	v_cvt_f16_i16_e32 v99, v99
	s_delay_alu instid0(VALU_DEP_2) | instskip(NEXT) | instid1(VALU_DEP_1)
	v_cvt_f16_i16_e32 v103, v103
	v_pack_b32_f16 v99, v99, v103
	s_delay_alu instid0(VALU_DEP_1)
	v_pk_mul_f16 v18, v99, v18
	v_mul_u32_u24_e32 v99, 0x10001, v11
	scratch_load_b32 v11, off, off offset:464 th:TH_LOAD_LU ; 4-byte Folded Reload
	v_pk_fma_f16 v92, v18, v99, v92
	v_add_co_u32 v18, vcc_lo, v0, s6
	v_pk_fma_f16 v23, v19, v99, v23
	s_wait_alu 0xfffd
	v_add_co_ci_u32_e64 v19, null, 0, v1, vcc_lo
	v_pk_fma_f16 v91, v97, v99, v91
	v_pk_fma_f16 v95, v102, v99, v95
	global_load_b32 v97, v[18:19], off
	v_add_co_u32 v18, vcc_lo, v143, s6
	s_wait_alu 0xfffd
	v_add_co_ci_u32_e64 v19, null, 0, v14, vcc_lo
	v_dual_mov_b32 v14, v1 :: v_dual_mov_b32 v1, v70
	global_load_u16 v99, v[18:19], off
	v_add_co_u32 v18, vcc_lo, v10, s6
	s_wait_alu 0xfffd
	v_add_co_ci_u32_e64 v19, null, 0, v142, vcc_lo
	v_mov_b32_e32 v142, v138
	global_load_b32 v102, v[18:19], off
	v_add_co_u32 v18, vcc_lo, v145, s6
	s_wait_alu 0xfffd
	v_add_co_ci_u32_e64 v19, null, 0, v149, vcc_lo
	v_mov_b32_e32 v145, v144
	v_mul_u32_u24_e32 v20, 0x10001, v20
	global_load_u16 v18, v[18:19], off
	s_wait_loadcnt 0x3
	v_ashrrev_i32_e32 v19, v89, v97
	s_delay_alu instid0(VALU_DEP_1) | instskip(SKIP_2) | instid1(VALU_DEP_2)
	v_and_b32_e32 v19, 0xf0f0f0f, v19
	s_wait_loadcnt 0x2
	v_mul_u32_u24_e32 v99, 0x10001, v99
	v_lshlrev_b16 v97, 8, v19
	v_and_b32_e32 v103, 0xf00, v19
	v_lshrrev_b32_e32 v19, 16, v19
	s_delay_alu instid0(VALU_DEP_3) | instskip(NEXT) | instid1(VALU_DEP_1)
	v_add_nc_u16 v97, 0xf800, v97
	v_lshrrev_b16 v97, 8, v97
	s_wait_loadcnt 0x0
	v_mul_u32_u24_e32 v18, 0x10001, v18
	s_delay_alu instid0(VALU_DEP_2) | instskip(SKIP_2) | instid1(VALU_DEP_3)
	v_or_b32_e32 v97, v103, v97
	v_lshlrev_b16 v103, 8, v19
	v_and_b32_e32 v19, 0xf00, v19
	v_add_nc_u16 v97, 0xf800, v97
	s_delay_alu instid0(VALU_DEP_3) | instskip(NEXT) | instid1(VALU_DEP_1)
	v_add_nc_u16 v103, 0xf800, v103
	v_lshrrev_b16 v103, 8, v103
	s_delay_alu instid0(VALU_DEP_1) | instskip(NEXT) | instid1(VALU_DEP_4)
	v_or_b32_e32 v19, v19, v103
	v_lshrrev_b32_e32 v103, 8, v97
	v_bfe_i32 v97, v97, 0, 8
	s_delay_alu instid0(VALU_DEP_3) | instskip(NEXT) | instid1(VALU_DEP_3)
	v_add_nc_u16 v19, 0xf800, v19
	v_bfe_i32 v103, v103, 0, 8
	s_delay_alu instid0(VALU_DEP_3) | instskip(NEXT) | instid1(VALU_DEP_2)
	v_cvt_f16_i16_e32 v97, v97
	v_cvt_f16_i16_e32 v103, v103
	s_delay_alu instid0(VALU_DEP_1) | instskip(SKIP_2) | instid1(VALU_DEP_3)
	v_pack_b32_f16 v97, v97, v103
	v_lshrrev_b32_e32 v103, 8, v19
	v_bfe_i32 v19, v19, 0, 8
	v_pk_mul_f16 v97, v97, v99
	s_delay_alu instid0(VALU_DEP_3) | instskip(NEXT) | instid1(VALU_DEP_3)
	v_bfe_i32 v103, v103, 0, 8
	v_cvt_f16_i16_e32 v19, v19
	s_delay_alu instid0(VALU_DEP_2) | instskip(NEXT) | instid1(VALU_DEP_1)
	v_cvt_f16_i16_e32 v103, v103
	v_pack_b32_f16 v19, v19, v103
	s_delay_alu instid0(VALU_DEP_1) | instskip(SKIP_1) | instid1(VALU_DEP_1)
	v_pk_mul_f16 v19, v19, v99
	v_ashrrev_i32_e32 v99, v89, v102
	v_and_b32_e32 v99, 0xf0f0f0f, v99
	s_delay_alu instid0(VALU_DEP_1) | instskip(SKIP_2) | instid1(VALU_DEP_3)
	v_lshlrev_b16 v102, 8, v99
	v_and_b32_e32 v103, 0xf00, v99
	v_lshrrev_b32_e32 v99, 16, v99
	v_add_nc_u16 v102, 0xf800, v102
	s_delay_alu instid0(VALU_DEP_1) | instskip(NEXT) | instid1(VALU_DEP_1)
	v_lshrrev_b16 v102, 8, v102
	v_or_b32_e32 v102, v103, v102
	s_delay_alu instid0(VALU_DEP_4) | instskip(SKIP_1) | instid1(VALU_DEP_3)
	v_lshlrev_b16 v103, 8, v99
	v_and_b32_e32 v99, 0xf00, v99
	v_add_nc_u16 v102, 0xf800, v102
	s_delay_alu instid0(VALU_DEP_3) | instskip(NEXT) | instid1(VALU_DEP_1)
	v_add_nc_u16 v103, 0xf800, v103
	v_lshrrev_b16 v103, 8, v103
	s_delay_alu instid0(VALU_DEP_1) | instskip(NEXT) | instid1(VALU_DEP_4)
	v_or_b32_e32 v99, v99, v103
	v_lshrrev_b32_e32 v103, 8, v102
	v_bfe_i32 v102, v102, 0, 8
	s_delay_alu instid0(VALU_DEP_3) | instskip(NEXT) | instid1(VALU_DEP_3)
	v_add_nc_u16 v99, 0xf800, v99
	v_bfe_i32 v103, v103, 0, 8
	s_delay_alu instid0(VALU_DEP_3) | instskip(NEXT) | instid1(VALU_DEP_2)
	v_cvt_f16_i16_e32 v102, v102
	v_cvt_f16_i16_e32 v103, v103
	s_delay_alu instid0(VALU_DEP_1) | instskip(SKIP_2) | instid1(VALU_DEP_3)
	v_pack_b32_f16 v102, v102, v103
	v_lshrrev_b32_e32 v103, 8, v99
	v_bfe_i32 v99, v99, 0, 8
	v_pk_mul_f16 v102, v102, v18
	s_delay_alu instid0(VALU_DEP_3) | instskip(NEXT) | instid1(VALU_DEP_3)
	v_bfe_i32 v103, v103, 0, 8
	v_cvt_f16_i16_e32 v99, v99
	s_delay_alu instid0(VALU_DEP_2) | instskip(NEXT) | instid1(VALU_DEP_1)
	v_cvt_f16_i16_e32 v103, v103
	v_pack_b32_f16 v99, v99, v103
	s_delay_alu instid0(VALU_DEP_1) | instskip(SKIP_1) | instid1(VALU_DEP_1)
	v_pk_mul_f16 v18, v99, v18
	v_mul_u32_u24_e32 v99, 0x10001, v113
	v_pk_fma_f16 v92, v18, v99, v92
	v_add_co_u32 v18, vcc_lo, v135, s6
	v_pk_fma_f16 v23, v19, v99, v23
	s_wait_alu 0xfffd
	v_add_co_ci_u32_e64 v19, null, 0, v142, vcc_lo
	v_pk_fma_f16 v91, v97, v99, v91
	v_mov_b32_e32 v135, v174
	v_pk_fma_f16 v95, v102, v99, v95
	global_load_b32 v97, v[18:19], off
	v_add_co_u32 v18, vcc_lo, v145, s6
	s_wait_alu 0xfffd
	v_add_co_ci_u32_e64 v19, null, 0, v9, vcc_lo
	v_mov_b32_e32 v174, v141
	global_load_u16 v99, v[18:19], off
	v_add_co_u32 v18, vcc_lo, v134, s6
	s_wait_alu 0xfffd
	v_add_co_ci_u32_e64 v19, null, 0, v135, vcc_lo
	global_load_b32 v102, v[18:19], off
	v_add_co_u32 v18, vcc_lo, v5, s6
	s_wait_alu 0xfffd
	v_add_co_ci_u32_e64 v19, null, 0, v6, vcc_lo
	global_load_u16 v18, v[18:19], off
	s_wait_loadcnt 0x3
	v_ashrrev_i32_e32 v19, v89, v97
	s_delay_alu instid0(VALU_DEP_1) | instskip(SKIP_2) | instid1(VALU_DEP_2)
	v_and_b32_e32 v19, 0xf0f0f0f, v19
	s_wait_loadcnt 0x2
	v_mul_u32_u24_e32 v99, 0x10001, v99
	v_lshlrev_b16 v97, 8, v19
	v_and_b32_e32 v103, 0xf00, v19
	v_lshrrev_b32_e32 v19, 16, v19
	s_delay_alu instid0(VALU_DEP_3) | instskip(NEXT) | instid1(VALU_DEP_1)
	v_add_nc_u16 v97, 0xf800, v97
	v_lshrrev_b16 v97, 8, v97
	s_wait_loadcnt 0x0
	v_mul_u32_u24_e32 v18, 0x10001, v18
	s_delay_alu instid0(VALU_DEP_2) | instskip(SKIP_2) | instid1(VALU_DEP_3)
	v_or_b32_e32 v97, v103, v97
	v_lshlrev_b16 v103, 8, v19
	v_and_b32_e32 v19, 0xf00, v19
	v_add_nc_u16 v97, 0xf800, v97
	s_delay_alu instid0(VALU_DEP_3) | instskip(NEXT) | instid1(VALU_DEP_1)
	v_add_nc_u16 v103, 0xf800, v103
	v_lshrrev_b16 v103, 8, v103
	s_delay_alu instid0(VALU_DEP_1) | instskip(NEXT) | instid1(VALU_DEP_4)
	v_or_b32_e32 v19, v19, v103
	v_lshrrev_b32_e32 v103, 8, v97
	v_bfe_i32 v97, v97, 0, 8
	s_delay_alu instid0(VALU_DEP_3) | instskip(NEXT) | instid1(VALU_DEP_3)
	v_add_nc_u16 v19, 0xf800, v19
	v_bfe_i32 v103, v103, 0, 8
	s_delay_alu instid0(VALU_DEP_3) | instskip(NEXT) | instid1(VALU_DEP_2)
	v_cvt_f16_i16_e32 v97, v97
	v_cvt_f16_i16_e32 v103, v103
	s_delay_alu instid0(VALU_DEP_1) | instskip(SKIP_2) | instid1(VALU_DEP_3)
	v_pack_b32_f16 v97, v97, v103
	v_lshrrev_b32_e32 v103, 8, v19
	v_bfe_i32 v19, v19, 0, 8
	v_pk_mul_f16 v97, v97, v99
	s_delay_alu instid0(VALU_DEP_3) | instskip(NEXT) | instid1(VALU_DEP_3)
	v_bfe_i32 v103, v103, 0, 8
	v_cvt_f16_i16_e32 v19, v19
	s_delay_alu instid0(VALU_DEP_2) | instskip(NEXT) | instid1(VALU_DEP_1)
	v_cvt_f16_i16_e32 v103, v103
	v_pack_b32_f16 v19, v19, v103
	s_delay_alu instid0(VALU_DEP_1) | instskip(SKIP_1) | instid1(VALU_DEP_1)
	v_pk_mul_f16 v19, v19, v99
	v_ashrrev_i32_e32 v99, v89, v102
	v_and_b32_e32 v99, 0xf0f0f0f, v99
	s_delay_alu instid0(VALU_DEP_1) | instskip(SKIP_2) | instid1(VALU_DEP_3)
	v_lshlrev_b16 v102, 8, v99
	v_and_b32_e32 v103, 0xf00, v99
	v_lshrrev_b32_e32 v99, 16, v99
	v_add_nc_u16 v102, 0xf800, v102
	s_delay_alu instid0(VALU_DEP_1) | instskip(NEXT) | instid1(VALU_DEP_1)
	v_lshrrev_b16 v102, 8, v102
	v_or_b32_e32 v102, v103, v102
	s_delay_alu instid0(VALU_DEP_4) | instskip(SKIP_1) | instid1(VALU_DEP_3)
	v_lshlrev_b16 v103, 8, v99
	v_and_b32_e32 v99, 0xf00, v99
	v_add_nc_u16 v102, 0xf800, v102
	s_delay_alu instid0(VALU_DEP_3) | instskip(NEXT) | instid1(VALU_DEP_1)
	v_add_nc_u16 v103, 0xf800, v103
	v_lshrrev_b16 v103, 8, v103
	s_delay_alu instid0(VALU_DEP_1) | instskip(NEXT) | instid1(VALU_DEP_4)
	v_or_b32_e32 v99, v99, v103
	v_lshrrev_b32_e32 v103, 8, v102
	v_bfe_i32 v102, v102, 0, 8
	s_delay_alu instid0(VALU_DEP_3) | instskip(NEXT) | instid1(VALU_DEP_3)
	v_add_nc_u16 v99, 0xf800, v99
	v_bfe_i32 v103, v103, 0, 8
	s_delay_alu instid0(VALU_DEP_3) | instskip(NEXT) | instid1(VALU_DEP_2)
	v_cvt_f16_i16_e32 v102, v102
	v_cvt_f16_i16_e32 v103, v103
	s_delay_alu instid0(VALU_DEP_1) | instskip(SKIP_2) | instid1(VALU_DEP_3)
	v_pack_b32_f16 v102, v102, v103
	v_lshrrev_b32_e32 v103, 8, v99
	v_bfe_i32 v99, v99, 0, 8
	v_pk_mul_f16 v102, v102, v18
	s_delay_alu instid0(VALU_DEP_3) | instskip(NEXT) | instid1(VALU_DEP_3)
	v_bfe_i32 v103, v103, 0, 8
	v_cvt_f16_i16_e32 v99, v99
	s_delay_alu instid0(VALU_DEP_2) | instskip(NEXT) | instid1(VALU_DEP_1)
	v_cvt_f16_i16_e32 v103, v103
	v_pack_b32_f16 v99, v99, v103
	s_delay_alu instid0(VALU_DEP_1) | instskip(SKIP_4) | instid1(VALU_DEP_4)
	v_pk_mul_f16 v18, v99, v18
	v_mul_u32_u24_e32 v99, 0x10001, v11
	v_mov_b32_e32 v11, v87
	v_mov_b32_e32 v87, v81
	v_dual_mov_b32 v81, v76 :: v_dual_mov_b32 v76, v8
	v_pk_fma_f16 v92, v18, v99, v92
	v_add_co_u32 v18, vcc_lo, v69, s6
	v_pk_fma_f16 v23, v19, v99, v23
	s_wait_alu 0xfffd
	v_add_co_ci_u32_e64 v19, null, 0, v70, vcc_lo
	v_pk_fma_f16 v91, v97, v99, v91
	v_pk_fma_f16 v95, v102, v99, v95
	v_mov_b32_e32 v70, v55
	global_load_b32 v97, v[18:19], off
	s_clause 0x5
	scratch_store_b32 off, v78, off offset:464
	scratch_store_b32 off, v84, off offset:468
	;; [unrolled: 1-line block ×6, first 2 shown]
	v_mov_b32_e32 v134, v129
	scratch_load_b32 v4, off, off offset:508 th:TH_LOAD_LU ; 4-byte Folded Reload
	v_mov_b32_e32 v78, v0
	scratch_load_b32 v0, off, off offset:540 th:TH_LOAD_LU ; 4-byte Folded Reload
	v_mov_b32_e32 v84, v156
	v_add_co_u32 v18, vcc_lo, v134, s6
	s_wait_alu 0xfffd
	v_add_co_ci_u32_e64 v19, null, 0, v2, vcc_lo
	v_dual_mov_b32 v74, v69 :: v_dual_mov_b32 v69, v157
	scratch_load_b32 v156, off, off offset:308 ; 4-byte Folded Reload
	global_load_u16 v99, v[18:19], off
	v_add_co_u32 v18, vcc_lo, v52, s6
	s_wait_alu 0xfffd
	v_add_co_ci_u32_e64 v19, null, 0, v53, vcc_lo
	scratch_store_b32 off, v83, off offset:508 ; 4-byte Folded Spill
	v_dual_mov_b32 v72, v155 :: v_dual_mov_b32 v83, v143
	global_load_b32 v102, v[18:19], off
	v_add_co_u32 v18, vcc_lo, v54, s6
	s_wait_alu 0xfffd
	v_add_co_ci_u32_e64 v19, null, 0, v55, vcc_lo
	v_dual_mov_b32 v55, v54 :: v_dual_mov_b32 v54, v53
	v_mov_b32_e32 v53, v52
	global_load_u16 v18, v[18:19], off
	v_mov_b32_e32 v52, v51
	s_wait_loadcnt 0x6
	v_ashrrev_i32_e32 v19, v89, v97
	s_delay_alu instid0(VALU_DEP_1) | instskip(NEXT) | instid1(VALU_DEP_1)
	v_and_b32_e32 v19, 0xf0f0f0f, v19
	v_lshlrev_b16 v97, 8, v19
	v_and_b32_e32 v103, 0xf00, v19
	v_lshrrev_b32_e32 v19, 16, v19
	s_wait_loadcnt 0x2
	v_mul_u32_u24_e32 v99, 0x10001, v99
	v_add_nc_u16 v97, 0xf800, v97
	s_delay_alu instid0(VALU_DEP_1) | instskip(NEXT) | instid1(VALU_DEP_1)
	v_lshrrev_b16 v97, 8, v97
	v_or_b32_e32 v97, v103, v97
	v_lshlrev_b16 v103, 8, v19
	v_and_b32_e32 v19, 0xf00, v19
	s_delay_alu instid0(VALU_DEP_3) | instskip(NEXT) | instid1(VALU_DEP_3)
	v_add_nc_u16 v97, 0xf800, v97
	v_add_nc_u16 v103, 0xf800, v103
	s_wait_loadcnt 0x0
	v_mul_u32_u24_e32 v18, 0x10001, v18
	s_delay_alu instid0(VALU_DEP_2) | instskip(NEXT) | instid1(VALU_DEP_1)
	v_lshrrev_b16 v103, 8, v103
	v_or_b32_e32 v19, v19, v103
	v_lshrrev_b32_e32 v103, 8, v97
	v_bfe_i32 v97, v97, 0, 8
	s_delay_alu instid0(VALU_DEP_3) | instskip(NEXT) | instid1(VALU_DEP_3)
	v_add_nc_u16 v19, 0xf800, v19
	v_bfe_i32 v103, v103, 0, 8
	s_delay_alu instid0(VALU_DEP_3) | instskip(NEXT) | instid1(VALU_DEP_2)
	v_cvt_f16_i16_e32 v97, v97
	v_cvt_f16_i16_e32 v103, v103
	s_delay_alu instid0(VALU_DEP_1) | instskip(SKIP_2) | instid1(VALU_DEP_3)
	v_pack_b32_f16 v97, v97, v103
	v_lshrrev_b32_e32 v103, 8, v19
	v_bfe_i32 v19, v19, 0, 8
	v_pk_mul_f16 v97, v97, v99
	s_delay_alu instid0(VALU_DEP_3) | instskip(NEXT) | instid1(VALU_DEP_3)
	v_bfe_i32 v103, v103, 0, 8
	v_cvt_f16_i16_e32 v19, v19
	s_delay_alu instid0(VALU_DEP_2) | instskip(NEXT) | instid1(VALU_DEP_1)
	v_cvt_f16_i16_e32 v103, v103
	v_pack_b32_f16 v19, v19, v103
	s_delay_alu instid0(VALU_DEP_1) | instskip(SKIP_1) | instid1(VALU_DEP_1)
	v_pk_mul_f16 v19, v19, v99
	v_ashrrev_i32_e32 v99, v89, v102
	v_and_b32_e32 v99, 0xf0f0f0f, v99
	s_delay_alu instid0(VALU_DEP_1) | instskip(SKIP_2) | instid1(VALU_DEP_3)
	v_lshlrev_b16 v102, 8, v99
	v_and_b32_e32 v103, 0xf00, v99
	v_lshrrev_b32_e32 v99, 16, v99
	v_add_nc_u16 v102, 0xf800, v102
	s_delay_alu instid0(VALU_DEP_1) | instskip(NEXT) | instid1(VALU_DEP_1)
	v_lshrrev_b16 v102, 8, v102
	v_or_b32_e32 v102, v103, v102
	s_delay_alu instid0(VALU_DEP_4) | instskip(SKIP_1) | instid1(VALU_DEP_3)
	v_lshlrev_b16 v103, 8, v99
	v_and_b32_e32 v99, 0xf00, v99
	v_add_nc_u16 v102, 0xf800, v102
	s_delay_alu instid0(VALU_DEP_3) | instskip(NEXT) | instid1(VALU_DEP_1)
	v_add_nc_u16 v103, 0xf800, v103
	v_lshrrev_b16 v103, 8, v103
	s_delay_alu instid0(VALU_DEP_1) | instskip(NEXT) | instid1(VALU_DEP_4)
	v_or_b32_e32 v99, v99, v103
	v_lshrrev_b32_e32 v103, 8, v102
	v_bfe_i32 v102, v102, 0, 8
	s_delay_alu instid0(VALU_DEP_3) | instskip(NEXT) | instid1(VALU_DEP_3)
	v_add_nc_u16 v99, 0xf800, v99
	v_bfe_i32 v103, v103, 0, 8
	s_delay_alu instid0(VALU_DEP_3) | instskip(NEXT) | instid1(VALU_DEP_2)
	v_cvt_f16_i16_e32 v102, v102
	v_cvt_f16_i16_e32 v103, v103
	s_delay_alu instid0(VALU_DEP_1) | instskip(SKIP_2) | instid1(VALU_DEP_3)
	v_pack_b32_f16 v102, v102, v103
	v_lshrrev_b32_e32 v103, 8, v99
	v_bfe_i32 v99, v99, 0, 8
	v_pk_mul_f16 v102, v102, v18
	s_delay_alu instid0(VALU_DEP_3) | instskip(NEXT) | instid1(VALU_DEP_3)
	v_bfe_i32 v103, v103, 0, 8
	v_cvt_f16_i16_e32 v99, v99
	s_delay_alu instid0(VALU_DEP_2) | instskip(NEXT) | instid1(VALU_DEP_1)
	v_cvt_f16_i16_e32 v103, v103
	v_pack_b32_f16 v99, v99, v103
	s_delay_alu instid0(VALU_DEP_1) | instskip(SKIP_4) | instid1(VALU_DEP_4)
	v_pk_mul_f16 v18, v99, v18
	v_mul_u32_u24_e32 v99, 0x10001, v121
	v_dual_mov_b32 v121, v86 :: v_dual_mov_b32 v86, v80
	v_mov_b32_e32 v80, v12
	v_mov_b32_e32 v12, v149
	v_pk_fma_f16 v92, v18, v99, v92
	v_add_co_u32 v18, vcc_lo, v48, s6
	v_pk_fma_f16 v23, v19, v99, v23
	s_wait_alu 0xfffd
	v_add_co_ci_u32_e64 v19, null, 0, v49, vcc_lo
	v_pk_fma_f16 v91, v97, v99, v91
	v_pk_fma_f16 v95, v102, v99, v95
	v_mov_b32_e32 v149, v10
	global_load_b32 v97, v[18:19], off
	v_add_co_u32 v18, vcc_lo, v50, s6
	s_wait_alu 0xfffd
	v_add_co_ci_u32_e64 v19, null, 0, v51, vcc_lo
	v_dual_mov_b32 v51, v50 :: v_dual_mov_b32 v50, v49
	v_mov_b32_e32 v49, v48
	global_load_u16 v99, v[18:19], off
	v_add_co_u32 v18, vcc_lo, v44, s6
	s_wait_alu 0xfffd
	v_add_co_ci_u32_e64 v19, null, 0, v45, vcc_lo
	v_mov_b32_e32 v48, v47
	v_mov_b32_e32 v10, v9
	global_load_b32 v102, v[18:19], off
	v_add_co_u32 v18, vcc_lo, v46, s6
	s_wait_alu 0xfffd
	v_add_co_ci_u32_e64 v19, null, 0, v47, vcc_lo
	v_dual_mov_b32 v47, v46 :: v_dual_mov_b32 v46, v45
	v_mov_b32_e32 v45, v44
	global_load_u16 v18, v[18:19], off
	v_mov_b32_e32 v44, v43
	s_wait_loadcnt 0x3
	v_ashrrev_i32_e32 v19, v89, v97
	s_delay_alu instid0(VALU_DEP_1) | instskip(SKIP_2) | instid1(VALU_DEP_2)
	v_and_b32_e32 v19, 0xf0f0f0f, v19
	s_wait_loadcnt 0x2
	v_mul_u32_u24_e32 v99, 0x10001, v99
	v_lshlrev_b16 v97, 8, v19
	v_and_b32_e32 v103, 0xf00, v19
	v_lshrrev_b32_e32 v19, 16, v19
	s_delay_alu instid0(VALU_DEP_3) | instskip(NEXT) | instid1(VALU_DEP_1)
	v_add_nc_u16 v97, 0xf800, v97
	v_lshrrev_b16 v97, 8, v97
	s_wait_loadcnt 0x0
	v_mul_u32_u24_e32 v18, 0x10001, v18
	s_delay_alu instid0(VALU_DEP_2) | instskip(SKIP_2) | instid1(VALU_DEP_3)
	v_or_b32_e32 v97, v103, v97
	v_lshlrev_b16 v103, 8, v19
	v_and_b32_e32 v19, 0xf00, v19
	v_add_nc_u16 v97, 0xf800, v97
	s_delay_alu instid0(VALU_DEP_3) | instskip(NEXT) | instid1(VALU_DEP_1)
	v_add_nc_u16 v103, 0xf800, v103
	v_lshrrev_b16 v103, 8, v103
	s_delay_alu instid0(VALU_DEP_1) | instskip(NEXT) | instid1(VALU_DEP_4)
	v_or_b32_e32 v19, v19, v103
	v_lshrrev_b32_e32 v103, 8, v97
	v_bfe_i32 v97, v97, 0, 8
	s_delay_alu instid0(VALU_DEP_3) | instskip(NEXT) | instid1(VALU_DEP_3)
	v_add_nc_u16 v19, 0xf800, v19
	v_bfe_i32 v103, v103, 0, 8
	s_delay_alu instid0(VALU_DEP_3) | instskip(NEXT) | instid1(VALU_DEP_2)
	v_cvt_f16_i16_e32 v97, v97
	v_cvt_f16_i16_e32 v103, v103
	s_delay_alu instid0(VALU_DEP_1) | instskip(SKIP_2) | instid1(VALU_DEP_3)
	v_pack_b32_f16 v97, v97, v103
	v_lshrrev_b32_e32 v103, 8, v19
	v_bfe_i32 v19, v19, 0, 8
	v_pk_mul_f16 v97, v97, v99
	s_delay_alu instid0(VALU_DEP_3) | instskip(NEXT) | instid1(VALU_DEP_3)
	v_bfe_i32 v103, v103, 0, 8
	v_cvt_f16_i16_e32 v19, v19
	s_delay_alu instid0(VALU_DEP_2) | instskip(NEXT) | instid1(VALU_DEP_1)
	v_cvt_f16_i16_e32 v103, v103
	v_pack_b32_f16 v19, v19, v103
	s_delay_alu instid0(VALU_DEP_1) | instskip(SKIP_1) | instid1(VALU_DEP_1)
	v_pk_mul_f16 v19, v19, v99
	v_ashrrev_i32_e32 v99, v89, v102
	v_and_b32_e32 v99, 0xf0f0f0f, v99
	s_delay_alu instid0(VALU_DEP_1) | instskip(SKIP_2) | instid1(VALU_DEP_3)
	v_lshlrev_b16 v102, 8, v99
	v_and_b32_e32 v103, 0xf00, v99
	v_lshrrev_b32_e32 v99, 16, v99
	v_add_nc_u16 v102, 0xf800, v102
	s_delay_alu instid0(VALU_DEP_1) | instskip(NEXT) | instid1(VALU_DEP_1)
	v_lshrrev_b16 v102, 8, v102
	v_or_b32_e32 v102, v103, v102
	s_delay_alu instid0(VALU_DEP_4) | instskip(SKIP_1) | instid1(VALU_DEP_3)
	v_lshlrev_b16 v103, 8, v99
	v_and_b32_e32 v99, 0xf00, v99
	v_add_nc_u16 v102, 0xf800, v102
	s_delay_alu instid0(VALU_DEP_3) | instskip(NEXT) | instid1(VALU_DEP_1)
	v_add_nc_u16 v103, 0xf800, v103
	v_lshrrev_b16 v103, 8, v103
	s_delay_alu instid0(VALU_DEP_1) | instskip(NEXT) | instid1(VALU_DEP_4)
	v_or_b32_e32 v99, v99, v103
	v_lshrrev_b32_e32 v103, 8, v102
	v_bfe_i32 v102, v102, 0, 8
	s_delay_alu instid0(VALU_DEP_3) | instskip(NEXT) | instid1(VALU_DEP_3)
	v_add_nc_u16 v99, 0xf800, v99
	v_bfe_i32 v103, v103, 0, 8
	s_delay_alu instid0(VALU_DEP_3) | instskip(NEXT) | instid1(VALU_DEP_2)
	v_cvt_f16_i16_e32 v102, v102
	v_cvt_f16_i16_e32 v103, v103
	s_delay_alu instid0(VALU_DEP_1) | instskip(SKIP_2) | instid1(VALU_DEP_3)
	v_pack_b32_f16 v102, v102, v103
	v_lshrrev_b32_e32 v103, 8, v99
	v_bfe_i32 v99, v99, 0, 8
	v_pk_mul_f16 v102, v102, v18
	s_delay_alu instid0(VALU_DEP_3) | instskip(NEXT) | instid1(VALU_DEP_3)
	v_bfe_i32 v103, v103, 0, 8
	v_cvt_f16_i16_e32 v99, v99
	s_delay_alu instid0(VALU_DEP_2) | instskip(NEXT) | instid1(VALU_DEP_1)
	v_cvt_f16_i16_e32 v103, v103
	v_pack_b32_f16 v99, v99, v103
	s_delay_alu instid0(VALU_DEP_1)
	v_pk_mul_f16 v18, v99, v18
	v_mul_u32_u24_e32 v99, 0x10001, v4
	scratch_load_b32 v4, off, off offset:532 th:TH_LOAD_LU ; 4-byte Folded Reload
	v_pk_fma_f16 v92, v18, v99, v92
	v_add_co_u32 v18, vcc_lo, v40, s6
	v_pk_fma_f16 v23, v19, v99, v23
	s_wait_alu 0xfffd
	v_add_co_ci_u32_e64 v19, null, 0, v41, vcc_lo
	v_pk_fma_f16 v91, v97, v99, v91
	v_pk_fma_f16 v95, v102, v99, v95
	global_load_b32 v97, v[18:19], off
	v_add_co_u32 v18, vcc_lo, v42, s6
	s_wait_alu 0xfffd
	v_add_co_ci_u32_e64 v19, null, 0, v43, vcc_lo
	v_dual_mov_b32 v43, v42 :: v_dual_mov_b32 v42, v41
	v_mov_b32_e32 v41, v40
	global_load_u16 v99, v[18:19], off
	v_add_co_u32 v18, vcc_lo, v36, s6
	s_wait_alu 0xfffd
	v_add_co_ci_u32_e64 v19, null, 0, v37, vcc_lo
	v_mov_b32_e32 v40, v39
	global_load_b32 v102, v[18:19], off
	v_add_co_u32 v18, vcc_lo, v38, s6
	s_wait_alu 0xfffd
	v_add_co_ci_u32_e64 v19, null, 0, v39, vcc_lo
	v_dual_mov_b32 v39, v38 :: v_dual_mov_b32 v38, v37
	v_mov_b32_e32 v37, v36
	global_load_u16 v18, v[18:19], off
	v_mov_b32_e32 v36, v35
	s_wait_loadcnt 0x3
	v_ashrrev_i32_e32 v19, v89, v97
	s_delay_alu instid0(VALU_DEP_1) | instskip(SKIP_2) | instid1(VALU_DEP_2)
	v_and_b32_e32 v19, 0xf0f0f0f, v19
	s_wait_loadcnt 0x2
	v_mul_u32_u24_e32 v99, 0x10001, v99
	v_lshlrev_b16 v97, 8, v19
	v_and_b32_e32 v103, 0xf00, v19
	v_lshrrev_b32_e32 v19, 16, v19
	s_delay_alu instid0(VALU_DEP_3) | instskip(NEXT) | instid1(VALU_DEP_1)
	v_add_nc_u16 v97, 0xf800, v97
	v_lshrrev_b16 v97, 8, v97
	s_wait_loadcnt 0x0
	v_mul_u32_u24_e32 v18, 0x10001, v18
	s_delay_alu instid0(VALU_DEP_2) | instskip(SKIP_2) | instid1(VALU_DEP_3)
	v_or_b32_e32 v97, v103, v97
	v_lshlrev_b16 v103, 8, v19
	v_and_b32_e32 v19, 0xf00, v19
	v_add_nc_u16 v97, 0xf800, v97
	s_delay_alu instid0(VALU_DEP_3) | instskip(NEXT) | instid1(VALU_DEP_1)
	v_add_nc_u16 v103, 0xf800, v103
	v_lshrrev_b16 v103, 8, v103
	s_delay_alu instid0(VALU_DEP_1) | instskip(NEXT) | instid1(VALU_DEP_4)
	v_or_b32_e32 v19, v19, v103
	v_lshrrev_b32_e32 v103, 8, v97
	v_bfe_i32 v97, v97, 0, 8
	s_delay_alu instid0(VALU_DEP_3) | instskip(NEXT) | instid1(VALU_DEP_3)
	v_add_nc_u16 v19, 0xf800, v19
	v_bfe_i32 v103, v103, 0, 8
	s_delay_alu instid0(VALU_DEP_3) | instskip(NEXT) | instid1(VALU_DEP_2)
	v_cvt_f16_i16_e32 v97, v97
	v_cvt_f16_i16_e32 v103, v103
	s_delay_alu instid0(VALU_DEP_1) | instskip(SKIP_2) | instid1(VALU_DEP_3)
	v_pack_b32_f16 v97, v97, v103
	v_lshrrev_b32_e32 v103, 8, v19
	v_bfe_i32 v19, v19, 0, 8
	v_pk_mul_f16 v97, v97, v99
	s_delay_alu instid0(VALU_DEP_3) | instskip(NEXT) | instid1(VALU_DEP_3)
	v_bfe_i32 v103, v103, 0, 8
	v_cvt_f16_i16_e32 v19, v19
	s_delay_alu instid0(VALU_DEP_2) | instskip(NEXT) | instid1(VALU_DEP_1)
	v_cvt_f16_i16_e32 v103, v103
	v_pack_b32_f16 v19, v19, v103
	s_delay_alu instid0(VALU_DEP_1) | instskip(SKIP_1) | instid1(VALU_DEP_1)
	v_pk_mul_f16 v19, v19, v99
	v_ashrrev_i32_e32 v99, v89, v102
	v_and_b32_e32 v99, 0xf0f0f0f, v99
	s_delay_alu instid0(VALU_DEP_1) | instskip(SKIP_2) | instid1(VALU_DEP_3)
	v_lshlrev_b16 v102, 8, v99
	v_and_b32_e32 v103, 0xf00, v99
	v_lshrrev_b32_e32 v99, 16, v99
	v_add_nc_u16 v102, 0xf800, v102
	s_delay_alu instid0(VALU_DEP_1) | instskip(NEXT) | instid1(VALU_DEP_1)
	v_lshrrev_b16 v102, 8, v102
	v_or_b32_e32 v102, v103, v102
	s_delay_alu instid0(VALU_DEP_4) | instskip(SKIP_1) | instid1(VALU_DEP_3)
	v_lshlrev_b16 v103, 8, v99
	v_and_b32_e32 v99, 0xf00, v99
	v_add_nc_u16 v102, 0xf800, v102
	s_delay_alu instid0(VALU_DEP_3) | instskip(NEXT) | instid1(VALU_DEP_1)
	v_add_nc_u16 v103, 0xf800, v103
	v_lshrrev_b16 v103, 8, v103
	s_delay_alu instid0(VALU_DEP_1) | instskip(NEXT) | instid1(VALU_DEP_4)
	v_or_b32_e32 v99, v99, v103
	v_lshrrev_b32_e32 v103, 8, v102
	v_bfe_i32 v102, v102, 0, 8
	s_delay_alu instid0(VALU_DEP_3) | instskip(NEXT) | instid1(VALU_DEP_3)
	v_add_nc_u16 v99, 0xf800, v99
	v_bfe_i32 v103, v103, 0, 8
	s_delay_alu instid0(VALU_DEP_3) | instskip(NEXT) | instid1(VALU_DEP_2)
	v_cvt_f16_i16_e32 v102, v102
	v_cvt_f16_i16_e32 v103, v103
	s_delay_alu instid0(VALU_DEP_1) | instskip(SKIP_2) | instid1(VALU_DEP_3)
	v_pack_b32_f16 v102, v102, v103
	v_lshrrev_b32_e32 v103, 8, v99
	v_bfe_i32 v99, v99, 0, 8
	v_pk_mul_f16 v102, v102, v18
	s_delay_alu instid0(VALU_DEP_3) | instskip(NEXT) | instid1(VALU_DEP_3)
	v_bfe_i32 v103, v103, 0, 8
	v_cvt_f16_i16_e32 v99, v99
	s_delay_alu instid0(VALU_DEP_2) | instskip(NEXT) | instid1(VALU_DEP_1)
	v_cvt_f16_i16_e32 v103, v103
	v_pack_b32_f16 v99, v99, v103
	s_delay_alu instid0(VALU_DEP_1) | instskip(SKIP_1) | instid1(VALU_DEP_1)
	v_pk_mul_f16 v18, v99, v18
	v_mul_u32_u24_e32 v99, 0x10001, v112
	v_pk_fma_f16 v92, v18, v99, v92
	v_add_co_u32 v18, vcc_lo, v32, s6
	v_pk_fma_f16 v23, v19, v99, v23
	s_wait_alu 0xfffd
	v_add_co_ci_u32_e64 v19, null, 0, v33, vcc_lo
	v_pk_fma_f16 v91, v97, v99, v91
	v_pk_fma_f16 v95, v102, v99, v95
	global_load_b32 v97, v[18:19], off
	v_add_co_u32 v18, vcc_lo, v34, s6
	s_wait_alu 0xfffd
	v_add_co_ci_u32_e64 v19, null, 0, v35, vcc_lo
	v_dual_mov_b32 v35, v34 :: v_dual_mov_b32 v34, v33
	v_mov_b32_e32 v33, v32
	global_load_u16 v99, v[18:19], off
	v_add_co_u32 v18, vcc_lo, v28, s6
	s_wait_alu 0xfffd
	v_add_co_ci_u32_e64 v19, null, 0, v29, vcc_lo
	v_mov_b32_e32 v32, v31
	global_load_b32 v102, v[18:19], off
	v_add_co_u32 v18, vcc_lo, v30, s6
	s_wait_alu 0xfffd
	v_add_co_ci_u32_e64 v19, null, 0, v31, vcc_lo
	v_dual_mov_b32 v31, v30 :: v_dual_mov_b32 v30, v29
	v_mov_b32_e32 v29, v28
	global_load_u16 v18, v[18:19], off
	v_mov_b32_e32 v28, v27
	s_wait_loadcnt 0x3
	v_ashrrev_i32_e32 v19, v89, v97
	s_delay_alu instid0(VALU_DEP_1) | instskip(SKIP_2) | instid1(VALU_DEP_2)
	v_and_b32_e32 v19, 0xf0f0f0f, v19
	s_wait_loadcnt 0x2
	v_mul_u32_u24_e32 v99, 0x10001, v99
	v_lshlrev_b16 v97, 8, v19
	v_and_b32_e32 v103, 0xf00, v19
	v_lshrrev_b32_e32 v19, 16, v19
	s_delay_alu instid0(VALU_DEP_3) | instskip(NEXT) | instid1(VALU_DEP_1)
	v_add_nc_u16 v97, 0xf800, v97
	v_lshrrev_b16 v97, 8, v97
	s_wait_loadcnt 0x0
	v_mul_u32_u24_e32 v18, 0x10001, v18
	s_delay_alu instid0(VALU_DEP_2) | instskip(SKIP_2) | instid1(VALU_DEP_3)
	v_or_b32_e32 v97, v103, v97
	v_lshlrev_b16 v103, 8, v19
	v_and_b32_e32 v19, 0xf00, v19
	v_add_nc_u16 v97, 0xf800, v97
	s_delay_alu instid0(VALU_DEP_3) | instskip(NEXT) | instid1(VALU_DEP_1)
	v_add_nc_u16 v103, 0xf800, v103
	v_lshrrev_b16 v103, 8, v103
	s_delay_alu instid0(VALU_DEP_1) | instskip(NEXT) | instid1(VALU_DEP_4)
	v_or_b32_e32 v19, v19, v103
	v_lshrrev_b32_e32 v103, 8, v97
	v_bfe_i32 v97, v97, 0, 8
	s_delay_alu instid0(VALU_DEP_3) | instskip(NEXT) | instid1(VALU_DEP_3)
	v_add_nc_u16 v19, 0xf800, v19
	v_bfe_i32 v103, v103, 0, 8
	s_delay_alu instid0(VALU_DEP_3) | instskip(NEXT) | instid1(VALU_DEP_2)
	v_cvt_f16_i16_e32 v97, v97
	v_cvt_f16_i16_e32 v103, v103
	s_delay_alu instid0(VALU_DEP_1) | instskip(SKIP_2) | instid1(VALU_DEP_3)
	v_pack_b32_f16 v97, v97, v103
	v_lshrrev_b32_e32 v103, 8, v19
	v_bfe_i32 v19, v19, 0, 8
	v_pk_mul_f16 v97, v97, v99
	s_delay_alu instid0(VALU_DEP_3) | instskip(NEXT) | instid1(VALU_DEP_3)
	v_bfe_i32 v103, v103, 0, 8
	v_cvt_f16_i16_e32 v19, v19
	s_delay_alu instid0(VALU_DEP_2) | instskip(NEXT) | instid1(VALU_DEP_1)
	v_cvt_f16_i16_e32 v103, v103
	v_pack_b32_f16 v19, v19, v103
	s_delay_alu instid0(VALU_DEP_1) | instskip(SKIP_1) | instid1(VALU_DEP_1)
	v_pk_mul_f16 v19, v19, v99
	v_ashrrev_i32_e32 v99, v89, v102
	v_and_b32_e32 v99, 0xf0f0f0f, v99
	s_delay_alu instid0(VALU_DEP_1) | instskip(SKIP_2) | instid1(VALU_DEP_3)
	v_lshlrev_b16 v102, 8, v99
	v_and_b32_e32 v103, 0xf00, v99
	v_lshrrev_b32_e32 v99, 16, v99
	v_add_nc_u16 v102, 0xf800, v102
	s_delay_alu instid0(VALU_DEP_1) | instskip(NEXT) | instid1(VALU_DEP_1)
	v_lshrrev_b16 v102, 8, v102
	v_or_b32_e32 v102, v103, v102
	s_delay_alu instid0(VALU_DEP_4) | instskip(SKIP_1) | instid1(VALU_DEP_3)
	v_lshlrev_b16 v103, 8, v99
	v_and_b32_e32 v99, 0xf00, v99
	v_add_nc_u16 v102, 0xf800, v102
	s_delay_alu instid0(VALU_DEP_3) | instskip(NEXT) | instid1(VALU_DEP_1)
	v_add_nc_u16 v103, 0xf800, v103
	v_lshrrev_b16 v103, 8, v103
	s_delay_alu instid0(VALU_DEP_1) | instskip(NEXT) | instid1(VALU_DEP_4)
	v_or_b32_e32 v99, v99, v103
	v_lshrrev_b32_e32 v103, 8, v102
	v_bfe_i32 v102, v102, 0, 8
	s_delay_alu instid0(VALU_DEP_3) | instskip(NEXT) | instid1(VALU_DEP_3)
	v_add_nc_u16 v99, 0xf800, v99
	v_bfe_i32 v103, v103, 0, 8
	s_delay_alu instid0(VALU_DEP_3) | instskip(NEXT) | instid1(VALU_DEP_2)
	v_cvt_f16_i16_e32 v102, v102
	v_cvt_f16_i16_e32 v103, v103
	s_delay_alu instid0(VALU_DEP_1) | instskip(SKIP_2) | instid1(VALU_DEP_3)
	v_pack_b32_f16 v102, v102, v103
	v_lshrrev_b32_e32 v103, 8, v99
	v_bfe_i32 v99, v99, 0, 8
	v_pk_mul_f16 v102, v102, v18
	s_delay_alu instid0(VALU_DEP_3) | instskip(NEXT) | instid1(VALU_DEP_3)
	v_bfe_i32 v103, v103, 0, 8
	v_cvt_f16_i16_e32 v99, v99
	s_delay_alu instid0(VALU_DEP_2) | instskip(NEXT) | instid1(VALU_DEP_1)
	v_cvt_f16_i16_e32 v103, v103
	v_pack_b32_f16 v99, v99, v103
	s_delay_alu instid0(VALU_DEP_1)
	v_pk_mul_f16 v18, v99, v18
	v_mul_u32_u24_e32 v99, 0x10001, v4
	scratch_load_b32 v4, off, off offset:536 th:TH_LOAD_LU ; 4-byte Folded Reload
	v_pk_fma_f16 v92, v18, v99, v92
	v_add_co_u32 v18, vcc_lo, v24, s6
	v_pk_fma_f16 v23, v19, v99, v23
	s_wait_alu 0xfffd
	v_add_co_ci_u32_e64 v19, null, 0, v25, vcc_lo
	v_pk_fma_f16 v91, v97, v99, v91
	v_pk_fma_f16 v95, v102, v99, v95
	global_load_b32 v97, v[18:19], off
	v_add_co_u32 v18, vcc_lo, v26, s6
	s_wait_alu 0xfffd
	v_add_co_ci_u32_e64 v19, null, 0, v27, vcc_lo
	v_dual_mov_b32 v27, v26 :: v_dual_mov_b32 v26, v25
	v_mov_b32_e32 v25, v24
	global_load_u16 v99, v[18:19], off
	v_add_co_u32 v18, vcc_lo, v155, s6
	s_wait_alu 0xfffd
	v_add_co_ci_u32_e64 v19, null, 0, v68, vcc_lo
	v_mov_b32_e32 v24, v65
	global_load_b32 v102, v[18:19], off
	v_add_co_u32 v18, vcc_lo, v61, s6
	s_wait_alu 0xfffd
	v_add_co_ci_u32_e64 v19, null, 0, v65, vcc_lo
	v_mov_b32_e32 v65, v61
	v_dual_mov_b32 v61, v68 :: v_dual_mov_b32 v68, v66
	global_load_u16 v18, v[18:19], off
	s_wait_loadcnt 0x3
	v_ashrrev_i32_e32 v19, v89, v97
	s_delay_alu instid0(VALU_DEP_1) | instskip(SKIP_2) | instid1(VALU_DEP_2)
	v_and_b32_e32 v19, 0xf0f0f0f, v19
	s_wait_loadcnt 0x2
	v_mul_u32_u24_e32 v99, 0x10001, v99
	v_lshlrev_b16 v97, 8, v19
	v_and_b32_e32 v103, 0xf00, v19
	v_lshrrev_b32_e32 v19, 16, v19
	s_delay_alu instid0(VALU_DEP_3) | instskip(NEXT) | instid1(VALU_DEP_1)
	v_add_nc_u16 v97, 0xf800, v97
	v_lshrrev_b16 v97, 8, v97
	s_wait_loadcnt 0x0
	v_mul_u32_u24_e32 v18, 0x10001, v18
	s_delay_alu instid0(VALU_DEP_2) | instskip(SKIP_2) | instid1(VALU_DEP_3)
	v_or_b32_e32 v97, v103, v97
	v_lshlrev_b16 v103, 8, v19
	v_and_b32_e32 v19, 0xf00, v19
	v_add_nc_u16 v97, 0xf800, v97
	s_delay_alu instid0(VALU_DEP_3) | instskip(NEXT) | instid1(VALU_DEP_1)
	v_add_nc_u16 v103, 0xf800, v103
	v_lshrrev_b16 v103, 8, v103
	s_delay_alu instid0(VALU_DEP_1) | instskip(NEXT) | instid1(VALU_DEP_4)
	v_or_b32_e32 v19, v19, v103
	v_lshrrev_b32_e32 v103, 8, v97
	v_bfe_i32 v97, v97, 0, 8
	s_delay_alu instid0(VALU_DEP_3) | instskip(NEXT) | instid1(VALU_DEP_3)
	v_add_nc_u16 v19, 0xf800, v19
	v_bfe_i32 v103, v103, 0, 8
	s_delay_alu instid0(VALU_DEP_3) | instskip(NEXT) | instid1(VALU_DEP_2)
	v_cvt_f16_i16_e32 v97, v97
	v_cvt_f16_i16_e32 v103, v103
	s_delay_alu instid0(VALU_DEP_1) | instskip(SKIP_2) | instid1(VALU_DEP_3)
	v_pack_b32_f16 v97, v97, v103
	v_lshrrev_b32_e32 v103, 8, v19
	v_bfe_i32 v19, v19, 0, 8
	v_pk_mul_f16 v97, v97, v99
	s_delay_alu instid0(VALU_DEP_3) | instskip(NEXT) | instid1(VALU_DEP_3)
	v_bfe_i32 v103, v103, 0, 8
	v_cvt_f16_i16_e32 v19, v19
	s_delay_alu instid0(VALU_DEP_2) | instskip(NEXT) | instid1(VALU_DEP_1)
	v_cvt_f16_i16_e32 v103, v103
	v_pack_b32_f16 v19, v19, v103
	s_delay_alu instid0(VALU_DEP_1) | instskip(SKIP_1) | instid1(VALU_DEP_1)
	v_pk_mul_f16 v19, v19, v99
	v_ashrrev_i32_e32 v99, v89, v102
	v_and_b32_e32 v99, 0xf0f0f0f, v99
	s_delay_alu instid0(VALU_DEP_1) | instskip(SKIP_2) | instid1(VALU_DEP_3)
	v_lshlrev_b16 v102, 8, v99
	v_and_b32_e32 v103, 0xf00, v99
	v_lshrrev_b32_e32 v99, 16, v99
	v_add_nc_u16 v102, 0xf800, v102
	s_delay_alu instid0(VALU_DEP_1) | instskip(NEXT) | instid1(VALU_DEP_1)
	v_lshrrev_b16 v102, 8, v102
	v_or_b32_e32 v102, v103, v102
	s_delay_alu instid0(VALU_DEP_4) | instskip(SKIP_1) | instid1(VALU_DEP_3)
	v_lshlrev_b16 v103, 8, v99
	v_and_b32_e32 v99, 0xf00, v99
	v_add_nc_u16 v102, 0xf800, v102
	s_delay_alu instid0(VALU_DEP_3) | instskip(NEXT) | instid1(VALU_DEP_1)
	v_add_nc_u16 v103, 0xf800, v103
	v_lshrrev_b16 v103, 8, v103
	s_delay_alu instid0(VALU_DEP_1) | instskip(NEXT) | instid1(VALU_DEP_4)
	v_or_b32_e32 v99, v99, v103
	v_lshrrev_b32_e32 v103, 8, v102
	v_bfe_i32 v102, v102, 0, 8
	s_delay_alu instid0(VALU_DEP_3) | instskip(NEXT) | instid1(VALU_DEP_3)
	v_add_nc_u16 v99, 0xf800, v99
	v_bfe_i32 v103, v103, 0, 8
	s_delay_alu instid0(VALU_DEP_3) | instskip(NEXT) | instid1(VALU_DEP_2)
	v_cvt_f16_i16_e32 v102, v102
	v_cvt_f16_i16_e32 v103, v103
	s_delay_alu instid0(VALU_DEP_1) | instskip(SKIP_2) | instid1(VALU_DEP_3)
	v_pack_b32_f16 v102, v102, v103
	v_lshrrev_b32_e32 v103, 8, v99
	v_bfe_i32 v99, v99, 0, 8
	v_pk_mul_f16 v102, v102, v18
	s_delay_alu instid0(VALU_DEP_3) | instskip(NEXT) | instid1(VALU_DEP_3)
	v_bfe_i32 v103, v103, 0, 8
	v_cvt_f16_i16_e32 v99, v99
	s_delay_alu instid0(VALU_DEP_2) | instskip(NEXT) | instid1(VALU_DEP_1)
	v_cvt_f16_i16_e32 v103, v103
	v_pack_b32_f16 v99, v99, v103
	s_delay_alu instid0(VALU_DEP_1) | instskip(SKIP_1) | instid1(VALU_DEP_1)
	v_pk_mul_f16 v18, v99, v18
	v_mul_u32_u24_e32 v99, 0x10001, v111
	v_pk_fma_f16 v92, v18, v99, v92
	v_add_co_u32 v18, vcc_lo, v59, s6
	v_pk_fma_f16 v23, v19, v99, v23
	s_wait_alu 0xfffd
	v_add_co_ci_u32_e64 v19, null, 0, v63, vcc_lo
	v_pk_fma_f16 v91, v97, v99, v91
	v_pk_fma_f16 v95, v102, v99, v95
	global_load_b32 v97, v[18:19], off
	v_add_co_u32 v18, vcc_lo, v157, s6
	s_wait_alu 0xfffd
	v_add_co_ci_u32_e64 v19, null, 0, v66, vcc_lo
	v_dual_mov_b32 v66, v63 :: v_dual_mov_b32 v63, v59
	v_mov_b32_e32 v59, v60
	global_load_u16 v99, v[18:19], off
	v_add_co_u32 v18, vcc_lo, v255, s6
	s_wait_alu 0xfffd
	v_add_co_ci_u32_e64 v19, null, 0, v64, vcc_lo
	scratch_load_b32 v157, off, off offset:312 ; 4-byte Folded Reload
	global_load_b32 v102, v[18:19], off
	v_add_co_u32 v18, vcc_lo, v58, s6
	s_wait_alu 0xfffd
	v_add_co_ci_u32_e64 v19, null, 0, v60, vcc_lo
	v_mov_b32_e32 v60, v58
	v_mov_b32_e32 v58, v64
	;; [unrolled: 1-line block ×3, first 2 shown]
	global_load_u16 v18, v[18:19], off
	v_mov_b32_e32 v255, v251
	s_wait_loadcnt 0x4
	v_ashrrev_i32_e32 v19, v89, v97
	s_delay_alu instid0(VALU_DEP_1) | instskip(SKIP_2) | instid1(VALU_DEP_2)
	v_and_b32_e32 v19, 0xf0f0f0f, v19
	s_wait_loadcnt 0x3
	v_mul_u32_u24_e32 v99, 0x10001, v99
	v_lshlrev_b16 v97, 8, v19
	v_and_b32_e32 v103, 0xf00, v19
	v_lshrrev_b32_e32 v19, 16, v19
	s_delay_alu instid0(VALU_DEP_3) | instskip(NEXT) | instid1(VALU_DEP_1)
	v_add_nc_u16 v97, 0xf800, v97
	v_lshrrev_b16 v97, 8, v97
	s_wait_loadcnt 0x0
	v_mul_u32_u24_e32 v18, 0x10001, v18
	s_delay_alu instid0(VALU_DEP_2) | instskip(SKIP_2) | instid1(VALU_DEP_3)
	v_or_b32_e32 v97, v103, v97
	v_lshlrev_b16 v103, 8, v19
	v_and_b32_e32 v19, 0xf00, v19
	v_add_nc_u16 v97, 0xf800, v97
	s_delay_alu instid0(VALU_DEP_3) | instskip(NEXT) | instid1(VALU_DEP_1)
	v_add_nc_u16 v103, 0xf800, v103
	v_lshrrev_b16 v103, 8, v103
	s_delay_alu instid0(VALU_DEP_1) | instskip(NEXT) | instid1(VALU_DEP_4)
	v_or_b32_e32 v19, v19, v103
	v_lshrrev_b32_e32 v103, 8, v97
	v_bfe_i32 v97, v97, 0, 8
	s_delay_alu instid0(VALU_DEP_3) | instskip(NEXT) | instid1(VALU_DEP_3)
	v_add_nc_u16 v19, 0xf800, v19
	v_bfe_i32 v103, v103, 0, 8
	s_delay_alu instid0(VALU_DEP_3) | instskip(NEXT) | instid1(VALU_DEP_2)
	v_cvt_f16_i16_e32 v97, v97
	v_cvt_f16_i16_e32 v103, v103
	s_delay_alu instid0(VALU_DEP_1) | instskip(SKIP_2) | instid1(VALU_DEP_3)
	v_pack_b32_f16 v97, v97, v103
	v_lshrrev_b32_e32 v103, 8, v19
	v_bfe_i32 v19, v19, 0, 8
	v_pk_mul_f16 v97, v97, v99
	s_delay_alu instid0(VALU_DEP_3) | instskip(NEXT) | instid1(VALU_DEP_3)
	v_bfe_i32 v103, v103, 0, 8
	v_cvt_f16_i16_e32 v19, v19
	s_delay_alu instid0(VALU_DEP_2) | instskip(NEXT) | instid1(VALU_DEP_1)
	v_cvt_f16_i16_e32 v103, v103
	v_pack_b32_f16 v19, v19, v103
	s_delay_alu instid0(VALU_DEP_1) | instskip(SKIP_1) | instid1(VALU_DEP_1)
	v_pk_mul_f16 v19, v19, v99
	v_ashrrev_i32_e32 v99, v89, v102
	v_and_b32_e32 v99, 0xf0f0f0f, v99
	s_delay_alu instid0(VALU_DEP_1) | instskip(SKIP_2) | instid1(VALU_DEP_3)
	v_lshlrev_b16 v102, 8, v99
	v_and_b32_e32 v103, 0xf00, v99
	v_lshrrev_b32_e32 v99, 16, v99
	v_add_nc_u16 v102, 0xf800, v102
	s_delay_alu instid0(VALU_DEP_1) | instskip(NEXT) | instid1(VALU_DEP_1)
	v_lshrrev_b16 v102, 8, v102
	v_or_b32_e32 v102, v103, v102
	s_delay_alu instid0(VALU_DEP_4) | instskip(SKIP_1) | instid1(VALU_DEP_3)
	v_lshlrev_b16 v103, 8, v99
	v_and_b32_e32 v99, 0xf00, v99
	v_add_nc_u16 v102, 0xf800, v102
	s_delay_alu instid0(VALU_DEP_3) | instskip(NEXT) | instid1(VALU_DEP_1)
	v_add_nc_u16 v103, 0xf800, v103
	v_lshrrev_b16 v103, 8, v103
	s_delay_alu instid0(VALU_DEP_1) | instskip(NEXT) | instid1(VALU_DEP_4)
	v_or_b32_e32 v99, v99, v103
	v_lshrrev_b32_e32 v103, 8, v102
	v_bfe_i32 v102, v102, 0, 8
	s_delay_alu instid0(VALU_DEP_3) | instskip(NEXT) | instid1(VALU_DEP_3)
	v_add_nc_u16 v99, 0xf800, v99
	v_bfe_i32 v103, v103, 0, 8
	s_delay_alu instid0(VALU_DEP_3) | instskip(NEXT) | instid1(VALU_DEP_2)
	v_cvt_f16_i16_e32 v102, v102
	v_cvt_f16_i16_e32 v103, v103
	s_delay_alu instid0(VALU_DEP_1) | instskip(SKIP_2) | instid1(VALU_DEP_3)
	v_pack_b32_f16 v102, v102, v103
	v_lshrrev_b32_e32 v103, 8, v99
	v_bfe_i32 v99, v99, 0, 8
	v_pk_mul_f16 v102, v102, v18
	s_delay_alu instid0(VALU_DEP_3) | instskip(NEXT) | instid1(VALU_DEP_3)
	v_bfe_i32 v103, v103, 0, 8
	v_cvt_f16_i16_e32 v99, v99
	s_delay_alu instid0(VALU_DEP_2) | instskip(NEXT) | instid1(VALU_DEP_1)
	v_cvt_f16_i16_e32 v103, v103
	v_pack_b32_f16 v99, v99, v103
	s_delay_alu instid0(VALU_DEP_1) | instskip(SKIP_2) | instid1(VALU_DEP_2)
	v_pk_mul_f16 v18, v99, v18
	v_mul_u32_u24_e32 v99, 0x10001, v4
	v_mov_b32_e32 v4, v254
	v_pk_fma_f16 v92, v18, v99, v92
	v_add_co_u32 v18, vcc_lo, v252, s6
	v_pk_fma_f16 v23, v19, v99, v23
	s_wait_alu 0xfffd
	v_add_co_ci_u32_e64 v19, null, 0, v253, vcc_lo
	v_pk_fma_f16 v91, v97, v99, v91
	v_pk_fma_f16 v95, v102, v99, v95
	global_load_b32 v97, v[18:19], off
	v_add_co_u32 v18, vcc_lo, v251, s6
	s_wait_alu 0xfffd
	v_add_co_ci_u32_e64 v19, null, 0, v254, vcc_lo
	v_dual_mov_b32 v254, v243 :: v_dual_mov_b32 v251, v247
	global_load_u16 v99, v[18:19], off
	v_add_co_u32 v18, vcc_lo, v248, s6
	s_wait_alu 0xfffd
	v_add_co_ci_u32_e64 v19, null, 0, v249, vcc_lo
	global_load_b32 v102, v[18:19], off
	v_add_co_u32 v18, vcc_lo, v250, s6
	s_wait_alu 0xfffd
	v_add_co_ci_u32_e64 v19, null, 0, v243, vcc_lo
	v_mov_b32_e32 v243, v229
	global_load_u16 v18, v[18:19], off
	s_wait_loadcnt 0x3
	v_ashrrev_i32_e32 v19, v89, v97
	s_delay_alu instid0(VALU_DEP_1) | instskip(SKIP_2) | instid1(VALU_DEP_2)
	v_and_b32_e32 v19, 0xf0f0f0f, v19
	s_wait_loadcnt 0x2
	v_mul_u32_u24_e32 v99, 0x10001, v99
	v_lshlrev_b16 v97, 8, v19
	v_and_b32_e32 v103, 0xf00, v19
	v_lshrrev_b32_e32 v19, 16, v19
	s_delay_alu instid0(VALU_DEP_3) | instskip(NEXT) | instid1(VALU_DEP_1)
	v_add_nc_u16 v97, 0xf800, v97
	v_lshrrev_b16 v97, 8, v97
	s_wait_loadcnt 0x0
	v_mul_u32_u24_e32 v18, 0x10001, v18
	s_delay_alu instid0(VALU_DEP_2) | instskip(SKIP_2) | instid1(VALU_DEP_3)
	v_or_b32_e32 v97, v103, v97
	v_lshlrev_b16 v103, 8, v19
	v_and_b32_e32 v19, 0xf00, v19
	v_add_nc_u16 v97, 0xf800, v97
	s_delay_alu instid0(VALU_DEP_3) | instskip(NEXT) | instid1(VALU_DEP_1)
	v_add_nc_u16 v103, 0xf800, v103
	v_lshrrev_b16 v103, 8, v103
	s_delay_alu instid0(VALU_DEP_1) | instskip(NEXT) | instid1(VALU_DEP_4)
	v_or_b32_e32 v19, v19, v103
	v_lshrrev_b32_e32 v103, 8, v97
	v_bfe_i32 v97, v97, 0, 8
	s_delay_alu instid0(VALU_DEP_3) | instskip(NEXT) | instid1(VALU_DEP_3)
	v_add_nc_u16 v19, 0xf800, v19
	v_bfe_i32 v103, v103, 0, 8
	s_delay_alu instid0(VALU_DEP_3) | instskip(NEXT) | instid1(VALU_DEP_2)
	v_cvt_f16_i16_e32 v97, v97
	v_cvt_f16_i16_e32 v103, v103
	s_delay_alu instid0(VALU_DEP_1) | instskip(SKIP_2) | instid1(VALU_DEP_3)
	v_pack_b32_f16 v97, v97, v103
	v_lshrrev_b32_e32 v103, 8, v19
	v_bfe_i32 v19, v19, 0, 8
	v_pk_mul_f16 v97, v97, v99
	s_delay_alu instid0(VALU_DEP_3) | instskip(NEXT) | instid1(VALU_DEP_3)
	v_bfe_i32 v103, v103, 0, 8
	v_cvt_f16_i16_e32 v19, v19
	s_delay_alu instid0(VALU_DEP_2) | instskip(NEXT) | instid1(VALU_DEP_1)
	v_cvt_f16_i16_e32 v103, v103
	v_pack_b32_f16 v19, v19, v103
	s_delay_alu instid0(VALU_DEP_1) | instskip(SKIP_1) | instid1(VALU_DEP_1)
	v_pk_mul_f16 v19, v19, v99
	v_ashrrev_i32_e32 v99, v89, v102
	v_and_b32_e32 v99, 0xf0f0f0f, v99
	s_delay_alu instid0(VALU_DEP_1) | instskip(SKIP_2) | instid1(VALU_DEP_3)
	v_lshlrev_b16 v102, 8, v99
	v_and_b32_e32 v103, 0xf00, v99
	v_lshrrev_b32_e32 v99, 16, v99
	v_add_nc_u16 v102, 0xf800, v102
	s_delay_alu instid0(VALU_DEP_1) | instskip(NEXT) | instid1(VALU_DEP_1)
	v_lshrrev_b16 v102, 8, v102
	v_or_b32_e32 v102, v103, v102
	s_delay_alu instid0(VALU_DEP_4) | instskip(SKIP_1) | instid1(VALU_DEP_3)
	v_lshlrev_b16 v103, 8, v99
	v_and_b32_e32 v99, 0xf00, v99
	v_add_nc_u16 v102, 0xf800, v102
	s_delay_alu instid0(VALU_DEP_3) | instskip(NEXT) | instid1(VALU_DEP_1)
	v_add_nc_u16 v103, 0xf800, v103
	v_lshrrev_b16 v103, 8, v103
	s_delay_alu instid0(VALU_DEP_1) | instskip(NEXT) | instid1(VALU_DEP_4)
	v_or_b32_e32 v99, v99, v103
	v_lshrrev_b32_e32 v103, 8, v102
	v_bfe_i32 v102, v102, 0, 8
	s_delay_alu instid0(VALU_DEP_3) | instskip(NEXT) | instid1(VALU_DEP_3)
	v_add_nc_u16 v99, 0xf800, v99
	v_bfe_i32 v103, v103, 0, 8
	s_delay_alu instid0(VALU_DEP_3) | instskip(NEXT) | instid1(VALU_DEP_2)
	v_cvt_f16_i16_e32 v102, v102
	v_cvt_f16_i16_e32 v103, v103
	s_delay_alu instid0(VALU_DEP_1) | instskip(SKIP_2) | instid1(VALU_DEP_3)
	v_pack_b32_f16 v102, v102, v103
	v_lshrrev_b32_e32 v103, 8, v99
	v_bfe_i32 v99, v99, 0, 8
	v_pk_mul_f16 v102, v102, v18
	s_delay_alu instid0(VALU_DEP_3) | instskip(NEXT) | instid1(VALU_DEP_3)
	v_bfe_i32 v103, v103, 0, 8
	v_cvt_f16_i16_e32 v99, v99
	s_delay_alu instid0(VALU_DEP_2) | instskip(NEXT) | instid1(VALU_DEP_1)
	v_cvt_f16_i16_e32 v103, v103
	v_pack_b32_f16 v99, v99, v103
	s_delay_alu instid0(VALU_DEP_1) | instskip(SKIP_1) | instid1(VALU_DEP_1)
	v_pk_mul_f16 v18, v99, v18
	v_mul_u32_u24_e32 v99, 0x10001, v110
	v_pk_fma_f16 v92, v18, v99, v92
	v_add_co_u32 v18, vcc_lo, v244, s6
	v_pk_fma_f16 v23, v19, v99, v23
	s_wait_alu 0xfffd
	v_add_co_ci_u32_e64 v19, null, 0, v245, vcc_lo
	v_pk_fma_f16 v91, v97, v99, v91
	v_pk_fma_f16 v95, v102, v99, v95
	global_load_b32 v97, v[18:19], off
	v_add_co_u32 v18, vcc_lo, v246, s6
	s_wait_alu 0xfffd
	v_add_co_ci_u32_e64 v19, null, 0, v247, vcc_lo
	v_dual_mov_b32 v247, v246 :: v_dual_mov_b32 v246, v239
	global_load_u16 v99, v[18:19], off
	v_add_co_u32 v18, vcc_lo, v240, s6
	s_wait_alu 0xfffd
	v_add_co_ci_u32_e64 v19, null, 0, v241, vcc_lo
	global_load_b32 v102, v[18:19], off
	v_add_co_u32 v18, vcc_lo, v229, s6
	s_wait_alu 0xfffd
	v_add_co_ci_u32_e64 v19, null, 0, v242, vcc_lo
	v_mov_b32_e32 v229, v211
	global_load_u16 v18, v[18:19], off
	s_wait_loadcnt 0x3
	v_ashrrev_i32_e32 v19, v89, v97
	s_delay_alu instid0(VALU_DEP_1) | instskip(SKIP_2) | instid1(VALU_DEP_2)
	v_and_b32_e32 v19, 0xf0f0f0f, v19
	s_wait_loadcnt 0x2
	v_mul_u32_u24_e32 v99, 0x10001, v99
	v_lshlrev_b16 v97, 8, v19
	v_and_b32_e32 v103, 0xf00, v19
	v_lshrrev_b32_e32 v19, 16, v19
	s_delay_alu instid0(VALU_DEP_3) | instskip(NEXT) | instid1(VALU_DEP_1)
	v_add_nc_u16 v97, 0xf800, v97
	v_lshrrev_b16 v97, 8, v97
	s_wait_loadcnt 0x0
	v_mul_u32_u24_e32 v18, 0x10001, v18
	s_delay_alu instid0(VALU_DEP_2) | instskip(SKIP_2) | instid1(VALU_DEP_3)
	v_or_b32_e32 v97, v103, v97
	v_lshlrev_b16 v103, 8, v19
	v_and_b32_e32 v19, 0xf00, v19
	v_add_nc_u16 v97, 0xf800, v97
	s_delay_alu instid0(VALU_DEP_3) | instskip(NEXT) | instid1(VALU_DEP_1)
	v_add_nc_u16 v103, 0xf800, v103
	v_lshrrev_b16 v103, 8, v103
	s_delay_alu instid0(VALU_DEP_1) | instskip(NEXT) | instid1(VALU_DEP_4)
	v_or_b32_e32 v19, v19, v103
	v_lshrrev_b32_e32 v103, 8, v97
	v_bfe_i32 v97, v97, 0, 8
	s_delay_alu instid0(VALU_DEP_3) | instskip(NEXT) | instid1(VALU_DEP_3)
	v_add_nc_u16 v19, 0xf800, v19
	v_bfe_i32 v103, v103, 0, 8
	s_delay_alu instid0(VALU_DEP_3) | instskip(NEXT) | instid1(VALU_DEP_2)
	v_cvt_f16_i16_e32 v97, v97
	v_cvt_f16_i16_e32 v103, v103
	s_delay_alu instid0(VALU_DEP_1) | instskip(SKIP_2) | instid1(VALU_DEP_3)
	v_pack_b32_f16 v97, v97, v103
	v_lshrrev_b32_e32 v103, 8, v19
	v_bfe_i32 v19, v19, 0, 8
	v_pk_mul_f16 v97, v97, v99
	s_delay_alu instid0(VALU_DEP_3) | instskip(NEXT) | instid1(VALU_DEP_3)
	v_bfe_i32 v103, v103, 0, 8
	v_cvt_f16_i16_e32 v19, v19
	s_delay_alu instid0(VALU_DEP_2) | instskip(NEXT) | instid1(VALU_DEP_1)
	v_cvt_f16_i16_e32 v103, v103
	v_pack_b32_f16 v19, v19, v103
	s_delay_alu instid0(VALU_DEP_1) | instskip(SKIP_1) | instid1(VALU_DEP_1)
	v_pk_mul_f16 v19, v19, v99
	v_ashrrev_i32_e32 v99, v89, v102
	v_and_b32_e32 v99, 0xf0f0f0f, v99
	s_delay_alu instid0(VALU_DEP_1) | instskip(SKIP_2) | instid1(VALU_DEP_3)
	v_lshlrev_b16 v102, 8, v99
	v_and_b32_e32 v103, 0xf00, v99
	v_lshrrev_b32_e32 v99, 16, v99
	v_add_nc_u16 v102, 0xf800, v102
	s_delay_alu instid0(VALU_DEP_1) | instskip(NEXT) | instid1(VALU_DEP_1)
	v_lshrrev_b16 v102, 8, v102
	v_or_b32_e32 v102, v103, v102
	s_delay_alu instid0(VALU_DEP_4) | instskip(SKIP_1) | instid1(VALU_DEP_3)
	v_lshlrev_b16 v103, 8, v99
	v_and_b32_e32 v99, 0xf00, v99
	v_add_nc_u16 v102, 0xf800, v102
	s_delay_alu instid0(VALU_DEP_3) | instskip(NEXT) | instid1(VALU_DEP_1)
	v_add_nc_u16 v103, 0xf800, v103
	v_lshrrev_b16 v103, 8, v103
	s_delay_alu instid0(VALU_DEP_1) | instskip(NEXT) | instid1(VALU_DEP_4)
	v_or_b32_e32 v99, v99, v103
	v_lshrrev_b32_e32 v103, 8, v102
	v_bfe_i32 v102, v102, 0, 8
	s_delay_alu instid0(VALU_DEP_3) | instskip(NEXT) | instid1(VALU_DEP_3)
	v_add_nc_u16 v99, 0xf800, v99
	v_bfe_i32 v103, v103, 0, 8
	s_delay_alu instid0(VALU_DEP_3) | instskip(NEXT) | instid1(VALU_DEP_2)
	v_cvt_f16_i16_e32 v102, v102
	v_cvt_f16_i16_e32 v103, v103
	s_delay_alu instid0(VALU_DEP_1) | instskip(SKIP_2) | instid1(VALU_DEP_3)
	v_pack_b32_f16 v102, v102, v103
	v_lshrrev_b32_e32 v103, 8, v99
	v_bfe_i32 v99, v99, 0, 8
	v_pk_mul_f16 v102, v102, v18
	s_delay_alu instid0(VALU_DEP_3) | instskip(NEXT) | instid1(VALU_DEP_3)
	v_bfe_i32 v103, v103, 0, 8
	v_cvt_f16_i16_e32 v99, v99
	s_delay_alu instid0(VALU_DEP_2) | instskip(NEXT) | instid1(VALU_DEP_1)
	v_cvt_f16_i16_e32 v103, v103
	v_pack_b32_f16 v99, v99, v103
	s_delay_alu instid0(VALU_DEP_1) | instskip(SKIP_1) | instid1(VALU_DEP_1)
	v_pk_mul_f16 v18, v99, v18
	v_mul_u32_u24_e32 v99, 0x10001, v101
	v_pk_fma_f16 v92, v18, v99, v92
	v_add_co_u32 v18, vcc_lo, v236, s6
	v_pk_fma_f16 v23, v19, v99, v23
	s_wait_alu 0xfffd
	v_add_co_ci_u32_e64 v19, null, 0, v237, vcc_lo
	v_pk_fma_f16 v91, v97, v99, v91
	v_pk_fma_f16 v95, v102, v99, v95
	global_load_b32 v97, v[18:19], off
	v_add_co_u32 v18, vcc_lo, v238, s6
	s_wait_alu 0xfffd
	v_add_co_ci_u32_e64 v19, null, 0, v239, vcc_lo
	v_mov_b32_e32 v239, v235
	global_load_u16 v99, v[18:19], off
	v_add_co_u32 v18, vcc_lo, v232, s6
	s_wait_alu 0xfffd
	v_add_co_ci_u32_e64 v19, null, 0, v233, vcc_lo
	global_load_b32 v101, v[18:19], off
	v_add_co_u32 v18, vcc_lo, v234, s6
	s_wait_alu 0xfffd
	v_add_co_ci_u32_e64 v19, null, 0, v235, vcc_lo
	v_dual_mov_b32 v235, v234 :: v_dual_mov_b32 v234, v230
	global_load_u16 v18, v[18:19], off
	s_wait_loadcnt 0x3
	v_ashrrev_i32_e32 v19, v89, v97
	s_delay_alu instid0(VALU_DEP_1) | instskip(SKIP_2) | instid1(VALU_DEP_2)
	v_and_b32_e32 v19, 0xf0f0f0f, v19
	s_wait_loadcnt 0x2
	v_mul_u32_u24_e32 v99, 0x10001, v99
	v_lshlrev_b16 v97, 8, v19
	v_and_b32_e32 v102, 0xf00, v19
	v_lshrrev_b32_e32 v19, 16, v19
	s_delay_alu instid0(VALU_DEP_3) | instskip(NEXT) | instid1(VALU_DEP_1)
	v_add_nc_u16 v97, 0xf800, v97
	v_lshrrev_b16 v97, 8, v97
	s_wait_loadcnt 0x0
	v_mul_u32_u24_e32 v18, 0x10001, v18
	s_delay_alu instid0(VALU_DEP_2) | instskip(SKIP_2) | instid1(VALU_DEP_3)
	v_or_b32_e32 v97, v102, v97
	v_lshlrev_b16 v102, 8, v19
	v_and_b32_e32 v19, 0xf00, v19
	v_add_nc_u16 v97, 0xf800, v97
	s_delay_alu instid0(VALU_DEP_3) | instskip(NEXT) | instid1(VALU_DEP_1)
	v_add_nc_u16 v102, 0xf800, v102
	v_lshrrev_b16 v102, 8, v102
	s_delay_alu instid0(VALU_DEP_1) | instskip(NEXT) | instid1(VALU_DEP_4)
	v_or_b32_e32 v19, v19, v102
	v_lshrrev_b32_e32 v102, 8, v97
	v_bfe_i32 v97, v97, 0, 8
	s_delay_alu instid0(VALU_DEP_3) | instskip(NEXT) | instid1(VALU_DEP_3)
	v_add_nc_u16 v19, 0xf800, v19
	v_bfe_i32 v102, v102, 0, 8
	s_delay_alu instid0(VALU_DEP_3) | instskip(NEXT) | instid1(VALU_DEP_2)
	v_cvt_f16_i16_e32 v97, v97
	v_cvt_f16_i16_e32 v102, v102
	s_delay_alu instid0(VALU_DEP_1) | instskip(SKIP_2) | instid1(VALU_DEP_3)
	v_pack_b32_f16 v97, v97, v102
	v_lshrrev_b32_e32 v102, 8, v19
	v_bfe_i32 v19, v19, 0, 8
	v_pk_mul_f16 v97, v97, v99
	s_delay_alu instid0(VALU_DEP_3) | instskip(NEXT) | instid1(VALU_DEP_3)
	v_bfe_i32 v102, v102, 0, 8
	v_cvt_f16_i16_e32 v19, v19
	s_delay_alu instid0(VALU_DEP_2) | instskip(NEXT) | instid1(VALU_DEP_1)
	v_cvt_f16_i16_e32 v102, v102
	v_pack_b32_f16 v19, v19, v102
	s_delay_alu instid0(VALU_DEP_1) | instskip(SKIP_1) | instid1(VALU_DEP_1)
	v_pk_mul_f16 v19, v19, v99
	v_ashrrev_i32_e32 v99, v89, v101
	v_and_b32_e32 v99, 0xf0f0f0f, v99
	s_delay_alu instid0(VALU_DEP_1) | instskip(SKIP_2) | instid1(VALU_DEP_3)
	v_lshlrev_b16 v101, 8, v99
	v_and_b32_e32 v102, 0xf00, v99
	v_lshrrev_b32_e32 v99, 16, v99
	v_add_nc_u16 v101, 0xf800, v101
	s_delay_alu instid0(VALU_DEP_1) | instskip(NEXT) | instid1(VALU_DEP_1)
	v_lshrrev_b16 v101, 8, v101
	v_or_b32_e32 v101, v102, v101
	s_delay_alu instid0(VALU_DEP_4) | instskip(SKIP_1) | instid1(VALU_DEP_3)
	v_lshlrev_b16 v102, 8, v99
	v_and_b32_e32 v99, 0xf00, v99
	v_add_nc_u16 v101, 0xf800, v101
	s_delay_alu instid0(VALU_DEP_3) | instskip(NEXT) | instid1(VALU_DEP_1)
	v_add_nc_u16 v102, 0xf800, v102
	v_lshrrev_b16 v102, 8, v102
	s_delay_alu instid0(VALU_DEP_1) | instskip(NEXT) | instid1(VALU_DEP_4)
	v_or_b32_e32 v99, v99, v102
	v_lshrrev_b32_e32 v102, 8, v101
	v_bfe_i32 v101, v101, 0, 8
	s_delay_alu instid0(VALU_DEP_3) | instskip(NEXT) | instid1(VALU_DEP_3)
	v_add_nc_u16 v99, 0xf800, v99
	v_bfe_i32 v102, v102, 0, 8
	s_delay_alu instid0(VALU_DEP_3) | instskip(NEXT) | instid1(VALU_DEP_2)
	v_cvt_f16_i16_e32 v101, v101
	v_cvt_f16_i16_e32 v102, v102
	s_delay_alu instid0(VALU_DEP_1) | instskip(SKIP_2) | instid1(VALU_DEP_3)
	v_pack_b32_f16 v101, v101, v102
	v_lshrrev_b32_e32 v102, 8, v99
	v_bfe_i32 v99, v99, 0, 8
	v_pk_mul_f16 v101, v101, v18
	s_delay_alu instid0(VALU_DEP_3) | instskip(NEXT) | instid1(VALU_DEP_3)
	v_bfe_i32 v102, v102, 0, 8
	v_cvt_f16_i16_e32 v99, v99
	s_delay_alu instid0(VALU_DEP_2) | instskip(NEXT) | instid1(VALU_DEP_1)
	v_cvt_f16_i16_e32 v102, v102
	v_pack_b32_f16 v99, v99, v102
	s_delay_alu instid0(VALU_DEP_1) | instskip(SKIP_1) | instid1(VALU_DEP_1)
	v_pk_mul_f16 v18, v99, v18
	v_mul_u32_u24_e32 v99, 0x10001, v100
	v_pk_fma_f16 v92, v18, v99, v92
	v_add_co_u32 v18, vcc_lo, v227, s6
	v_pk_fma_f16 v23, v19, v99, v23
	s_wait_alu 0xfffd
	v_add_co_ci_u32_e64 v19, null, 0, v228, vcc_lo
	v_pk_fma_f16 v91, v97, v99, v91
	v_pk_fma_f16 v95, v101, v99, v95
	global_load_b32 v97, v[18:19], off
	v_add_co_u32 v18, vcc_lo, v230, s6
	s_wait_alu 0xfffd
	v_add_co_ci_u32_e64 v19, null, 0, v231, vcc_lo
	v_mov_b32_e32 v230, v226
	global_load_u16 v99, v[18:19], off
	v_add_co_u32 v18, vcc_lo, v224, s6
	s_wait_alu 0xfffd
	v_add_co_ci_u32_e64 v19, null, 0, v225, vcc_lo
	global_load_b32 v100, v[18:19], off
	v_add_co_u32 v18, vcc_lo, v211, s6
	s_wait_alu 0xfffd
	v_add_co_ci_u32_e64 v19, null, 0, v226, vcc_lo
	v_dual_mov_b32 v226, v223 :: v_dual_mov_b32 v211, v207
	v_mov_b32_e32 v207, v201
	global_load_u16 v18, v[18:19], off
	v_dual_mov_b32 v201, v200 :: v_dual_mov_b32 v200, v159
	s_wait_loadcnt 0x3
	v_ashrrev_i32_e32 v19, v89, v97
	s_delay_alu instid0(VALU_DEP_1) | instskip(SKIP_2) | instid1(VALU_DEP_2)
	v_and_b32_e32 v19, 0xf0f0f0f, v19
	s_wait_loadcnt 0x2
	v_mul_u32_u24_e32 v99, 0x10001, v99
	v_lshlrev_b16 v97, 8, v19
	v_and_b32_e32 v101, 0xf00, v19
	v_lshrrev_b32_e32 v19, 16, v19
	s_delay_alu instid0(VALU_DEP_3) | instskip(NEXT) | instid1(VALU_DEP_1)
	v_add_nc_u16 v97, 0xf800, v97
	v_lshrrev_b16 v97, 8, v97
	s_wait_loadcnt 0x0
	v_mul_u32_u24_e32 v18, 0x10001, v18
	s_delay_alu instid0(VALU_DEP_2) | instskip(SKIP_2) | instid1(VALU_DEP_3)
	v_or_b32_e32 v97, v101, v97
	v_lshlrev_b16 v101, 8, v19
	v_and_b32_e32 v19, 0xf00, v19
	v_add_nc_u16 v97, 0xf800, v97
	s_delay_alu instid0(VALU_DEP_3) | instskip(NEXT) | instid1(VALU_DEP_1)
	v_add_nc_u16 v101, 0xf800, v101
	v_lshrrev_b16 v101, 8, v101
	s_delay_alu instid0(VALU_DEP_1) | instskip(NEXT) | instid1(VALU_DEP_4)
	v_or_b32_e32 v19, v19, v101
	v_lshrrev_b32_e32 v101, 8, v97
	v_bfe_i32 v97, v97, 0, 8
	s_delay_alu instid0(VALU_DEP_3) | instskip(NEXT) | instid1(VALU_DEP_3)
	v_add_nc_u16 v19, 0xf800, v19
	v_bfe_i32 v101, v101, 0, 8
	s_delay_alu instid0(VALU_DEP_3) | instskip(NEXT) | instid1(VALU_DEP_2)
	v_cvt_f16_i16_e32 v97, v97
	v_cvt_f16_i16_e32 v101, v101
	s_delay_alu instid0(VALU_DEP_1) | instskip(SKIP_2) | instid1(VALU_DEP_3)
	v_pack_b32_f16 v97, v97, v101
	v_lshrrev_b32_e32 v101, 8, v19
	v_bfe_i32 v19, v19, 0, 8
	v_pk_mul_f16 v97, v97, v99
	s_delay_alu instid0(VALU_DEP_3) | instskip(NEXT) | instid1(VALU_DEP_3)
	v_bfe_i32 v101, v101, 0, 8
	v_cvt_f16_i16_e32 v19, v19
	s_delay_alu instid0(VALU_DEP_3) | instskip(NEXT) | instid1(VALU_DEP_3)
	v_pk_fma_f16 v91, v97, v98, v91
	v_cvt_f16_i16_e32 v101, v101
	s_delay_alu instid0(VALU_DEP_1) | instskip(NEXT) | instid1(VALU_DEP_1)
	v_pack_b32_f16 v19, v19, v101
	v_pk_mul_f16 v19, v19, v99
	v_ashrrev_i32_e32 v99, v89, v100
	s_delay_alu instid0(VALU_DEP_2) | instskip(NEXT) | instid1(VALU_DEP_2)
	v_pk_fma_f16 v23, v19, v98, v23
	v_and_b32_e32 v99, 0xf0f0f0f, v99
	s_delay_alu instid0(VALU_DEP_1) | instskip(SKIP_2) | instid1(VALU_DEP_3)
	v_lshlrev_b16 v100, 8, v99
	v_and_b32_e32 v101, 0xf00, v99
	v_lshrrev_b32_e32 v99, 16, v99
	v_add_nc_u16 v100, 0xf800, v100
	s_delay_alu instid0(VALU_DEP_1) | instskip(NEXT) | instid1(VALU_DEP_1)
	v_lshrrev_b16 v100, 8, v100
	v_or_b32_e32 v100, v101, v100
	s_delay_alu instid0(VALU_DEP_4) | instskip(SKIP_1) | instid1(VALU_DEP_3)
	v_lshlrev_b16 v101, 8, v99
	v_and_b32_e32 v99, 0xf00, v99
	v_add_nc_u16 v100, 0xf800, v100
	s_delay_alu instid0(VALU_DEP_3) | instskip(NEXT) | instid1(VALU_DEP_1)
	v_add_nc_u16 v101, 0xf800, v101
	v_lshrrev_b16 v101, 8, v101
	s_delay_alu instid0(VALU_DEP_1) | instskip(NEXT) | instid1(VALU_DEP_4)
	v_or_b32_e32 v99, v99, v101
	v_lshrrev_b32_e32 v101, 8, v100
	v_bfe_i32 v100, v100, 0, 8
	s_delay_alu instid0(VALU_DEP_3) | instskip(NEXT) | instid1(VALU_DEP_3)
	v_add_nc_u16 v99, 0xf800, v99
	v_bfe_i32 v101, v101, 0, 8
	s_delay_alu instid0(VALU_DEP_3) | instskip(NEXT) | instid1(VALU_DEP_2)
	v_cvt_f16_i16_e32 v100, v100
	v_cvt_f16_i16_e32 v101, v101
	s_delay_alu instid0(VALU_DEP_1) | instskip(SKIP_2) | instid1(VALU_DEP_3)
	v_pack_b32_f16 v100, v100, v101
	v_lshrrev_b32_e32 v101, 8, v99
	v_bfe_i32 v99, v99, 0, 8
	v_pk_mul_f16 v100, v100, v18
	s_delay_alu instid0(VALU_DEP_3) | instskip(NEXT) | instid1(VALU_DEP_3)
	v_bfe_i32 v101, v101, 0, 8
	v_cvt_f16_i16_e32 v99, v99
	s_delay_alu instid0(VALU_DEP_3) | instskip(NEXT) | instid1(VALU_DEP_3)
	v_pk_fma_f16 v95, v100, v98, v95
	v_cvt_f16_i16_e32 v101, v101
	s_delay_alu instid0(VALU_DEP_1) | instskip(NEXT) | instid1(VALU_DEP_1)
	v_pack_b32_f16 v99, v99, v101
	v_pk_mul_f16 v18, v99, v18
	s_delay_alu instid0(VALU_DEP_1)
	v_pk_fma_f16 v92, v18, v98, v92
	v_add_co_u32 v18, vcc_lo, v220, s6
	s_wait_alu 0xfffd
	v_add_co_ci_u32_e64 v19, null, 0, v221, vcc_lo
	global_load_b32 v97, v[18:19], off
	v_add_co_u32 v18, vcc_lo, v222, s6
	s_wait_alu 0xfffd
	v_add_co_ci_u32_e64 v19, null, 0, v223, vcc_lo
	v_dual_mov_b32 v223, v222 :: v_dual_mov_b32 v222, v219
	global_load_u16 v98, v[18:19], off
	v_add_co_u32 v18, vcc_lo, v216, s6
	s_wait_alu 0xfffd
	v_add_co_ci_u32_e64 v19, null, 0, v217, vcc_lo
	global_load_b32 v99, v[18:19], off
	v_add_co_u32 v18, vcc_lo, v218, s6
	s_wait_alu 0xfffd
	v_add_co_ci_u32_e64 v19, null, 0, v219, vcc_lo
	v_dual_mov_b32 v219, v218 :: v_dual_mov_b32 v218, v213
	global_load_u16 v18, v[18:19], off
	s_wait_loadcnt 0x3
	v_ashrrev_i32_e32 v19, v89, v97
	s_delay_alu instid0(VALU_DEP_1) | instskip(SKIP_2) | instid1(VALU_DEP_2)
	v_and_b32_e32 v19, 0xf0f0f0f, v19
	s_wait_loadcnt 0x2
	v_mul_u32_u24_e32 v98, 0x10001, v98
	v_lshlrev_b16 v97, 8, v19
	v_and_b32_e32 v100, 0xf00, v19
	v_lshrrev_b32_e32 v19, 16, v19
	s_delay_alu instid0(VALU_DEP_3) | instskip(NEXT) | instid1(VALU_DEP_1)
	v_add_nc_u16 v97, 0xf800, v97
	v_lshrrev_b16 v97, 8, v97
	s_wait_loadcnt 0x0
	v_mul_u32_u24_e32 v18, 0x10001, v18
	s_delay_alu instid0(VALU_DEP_2) | instskip(SKIP_2) | instid1(VALU_DEP_3)
	v_or_b32_e32 v97, v100, v97
	v_lshlrev_b16 v100, 8, v19
	v_and_b32_e32 v19, 0xf00, v19
	v_add_nc_u16 v97, 0xf800, v97
	s_delay_alu instid0(VALU_DEP_3) | instskip(NEXT) | instid1(VALU_DEP_1)
	v_add_nc_u16 v100, 0xf800, v100
	v_lshrrev_b16 v100, 8, v100
	s_delay_alu instid0(VALU_DEP_1) | instskip(NEXT) | instid1(VALU_DEP_4)
	v_or_b32_e32 v19, v19, v100
	v_lshrrev_b32_e32 v100, 8, v97
	v_bfe_i32 v97, v97, 0, 8
	s_delay_alu instid0(VALU_DEP_3) | instskip(NEXT) | instid1(VALU_DEP_3)
	v_add_nc_u16 v19, 0xf800, v19
	v_bfe_i32 v100, v100, 0, 8
	s_delay_alu instid0(VALU_DEP_3) | instskip(NEXT) | instid1(VALU_DEP_2)
	v_cvt_f16_i16_e32 v97, v97
	v_cvt_f16_i16_e32 v100, v100
	s_delay_alu instid0(VALU_DEP_1) | instskip(SKIP_2) | instid1(VALU_DEP_3)
	v_pack_b32_f16 v97, v97, v100
	v_lshrrev_b32_e32 v100, 8, v19
	v_bfe_i32 v19, v19, 0, 8
	v_pk_mul_f16 v97, v97, v98
	s_delay_alu instid0(VALU_DEP_3) | instskip(NEXT) | instid1(VALU_DEP_3)
	v_bfe_i32 v100, v100, 0, 8
	v_cvt_f16_i16_e32 v19, v19
	s_delay_alu instid0(VALU_DEP_3) | instskip(NEXT) | instid1(VALU_DEP_3)
	v_pk_fma_f16 v91, v97, v96, v91
	v_cvt_f16_i16_e32 v100, v100
	s_delay_alu instid0(VALU_DEP_1) | instskip(NEXT) | instid1(VALU_DEP_1)
	v_pack_b32_f16 v19, v19, v100
	v_pk_mul_f16 v19, v19, v98
	v_ashrrev_i32_e32 v98, v89, v99
	s_delay_alu instid0(VALU_DEP_2) | instskip(NEXT) | instid1(VALU_DEP_2)
	v_pk_fma_f16 v23, v19, v96, v23
	v_and_b32_e32 v98, 0xf0f0f0f, v98
	s_delay_alu instid0(VALU_DEP_1) | instskip(SKIP_2) | instid1(VALU_DEP_3)
	v_lshlrev_b16 v99, 8, v98
	v_and_b32_e32 v100, 0xf00, v98
	v_lshrrev_b32_e32 v98, 16, v98
	v_add_nc_u16 v99, 0xf800, v99
	s_delay_alu instid0(VALU_DEP_1) | instskip(NEXT) | instid1(VALU_DEP_1)
	v_lshrrev_b16 v99, 8, v99
	v_or_b32_e32 v99, v100, v99
	s_delay_alu instid0(VALU_DEP_4) | instskip(SKIP_1) | instid1(VALU_DEP_3)
	v_lshlrev_b16 v100, 8, v98
	v_and_b32_e32 v98, 0xf00, v98
	v_add_nc_u16 v99, 0xf800, v99
	s_delay_alu instid0(VALU_DEP_3) | instskip(NEXT) | instid1(VALU_DEP_1)
	v_add_nc_u16 v100, 0xf800, v100
	v_lshrrev_b16 v100, 8, v100
	s_delay_alu instid0(VALU_DEP_1) | instskip(NEXT) | instid1(VALU_DEP_4)
	v_or_b32_e32 v98, v98, v100
	v_lshrrev_b32_e32 v100, 8, v99
	v_bfe_i32 v99, v99, 0, 8
	s_delay_alu instid0(VALU_DEP_3) | instskip(NEXT) | instid1(VALU_DEP_3)
	v_add_nc_u16 v98, 0xf800, v98
	v_bfe_i32 v100, v100, 0, 8
	s_delay_alu instid0(VALU_DEP_3) | instskip(NEXT) | instid1(VALU_DEP_2)
	v_cvt_f16_i16_e32 v99, v99
	v_cvt_f16_i16_e32 v100, v100
	s_delay_alu instid0(VALU_DEP_1) | instskip(SKIP_2) | instid1(VALU_DEP_3)
	v_pack_b32_f16 v99, v99, v100
	v_lshrrev_b32_e32 v100, 8, v98
	v_bfe_i32 v98, v98, 0, 8
	v_pk_mul_f16 v99, v99, v18
	s_delay_alu instid0(VALU_DEP_3) | instskip(NEXT) | instid1(VALU_DEP_3)
	v_bfe_i32 v100, v100, 0, 8
	v_cvt_f16_i16_e32 v98, v98
	s_delay_alu instid0(VALU_DEP_3) | instskip(NEXT) | instid1(VALU_DEP_3)
	v_pk_fma_f16 v95, v99, v96, v95
	v_cvt_f16_i16_e32 v100, v100
	s_delay_alu instid0(VALU_DEP_1) | instskip(NEXT) | instid1(VALU_DEP_1)
	v_pack_b32_f16 v98, v98, v100
	v_pk_mul_f16 v18, v98, v18
	s_delay_alu instid0(VALU_DEP_1)
	v_pk_fma_f16 v92, v18, v96, v92
	v_add_co_u32 v18, vcc_lo, v212, s6
	s_wait_alu 0xfffd
	v_add_co_ci_u32_e64 v19, null, 0, v213, vcc_lo
	v_dual_mov_b32 v213, v212 :: v_dual_mov_b32 v212, v209
	global_load_b32 v96, v[18:19], off
	v_add_co_u32 v18, vcc_lo, v214, s6
	s_wait_alu 0xfffd
	v_add_co_ci_u32_e64 v19, null, 0, v215, vcc_lo
	global_load_u16 v97, v[18:19], off
	v_add_co_u32 v18, vcc_lo, v208, s6
	s_wait_alu 0xfffd
	v_add_co_ci_u32_e64 v19, null, 0, v209, vcc_lo
	v_dual_mov_b32 v209, v208 :: v_dual_mov_b32 v208, v203
	global_load_b32 v98, v[18:19], off
	v_add_co_u32 v18, vcc_lo, v211, s6
	s_wait_alu 0xfffd
	v_add_co_ci_u32_e64 v19, null, 0, v210, vcc_lo
	global_load_u16 v18, v[18:19], off
	s_wait_loadcnt 0x3
	v_ashrrev_i32_e32 v19, v89, v96
	s_delay_alu instid0(VALU_DEP_1) | instskip(SKIP_2) | instid1(VALU_DEP_2)
	v_and_b32_e32 v19, 0xf0f0f0f, v19
	s_wait_loadcnt 0x2
	v_mul_u32_u24_e32 v97, 0x10001, v97
	v_lshlrev_b16 v96, 8, v19
	v_and_b32_e32 v99, 0xf00, v19
	v_lshrrev_b32_e32 v19, 16, v19
	s_delay_alu instid0(VALU_DEP_3) | instskip(NEXT) | instid1(VALU_DEP_1)
	v_add_nc_u16 v96, 0xf800, v96
	v_lshrrev_b16 v96, 8, v96
	s_wait_loadcnt 0x0
	v_mul_u32_u24_e32 v18, 0x10001, v18
	s_delay_alu instid0(VALU_DEP_2) | instskip(SKIP_2) | instid1(VALU_DEP_3)
	v_or_b32_e32 v96, v99, v96
	v_lshlrev_b16 v99, 8, v19
	v_and_b32_e32 v19, 0xf00, v19
	v_add_nc_u16 v96, 0xf800, v96
	s_delay_alu instid0(VALU_DEP_3) | instskip(NEXT) | instid1(VALU_DEP_1)
	v_add_nc_u16 v99, 0xf800, v99
	v_lshrrev_b16 v99, 8, v99
	s_delay_alu instid0(VALU_DEP_1) | instskip(NEXT) | instid1(VALU_DEP_4)
	v_or_b32_e32 v19, v19, v99
	v_lshrrev_b32_e32 v99, 8, v96
	v_bfe_i32 v96, v96, 0, 8
	s_delay_alu instid0(VALU_DEP_3) | instskip(NEXT) | instid1(VALU_DEP_3)
	v_add_nc_u16 v19, 0xf800, v19
	v_bfe_i32 v99, v99, 0, 8
	s_delay_alu instid0(VALU_DEP_3) | instskip(NEXT) | instid1(VALU_DEP_2)
	v_cvt_f16_i16_e32 v96, v96
	v_cvt_f16_i16_e32 v99, v99
	s_delay_alu instid0(VALU_DEP_1) | instskip(SKIP_2) | instid1(VALU_DEP_3)
	v_pack_b32_f16 v96, v96, v99
	v_lshrrev_b32_e32 v99, 8, v19
	v_bfe_i32 v19, v19, 0, 8
	v_pk_mul_f16 v96, v96, v97
	s_delay_alu instid0(VALU_DEP_3) | instskip(NEXT) | instid1(VALU_DEP_3)
	v_bfe_i32 v99, v99, 0, 8
	v_cvt_f16_i16_e32 v19, v19
	s_delay_alu instid0(VALU_DEP_3) | instskip(NEXT) | instid1(VALU_DEP_3)
	v_pk_fma_f16 v91, v96, v94, v91
	v_cvt_f16_i16_e32 v99, v99
	s_delay_alu instid0(VALU_DEP_1) | instskip(NEXT) | instid1(VALU_DEP_1)
	v_pack_b32_f16 v19, v19, v99
	v_pk_mul_f16 v19, v19, v97
	v_ashrrev_i32_e32 v97, v89, v98
	s_delay_alu instid0(VALU_DEP_2) | instskip(NEXT) | instid1(VALU_DEP_2)
	v_pk_fma_f16 v23, v19, v94, v23
	v_and_b32_e32 v97, 0xf0f0f0f, v97
	s_delay_alu instid0(VALU_DEP_1) | instskip(SKIP_2) | instid1(VALU_DEP_3)
	v_lshlrev_b16 v98, 8, v97
	v_and_b32_e32 v99, 0xf00, v97
	v_lshrrev_b32_e32 v97, 16, v97
	v_add_nc_u16 v98, 0xf800, v98
	s_delay_alu instid0(VALU_DEP_1) | instskip(NEXT) | instid1(VALU_DEP_1)
	v_lshrrev_b16 v98, 8, v98
	v_or_b32_e32 v98, v99, v98
	s_delay_alu instid0(VALU_DEP_4) | instskip(SKIP_1) | instid1(VALU_DEP_3)
	v_lshlrev_b16 v99, 8, v97
	v_and_b32_e32 v97, 0xf00, v97
	v_add_nc_u16 v98, 0xf800, v98
	s_delay_alu instid0(VALU_DEP_3) | instskip(NEXT) | instid1(VALU_DEP_1)
	v_add_nc_u16 v99, 0xf800, v99
	v_lshrrev_b16 v99, 8, v99
	s_delay_alu instid0(VALU_DEP_1) | instskip(NEXT) | instid1(VALU_DEP_4)
	v_or_b32_e32 v97, v97, v99
	v_lshrrev_b32_e32 v99, 8, v98
	v_bfe_i32 v98, v98, 0, 8
	s_delay_alu instid0(VALU_DEP_3) | instskip(NEXT) | instid1(VALU_DEP_3)
	v_add_nc_u16 v97, 0xf800, v97
	v_bfe_i32 v99, v99, 0, 8
	s_delay_alu instid0(VALU_DEP_3) | instskip(NEXT) | instid1(VALU_DEP_2)
	v_cvt_f16_i16_e32 v98, v98
	v_cvt_f16_i16_e32 v99, v99
	s_delay_alu instid0(VALU_DEP_1) | instskip(SKIP_2) | instid1(VALU_DEP_3)
	v_pack_b32_f16 v98, v98, v99
	v_lshrrev_b32_e32 v99, 8, v97
	v_bfe_i32 v97, v97, 0, 8
	v_pk_mul_f16 v98, v98, v18
	s_delay_alu instid0(VALU_DEP_3) | instskip(NEXT) | instid1(VALU_DEP_3)
	v_bfe_i32 v99, v99, 0, 8
	v_cvt_f16_i16_e32 v97, v97
	s_delay_alu instid0(VALU_DEP_3) | instskip(NEXT) | instid1(VALU_DEP_3)
	v_pk_fma_f16 v95, v98, v94, v95
	v_cvt_f16_i16_e32 v99, v99
	s_delay_alu instid0(VALU_DEP_1) | instskip(NEXT) | instid1(VALU_DEP_1)
	v_pack_b32_f16 v97, v97, v99
	v_pk_mul_f16 v18, v97, v18
	s_delay_alu instid0(VALU_DEP_1)
	v_pk_fma_f16 v92, v18, v94, v92
	v_add_co_u32 v18, vcc_lo, v204, s6
	s_wait_alu 0xfffd
	v_add_co_ci_u32_e64 v19, null, 0, v205, vcc_lo
	global_load_b32 v94, v[18:19], off
	v_add_co_u32 v18, vcc_lo, v207, s6
	s_wait_alu 0xfffd
	v_add_co_ci_u32_e64 v19, null, 0, v206, vcc_lo
	global_load_u16 v96, v[18:19], off
	v_add_co_u32 v18, vcc_lo, v201, s6
	s_wait_alu 0xfffd
	v_add_co_ci_u32_e64 v19, null, 0, v198, vcc_lo
	global_load_b32 v97, v[18:19], off
	v_add_co_u32 v18, vcc_lo, v202, s6
	s_wait_alu 0xfffd
	v_add_co_ci_u32_e64 v19, null, 0, v203, vcc_lo
	v_mov_b32_e32 v203, v194
	global_load_u16 v18, v[18:19], off
	s_wait_loadcnt 0x3
	v_ashrrev_i32_e32 v19, v89, v94
	s_delay_alu instid0(VALU_DEP_1) | instskip(SKIP_2) | instid1(VALU_DEP_2)
	v_and_b32_e32 v19, 0xf0f0f0f, v19
	s_wait_loadcnt 0x2
	v_mul_u32_u24_e32 v96, 0x10001, v96
	v_lshlrev_b16 v94, 8, v19
	v_and_b32_e32 v98, 0xf00, v19
	v_lshrrev_b32_e32 v19, 16, v19
	s_delay_alu instid0(VALU_DEP_3) | instskip(NEXT) | instid1(VALU_DEP_1)
	v_add_nc_u16 v94, 0xf800, v94
	v_lshrrev_b16 v94, 8, v94
	s_wait_loadcnt 0x0
	v_mul_u32_u24_e32 v18, 0x10001, v18
	s_delay_alu instid0(VALU_DEP_2) | instskip(SKIP_2) | instid1(VALU_DEP_3)
	v_or_b32_e32 v94, v98, v94
	v_lshlrev_b16 v98, 8, v19
	v_and_b32_e32 v19, 0xf00, v19
	v_add_nc_u16 v94, 0xf800, v94
	s_delay_alu instid0(VALU_DEP_3) | instskip(NEXT) | instid1(VALU_DEP_1)
	v_add_nc_u16 v98, 0xf800, v98
	v_lshrrev_b16 v98, 8, v98
	s_delay_alu instid0(VALU_DEP_1) | instskip(NEXT) | instid1(VALU_DEP_4)
	v_or_b32_e32 v19, v19, v98
	v_lshrrev_b32_e32 v98, 8, v94
	v_bfe_i32 v94, v94, 0, 8
	s_delay_alu instid0(VALU_DEP_3) | instskip(NEXT) | instid1(VALU_DEP_3)
	v_add_nc_u16 v19, 0xf800, v19
	v_bfe_i32 v98, v98, 0, 8
	s_delay_alu instid0(VALU_DEP_3) | instskip(NEXT) | instid1(VALU_DEP_2)
	v_cvt_f16_i16_e32 v94, v94
	v_cvt_f16_i16_e32 v98, v98
	s_delay_alu instid0(VALU_DEP_1) | instskip(SKIP_2) | instid1(VALU_DEP_3)
	v_pack_b32_f16 v94, v94, v98
	v_lshrrev_b32_e32 v98, 8, v19
	v_bfe_i32 v19, v19, 0, 8
	v_pk_mul_f16 v94, v94, v96
	s_delay_alu instid0(VALU_DEP_3) | instskip(NEXT) | instid1(VALU_DEP_3)
	v_bfe_i32 v98, v98, 0, 8
	v_cvt_f16_i16_e32 v19, v19
	s_delay_alu instid0(VALU_DEP_3) | instskip(NEXT) | instid1(VALU_DEP_3)
	v_pk_fma_f16 v91, v94, v93, v91
	v_cvt_f16_i16_e32 v98, v98
	s_delay_alu instid0(VALU_DEP_1) | instskip(NEXT) | instid1(VALU_DEP_1)
	v_pack_b32_f16 v19, v19, v98
	v_pk_mul_f16 v19, v19, v96
	v_ashrrev_i32_e32 v96, v89, v97
	s_delay_alu instid0(VALU_DEP_2) | instskip(NEXT) | instid1(VALU_DEP_2)
	v_pk_fma_f16 v23, v19, v93, v23
	v_and_b32_e32 v96, 0xf0f0f0f, v96
	s_delay_alu instid0(VALU_DEP_1) | instskip(SKIP_2) | instid1(VALU_DEP_3)
	v_lshlrev_b16 v97, 8, v96
	v_and_b32_e32 v98, 0xf00, v96
	v_lshrrev_b32_e32 v96, 16, v96
	v_add_nc_u16 v97, 0xf800, v97
	s_delay_alu instid0(VALU_DEP_1) | instskip(NEXT) | instid1(VALU_DEP_1)
	v_lshrrev_b16 v97, 8, v97
	v_or_b32_e32 v97, v98, v97
	s_delay_alu instid0(VALU_DEP_4) | instskip(SKIP_1) | instid1(VALU_DEP_3)
	v_lshlrev_b16 v98, 8, v96
	v_and_b32_e32 v96, 0xf00, v96
	v_add_nc_u16 v97, 0xf800, v97
	s_delay_alu instid0(VALU_DEP_3) | instskip(NEXT) | instid1(VALU_DEP_1)
	v_add_nc_u16 v98, 0xf800, v98
	v_lshrrev_b16 v98, 8, v98
	s_delay_alu instid0(VALU_DEP_1) | instskip(NEXT) | instid1(VALU_DEP_4)
	v_or_b32_e32 v96, v96, v98
	v_lshrrev_b32_e32 v98, 8, v97
	v_bfe_i32 v97, v97, 0, 8
	s_delay_alu instid0(VALU_DEP_3) | instskip(NEXT) | instid1(VALU_DEP_3)
	v_add_nc_u16 v96, 0xf800, v96
	v_bfe_i32 v98, v98, 0, 8
	s_delay_alu instid0(VALU_DEP_3) | instskip(NEXT) | instid1(VALU_DEP_2)
	v_cvt_f16_i16_e32 v97, v97
	v_cvt_f16_i16_e32 v98, v98
	s_delay_alu instid0(VALU_DEP_1) | instskip(SKIP_2) | instid1(VALU_DEP_3)
	v_pack_b32_f16 v97, v97, v98
	v_lshrrev_b32_e32 v98, 8, v96
	v_bfe_i32 v96, v96, 0, 8
	v_pk_mul_f16 v97, v97, v18
	s_delay_alu instid0(VALU_DEP_3) | instskip(NEXT) | instid1(VALU_DEP_3)
	v_bfe_i32 v98, v98, 0, 8
	v_cvt_f16_i16_e32 v96, v96
	s_delay_alu instid0(VALU_DEP_3) | instskip(NEXT) | instid1(VALU_DEP_3)
	v_pk_fma_f16 v94, v97, v93, v95
	v_cvt_f16_i16_e32 v98, v98
	s_delay_alu instid0(VALU_DEP_1) | instskip(NEXT) | instid1(VALU_DEP_1)
	v_pack_b32_f16 v96, v96, v98
	v_pk_mul_f16 v18, v96, v18
	s_delay_alu instid0(VALU_DEP_1)
	v_pk_fma_f16 v92, v18, v93, v92
	v_add_co_u32 v18, vcc_lo, v196, s6
	s_wait_alu 0xfffd
	v_add_co_ci_u32_e64 v19, null, 0, v197, vcc_lo
	global_load_b32 v93, v[18:19], off
	v_add_co_u32 v18, vcc_lo, v193, s6
	s_wait_alu 0xfffd
	v_add_co_ci_u32_e64 v19, null, 0, v199, vcc_lo
	global_load_u16 v95, v[18:19], off
	v_add_co_u32 v18, vcc_lo, v190, s6
	s_wait_alu 0xfffd
	v_add_co_ci_u32_e64 v19, null, 0, v192, vcc_lo
	global_load_b32 v96, v[18:19], off
	v_add_co_u32 v18, vcc_lo, v194, s6
	s_wait_alu 0xfffd
	v_add_co_ci_u32_e64 v19, null, 0, v195, vcc_lo
	v_mov_b32_e32 v194, v177
	global_load_u16 v18, v[18:19], off
	s_wait_loadcnt 0x3
	v_ashrrev_i32_e32 v19, v89, v93
	s_delay_alu instid0(VALU_DEP_1) | instskip(SKIP_2) | instid1(VALU_DEP_2)
	v_and_b32_e32 v19, 0xf0f0f0f, v19
	s_wait_loadcnt 0x2
	v_mul_u32_u24_e32 v95, 0x10001, v95
	v_lshlrev_b16 v93, 8, v19
	v_and_b32_e32 v97, 0xf00, v19
	v_lshrrev_b32_e32 v19, 16, v19
	s_delay_alu instid0(VALU_DEP_3) | instskip(NEXT) | instid1(VALU_DEP_1)
	v_add_nc_u16 v93, 0xf800, v93
	v_lshrrev_b16 v93, 8, v93
	s_wait_loadcnt 0x0
	v_mul_u32_u24_e32 v18, 0x10001, v18
	s_delay_alu instid0(VALU_DEP_2) | instskip(SKIP_2) | instid1(VALU_DEP_3)
	v_or_b32_e32 v93, v97, v93
	v_lshlrev_b16 v97, 8, v19
	v_and_b32_e32 v19, 0xf00, v19
	v_add_nc_u16 v93, 0xf800, v93
	s_delay_alu instid0(VALU_DEP_3) | instskip(NEXT) | instid1(VALU_DEP_1)
	v_add_nc_u16 v97, 0xf800, v97
	v_lshrrev_b16 v97, 8, v97
	s_delay_alu instid0(VALU_DEP_1) | instskip(NEXT) | instid1(VALU_DEP_4)
	v_or_b32_e32 v19, v19, v97
	v_lshrrev_b32_e32 v97, 8, v93
	v_bfe_i32 v93, v93, 0, 8
	s_delay_alu instid0(VALU_DEP_3) | instskip(NEXT) | instid1(VALU_DEP_3)
	v_add_nc_u16 v19, 0xf800, v19
	v_bfe_i32 v97, v97, 0, 8
	s_delay_alu instid0(VALU_DEP_3) | instskip(NEXT) | instid1(VALU_DEP_2)
	v_cvt_f16_i16_e32 v93, v93
	v_cvt_f16_i16_e32 v97, v97
	s_delay_alu instid0(VALU_DEP_1) | instskip(SKIP_2) | instid1(VALU_DEP_3)
	v_pack_b32_f16 v93, v93, v97
	v_lshrrev_b32_e32 v97, 8, v19
	v_bfe_i32 v19, v19, 0, 8
	v_pk_mul_f16 v93, v93, v95
	s_delay_alu instid0(VALU_DEP_3) | instskip(NEXT) | instid1(VALU_DEP_3)
	v_bfe_i32 v97, v97, 0, 8
	v_cvt_f16_i16_e32 v19, v19
	s_delay_alu instid0(VALU_DEP_3) | instskip(NEXT) | instid1(VALU_DEP_3)
	v_pk_fma_f16 v91, v93, v17, v91
	v_cvt_f16_i16_e32 v97, v97
	s_delay_alu instid0(VALU_DEP_1) | instskip(NEXT) | instid1(VALU_DEP_1)
	v_pack_b32_f16 v19, v19, v97
	v_pk_mul_f16 v19, v19, v95
	v_ashrrev_i32_e32 v95, v89, v96
	s_delay_alu instid0(VALU_DEP_2) | instskip(NEXT) | instid1(VALU_DEP_2)
	v_pk_fma_f16 v19, v19, v17, v23
	v_and_b32_e32 v95, 0xf0f0f0f, v95
	s_delay_alu instid0(VALU_DEP_1) | instskip(SKIP_2) | instid1(VALU_DEP_3)
	v_lshlrev_b16 v96, 8, v95
	v_and_b32_e32 v97, 0xf00, v95
	v_lshrrev_b32_e32 v95, 16, v95
	v_add_nc_u16 v96, 0xf800, v96
	s_delay_alu instid0(VALU_DEP_1) | instskip(NEXT) | instid1(VALU_DEP_1)
	v_lshrrev_b16 v96, 8, v96
	v_or_b32_e32 v96, v97, v96
	s_delay_alu instid0(VALU_DEP_4) | instskip(SKIP_1) | instid1(VALU_DEP_3)
	v_lshlrev_b16 v97, 8, v95
	v_and_b32_e32 v95, 0xf00, v95
	v_add_nc_u16 v96, 0xf800, v96
	s_delay_alu instid0(VALU_DEP_3) | instskip(NEXT) | instid1(VALU_DEP_1)
	v_add_nc_u16 v97, 0xf800, v97
	v_lshrrev_b16 v97, 8, v97
	s_delay_alu instid0(VALU_DEP_1) | instskip(NEXT) | instid1(VALU_DEP_4)
	v_or_b32_e32 v95, v95, v97
	v_lshrrev_b32_e32 v97, 8, v96
	v_bfe_i32 v96, v96, 0, 8
	s_delay_alu instid0(VALU_DEP_3) | instskip(NEXT) | instid1(VALU_DEP_3)
	v_add_nc_u16 v95, 0xf800, v95
	v_bfe_i32 v97, v97, 0, 8
	s_delay_alu instid0(VALU_DEP_3) | instskip(NEXT) | instid1(VALU_DEP_2)
	v_cvt_f16_i16_e32 v96, v96
	v_cvt_f16_i16_e32 v97, v97
	s_delay_alu instid0(VALU_DEP_1) | instskip(SKIP_2) | instid1(VALU_DEP_3)
	v_pack_b32_f16 v96, v96, v97
	v_lshrrev_b32_e32 v97, 8, v95
	v_bfe_i32 v95, v95, 0, 8
	v_pk_mul_f16 v96, v96, v18
	s_delay_alu instid0(VALU_DEP_3) | instskip(NEXT) | instid1(VALU_DEP_3)
	v_bfe_i32 v97, v97, 0, 8
	v_cvt_f16_i16_e32 v95, v95
	s_delay_alu instid0(VALU_DEP_3) | instskip(NEXT) | instid1(VALU_DEP_3)
	v_pk_fma_f16 v23, v96, v17, v94
	v_cvt_f16_i16_e32 v97, v97
	s_delay_alu instid0(VALU_DEP_1) | instskip(NEXT) | instid1(VALU_DEP_1)
	v_pack_b32_f16 v95, v95, v97
	v_pk_mul_f16 v18, v95, v18
	s_delay_alu instid0(VALU_DEP_1)
	v_pk_fma_f16 v92, v18, v17, v92
	v_add_co_u32 v17, vcc_lo, v188, s6
	s_wait_alu 0xfffd
	v_add_co_ci_u32_e64 v18, null, 0, v189, vcc_lo
	global_load_b32 v93, v[17:18], off
	v_add_co_u32 v17, vcc_lo, v177, s6
	s_wait_alu 0xfffd
	v_add_co_ci_u32_e64 v18, null, 0, v191, vcc_lo
	v_mov_b32_e32 v177, v158
	global_load_u16 v94, v[17:18], off
	v_add_co_u32 v17, vcc_lo, v184, s6
	s_wait_alu 0xfffd
	v_add_co_ci_u32_e64 v18, null, 0, v185, vcc_lo
	global_load_b32 v95, v[17:18], off
	v_add_co_u32 v17, vcc_lo, v186, s6
	s_wait_alu 0xfffd
	v_add_co_ci_u32_e64 v18, null, 0, v187, vcc_lo
	global_load_u16 v17, v[17:18], off
	s_wait_loadcnt 0x3
	v_ashrrev_i32_e32 v18, v89, v93
	s_delay_alu instid0(VALU_DEP_1) | instskip(SKIP_2) | instid1(VALU_DEP_2)
	v_and_b32_e32 v18, 0xf0f0f0f, v18
	s_wait_loadcnt 0x2
	v_mul_u32_u24_e32 v94, 0x10001, v94
	v_lshlrev_b16 v93, 8, v18
	v_and_b32_e32 v96, 0xf00, v18
	v_lshrrev_b32_e32 v18, 16, v18
	s_delay_alu instid0(VALU_DEP_3) | instskip(NEXT) | instid1(VALU_DEP_1)
	v_add_nc_u16 v93, 0xf800, v93
	v_lshrrev_b16 v93, 8, v93
	s_wait_loadcnt 0x0
	v_mul_u32_u24_e32 v17, 0x10001, v17
	s_delay_alu instid0(VALU_DEP_2) | instskip(SKIP_2) | instid1(VALU_DEP_3)
	v_or_b32_e32 v93, v96, v93
	v_lshlrev_b16 v96, 8, v18
	v_and_b32_e32 v18, 0xf00, v18
	v_add_nc_u16 v93, 0xf800, v93
	s_delay_alu instid0(VALU_DEP_3) | instskip(NEXT) | instid1(VALU_DEP_1)
	v_add_nc_u16 v96, 0xf800, v96
	v_lshrrev_b16 v96, 8, v96
	s_delay_alu instid0(VALU_DEP_1) | instskip(NEXT) | instid1(VALU_DEP_4)
	v_or_b32_e32 v18, v18, v96
	v_lshrrev_b32_e32 v96, 8, v93
	v_bfe_i32 v93, v93, 0, 8
	s_delay_alu instid0(VALU_DEP_3) | instskip(NEXT) | instid1(VALU_DEP_3)
	v_add_nc_u16 v18, 0xf800, v18
	v_bfe_i32 v96, v96, 0, 8
	s_delay_alu instid0(VALU_DEP_3) | instskip(NEXT) | instid1(VALU_DEP_2)
	v_cvt_f16_i16_e32 v93, v93
	v_cvt_f16_i16_e32 v96, v96
	s_delay_alu instid0(VALU_DEP_1) | instskip(SKIP_2) | instid1(VALU_DEP_3)
	v_pack_b32_f16 v93, v93, v96
	v_lshrrev_b32_e32 v96, 8, v18
	v_bfe_i32 v18, v18, 0, 8
	v_pk_mul_f16 v93, v93, v94
	s_delay_alu instid0(VALU_DEP_3) | instskip(NEXT) | instid1(VALU_DEP_3)
	v_bfe_i32 v96, v96, 0, 8
	v_cvt_f16_i16_e32 v18, v18
	s_delay_alu instid0(VALU_DEP_2) | instskip(NEXT) | instid1(VALU_DEP_1)
	v_cvt_f16_i16_e32 v96, v96
	v_pack_b32_f16 v18, v18, v96
	s_delay_alu instid0(VALU_DEP_1) | instskip(SKIP_1) | instid1(VALU_DEP_1)
	v_pk_mul_f16 v18, v18, v94
	v_ashrrev_i32_e32 v94, v89, v95
	v_and_b32_e32 v94, 0xf0f0f0f, v94
	s_delay_alu instid0(VALU_DEP_1) | instskip(SKIP_2) | instid1(VALU_DEP_3)
	v_lshlrev_b16 v95, 8, v94
	v_and_b32_e32 v96, 0xf00, v94
	v_lshrrev_b32_e32 v94, 16, v94
	v_add_nc_u16 v95, 0xf800, v95
	s_delay_alu instid0(VALU_DEP_1) | instskip(NEXT) | instid1(VALU_DEP_1)
	v_lshrrev_b16 v95, 8, v95
	v_or_b32_e32 v95, v96, v95
	s_delay_alu instid0(VALU_DEP_4) | instskip(SKIP_1) | instid1(VALU_DEP_3)
	v_lshlrev_b16 v96, 8, v94
	v_and_b32_e32 v94, 0xf00, v94
	v_add_nc_u16 v95, 0xf800, v95
	s_delay_alu instid0(VALU_DEP_3) | instskip(NEXT) | instid1(VALU_DEP_1)
	v_add_nc_u16 v96, 0xf800, v96
	v_lshrrev_b16 v96, 8, v96
	s_delay_alu instid0(VALU_DEP_1) | instskip(NEXT) | instid1(VALU_DEP_4)
	v_or_b32_e32 v94, v94, v96
	v_lshrrev_b32_e32 v96, 8, v95
	v_bfe_i32 v95, v95, 0, 8
	s_delay_alu instid0(VALU_DEP_3) | instskip(NEXT) | instid1(VALU_DEP_3)
	v_add_nc_u16 v94, 0xf800, v94
	v_bfe_i32 v96, v96, 0, 8
	s_delay_alu instid0(VALU_DEP_3) | instskip(NEXT) | instid1(VALU_DEP_2)
	v_cvt_f16_i16_e32 v95, v95
	v_cvt_f16_i16_e32 v96, v96
	s_delay_alu instid0(VALU_DEP_1) | instskip(SKIP_2) | instid1(VALU_DEP_3)
	v_pack_b32_f16 v95, v95, v96
	v_lshrrev_b32_e32 v96, 8, v94
	v_bfe_i32 v94, v94, 0, 8
	v_pk_mul_f16 v95, v95, v17
	s_delay_alu instid0(VALU_DEP_3) | instskip(NEXT) | instid1(VALU_DEP_3)
	v_bfe_i32 v96, v96, 0, 8
	v_cvt_f16_i16_e32 v94, v94
	s_delay_alu instid0(VALU_DEP_2) | instskip(NEXT) | instid1(VALU_DEP_1)
	v_cvt_f16_i16_e32 v96, v96
	v_pack_b32_f16 v94, v94, v96
	s_delay_alu instid0(VALU_DEP_1)
	v_pk_mul_f16 v17, v94, v17
	v_mul_u32_u24_e32 v94, 0x10001, v0
	scratch_load_b32 v0, off, off offset:544 th:TH_LOAD_LU ; 4-byte Folded Reload
	v_pk_fma_f16 v92, v17, v94, v92
	v_add_co_u32 v17, vcc_lo, v180, s6
	v_pk_fma_f16 v19, v18, v94, v19
	s_wait_alu 0xfffd
	v_add_co_ci_u32_e64 v18, null, 0, v181, vcc_lo
	v_pk_fma_f16 v91, v93, v94, v91
	v_pk_fma_f16 v23, v95, v94, v23
	global_load_b32 v93, v[17:18], off
	v_add_co_u32 v17, vcc_lo, v182, s6
	s_wait_alu 0xfffd
	v_add_co_ci_u32_e64 v18, null, 0, v183, vcc_lo
	global_load_u16 v94, v[17:18], off
	v_add_co_u32 v17, vcc_lo, v177, s6
	s_wait_alu 0xfffd
	v_add_co_ci_u32_e64 v18, null, 0, v176, vcc_lo
	global_load_b32 v95, v[17:18], off
	v_add_co_u32 v17, vcc_lo, v178, s6
	s_wait_alu 0xfffd
	v_add_co_ci_u32_e64 v18, null, 0, v179, vcc_lo
	global_load_u16 v17, v[17:18], off
	s_wait_loadcnt 0x3
	v_ashrrev_i32_e32 v18, v89, v93
	s_delay_alu instid0(VALU_DEP_1) | instskip(SKIP_2) | instid1(VALU_DEP_2)
	v_and_b32_e32 v18, 0xf0f0f0f, v18
	s_wait_loadcnt 0x2
	v_mul_u32_u24_e32 v94, 0x10001, v94
	v_lshlrev_b16 v93, 8, v18
	v_and_b32_e32 v96, 0xf00, v18
	v_lshrrev_b32_e32 v18, 16, v18
	s_delay_alu instid0(VALU_DEP_3) | instskip(NEXT) | instid1(VALU_DEP_1)
	v_add_nc_u16 v93, 0xf800, v93
	v_lshrrev_b16 v93, 8, v93
	s_wait_loadcnt 0x0
	v_mul_u32_u24_e32 v17, 0x10001, v17
	s_delay_alu instid0(VALU_DEP_2) | instskip(SKIP_2) | instid1(VALU_DEP_3)
	v_or_b32_e32 v93, v96, v93
	v_lshlrev_b16 v96, 8, v18
	v_and_b32_e32 v18, 0xf00, v18
	v_add_nc_u16 v93, 0xf800, v93
	s_delay_alu instid0(VALU_DEP_3) | instskip(NEXT) | instid1(VALU_DEP_1)
	v_add_nc_u16 v96, 0xf800, v96
	v_lshrrev_b16 v96, 8, v96
	s_delay_alu instid0(VALU_DEP_1) | instskip(NEXT) | instid1(VALU_DEP_4)
	v_or_b32_e32 v18, v18, v96
	v_lshrrev_b32_e32 v96, 8, v93
	v_bfe_i32 v93, v93, 0, 8
	s_delay_alu instid0(VALU_DEP_3) | instskip(NEXT) | instid1(VALU_DEP_3)
	v_add_nc_u16 v18, 0xf800, v18
	v_bfe_i32 v96, v96, 0, 8
	s_delay_alu instid0(VALU_DEP_3) | instskip(NEXT) | instid1(VALU_DEP_2)
	v_cvt_f16_i16_e32 v93, v93
	v_cvt_f16_i16_e32 v96, v96
	s_delay_alu instid0(VALU_DEP_1) | instskip(SKIP_2) | instid1(VALU_DEP_3)
	v_pack_b32_f16 v93, v93, v96
	v_lshrrev_b32_e32 v96, 8, v18
	v_bfe_i32 v18, v18, 0, 8
	v_pk_mul_f16 v93, v93, v94
	s_delay_alu instid0(VALU_DEP_3) | instskip(NEXT) | instid1(VALU_DEP_3)
	v_bfe_i32 v96, v96, 0, 8
	v_cvt_f16_i16_e32 v18, v18
	s_delay_alu instid0(VALU_DEP_3) | instskip(NEXT) | instid1(VALU_DEP_3)
	v_pk_fma_f16 v91, v93, v16, v91
	v_cvt_f16_i16_e32 v96, v96
	s_delay_alu instid0(VALU_DEP_1) | instskip(NEXT) | instid1(VALU_DEP_1)
	v_pack_b32_f16 v18, v18, v96
	v_pk_mul_f16 v18, v18, v94
	v_ashrrev_i32_e32 v94, v89, v95
	s_delay_alu instid0(VALU_DEP_2) | instskip(NEXT) | instid1(VALU_DEP_2)
	v_pk_fma_f16 v18, v18, v16, v19
	v_and_b32_e32 v94, 0xf0f0f0f, v94
	s_delay_alu instid0(VALU_DEP_1) | instskip(SKIP_2) | instid1(VALU_DEP_3)
	v_lshlrev_b16 v95, 8, v94
	v_and_b32_e32 v96, 0xf00, v94
	v_lshrrev_b32_e32 v94, 16, v94
	v_add_nc_u16 v95, 0xf800, v95
	s_delay_alu instid0(VALU_DEP_1) | instskip(NEXT) | instid1(VALU_DEP_1)
	v_lshrrev_b16 v95, 8, v95
	v_or_b32_e32 v95, v96, v95
	s_delay_alu instid0(VALU_DEP_4) | instskip(SKIP_1) | instid1(VALU_DEP_3)
	v_lshlrev_b16 v96, 8, v94
	v_and_b32_e32 v94, 0xf00, v94
	v_add_nc_u16 v95, 0xf800, v95
	s_delay_alu instid0(VALU_DEP_3) | instskip(NEXT) | instid1(VALU_DEP_1)
	v_add_nc_u16 v96, 0xf800, v96
	v_lshrrev_b16 v96, 8, v96
	s_delay_alu instid0(VALU_DEP_1) | instskip(NEXT) | instid1(VALU_DEP_4)
	v_or_b32_e32 v94, v94, v96
	v_lshrrev_b32_e32 v96, 8, v95
	v_bfe_i32 v95, v95, 0, 8
	s_delay_alu instid0(VALU_DEP_3) | instskip(NEXT) | instid1(VALU_DEP_3)
	v_add_nc_u16 v94, 0xf800, v94
	v_bfe_i32 v96, v96, 0, 8
	s_delay_alu instid0(VALU_DEP_3) | instskip(NEXT) | instid1(VALU_DEP_2)
	v_cvt_f16_i16_e32 v95, v95
	v_cvt_f16_i16_e32 v96, v96
	s_delay_alu instid0(VALU_DEP_1) | instskip(SKIP_2) | instid1(VALU_DEP_3)
	v_pack_b32_f16 v95, v95, v96
	v_lshrrev_b32_e32 v96, 8, v94
	v_bfe_i32 v94, v94, 0, 8
	v_pk_mul_f16 v95, v95, v17
	s_delay_alu instid0(VALU_DEP_3) | instskip(NEXT) | instid1(VALU_DEP_3)
	v_bfe_i32 v96, v96, 0, 8
	v_cvt_f16_i16_e32 v94, v94
	s_delay_alu instid0(VALU_DEP_3) | instskip(NEXT) | instid1(VALU_DEP_3)
	v_pk_fma_f16 v19, v95, v16, v23
	v_cvt_f16_i16_e32 v96, v96
	s_delay_alu instid0(VALU_DEP_1) | instskip(NEXT) | instid1(VALU_DEP_1)
	v_pack_b32_f16 v94, v94, v96
	v_pk_mul_f16 v17, v94, v17
	s_delay_alu instid0(VALU_DEP_1)
	v_pk_fma_f16 v23, v17, v16, v92
	v_add_co_u32 v16, vcc_lo, v172, s6
	s_wait_alu 0xfffd
	v_add_co_ci_u32_e64 v17, null, 0, v173, vcc_lo
	global_load_b32 v92, v[16:17], off
	v_add_co_u32 v16, vcc_lo, v159, s6
	s_wait_alu 0xfffd
	v_add_co_ci_u32_e64 v17, null, 0, v175, vcc_lo
	v_mov_b32_e32 v159, v140
	global_load_u16 v93, v[16:17], off
	v_add_co_u32 v16, vcc_lo, v168, s6
	s_wait_alu 0xfffd
	v_add_co_ci_u32_e64 v17, null, 0, v169, vcc_lo
	global_load_b32 v94, v[16:17], off
	v_add_co_u32 v16, vcc_lo, v170, s6
	s_wait_alu 0xfffd
	v_add_co_ci_u32_e64 v17, null, 0, v171, vcc_lo
	global_load_u16 v16, v[16:17], off
	s_wait_loadcnt 0x3
	v_ashrrev_i32_e32 v17, v89, v92
	s_delay_alu instid0(VALU_DEP_1) | instskip(SKIP_2) | instid1(VALU_DEP_2)
	v_and_b32_e32 v17, 0xf0f0f0f, v17
	s_wait_loadcnt 0x2
	v_mul_u32_u24_e32 v93, 0x10001, v93
	v_lshlrev_b16 v92, 8, v17
	v_and_b32_e32 v95, 0xf00, v17
	v_lshrrev_b32_e32 v17, 16, v17
	s_delay_alu instid0(VALU_DEP_3) | instskip(NEXT) | instid1(VALU_DEP_1)
	v_add_nc_u16 v92, 0xf800, v92
	v_lshrrev_b16 v92, 8, v92
	s_wait_loadcnt 0x0
	v_mul_u32_u24_e32 v16, 0x10001, v16
	s_delay_alu instid0(VALU_DEP_2) | instskip(SKIP_2) | instid1(VALU_DEP_3)
	v_or_b32_e32 v92, v95, v92
	v_lshlrev_b16 v95, 8, v17
	v_and_b32_e32 v17, 0xf00, v17
	v_add_nc_u16 v92, 0xf800, v92
	s_delay_alu instid0(VALU_DEP_3) | instskip(NEXT) | instid1(VALU_DEP_1)
	v_add_nc_u16 v95, 0xf800, v95
	v_lshrrev_b16 v95, 8, v95
	s_delay_alu instid0(VALU_DEP_1) | instskip(NEXT) | instid1(VALU_DEP_4)
	v_or_b32_e32 v17, v17, v95
	v_lshrrev_b32_e32 v95, 8, v92
	v_bfe_i32 v92, v92, 0, 8
	s_delay_alu instid0(VALU_DEP_3) | instskip(NEXT) | instid1(VALU_DEP_3)
	v_add_nc_u16 v17, 0xf800, v17
	v_bfe_i32 v95, v95, 0, 8
	s_delay_alu instid0(VALU_DEP_3) | instskip(NEXT) | instid1(VALU_DEP_2)
	v_cvt_f16_i16_e32 v92, v92
	v_cvt_f16_i16_e32 v95, v95
	s_delay_alu instid0(VALU_DEP_1) | instskip(SKIP_2) | instid1(VALU_DEP_3)
	v_pack_b32_f16 v92, v92, v95
	v_lshrrev_b32_e32 v95, 8, v17
	v_bfe_i32 v17, v17, 0, 8
	v_pk_mul_f16 v92, v92, v93
	s_delay_alu instid0(VALU_DEP_3) | instskip(NEXT) | instid1(VALU_DEP_3)
	v_bfe_i32 v95, v95, 0, 8
	v_cvt_f16_i16_e32 v17, v17
	s_delay_alu instid0(VALU_DEP_2) | instskip(NEXT) | instid1(VALU_DEP_1)
	v_cvt_f16_i16_e32 v95, v95
	v_pack_b32_f16 v17, v17, v95
	s_delay_alu instid0(VALU_DEP_1) | instskip(SKIP_1) | instid1(VALU_DEP_1)
	v_pk_mul_f16 v17, v17, v93
	v_ashrrev_i32_e32 v93, v89, v94
	v_and_b32_e32 v93, 0xf0f0f0f, v93
	s_delay_alu instid0(VALU_DEP_1) | instskip(SKIP_2) | instid1(VALU_DEP_3)
	v_lshlrev_b16 v94, 8, v93
	v_and_b32_e32 v95, 0xf00, v93
	v_lshrrev_b32_e32 v93, 16, v93
	v_add_nc_u16 v94, 0xf800, v94
	s_delay_alu instid0(VALU_DEP_1) | instskip(NEXT) | instid1(VALU_DEP_1)
	v_lshrrev_b16 v94, 8, v94
	v_or_b32_e32 v94, v95, v94
	s_delay_alu instid0(VALU_DEP_4) | instskip(SKIP_1) | instid1(VALU_DEP_3)
	v_lshlrev_b16 v95, 8, v93
	v_and_b32_e32 v93, 0xf00, v93
	v_add_nc_u16 v94, 0xf800, v94
	s_delay_alu instid0(VALU_DEP_3) | instskip(NEXT) | instid1(VALU_DEP_1)
	v_add_nc_u16 v95, 0xf800, v95
	v_lshrrev_b16 v95, 8, v95
	s_delay_alu instid0(VALU_DEP_1) | instskip(NEXT) | instid1(VALU_DEP_4)
	v_or_b32_e32 v93, v93, v95
	v_lshrrev_b32_e32 v95, 8, v94
	v_bfe_i32 v94, v94, 0, 8
	s_delay_alu instid0(VALU_DEP_3) | instskip(NEXT) | instid1(VALU_DEP_3)
	v_add_nc_u16 v93, 0xf800, v93
	v_bfe_i32 v95, v95, 0, 8
	s_delay_alu instid0(VALU_DEP_3) | instskip(NEXT) | instid1(VALU_DEP_2)
	v_cvt_f16_i16_e32 v94, v94
	v_cvt_f16_i16_e32 v95, v95
	s_delay_alu instid0(VALU_DEP_1) | instskip(SKIP_2) | instid1(VALU_DEP_3)
	v_pack_b32_f16 v94, v94, v95
	v_lshrrev_b32_e32 v95, 8, v93
	v_bfe_i32 v93, v93, 0, 8
	v_pk_mul_f16 v94, v94, v16
	s_delay_alu instid0(VALU_DEP_3) | instskip(NEXT) | instid1(VALU_DEP_3)
	v_bfe_i32 v95, v95, 0, 8
	v_cvt_f16_i16_e32 v93, v93
	s_delay_alu instid0(VALU_DEP_2) | instskip(NEXT) | instid1(VALU_DEP_1)
	v_cvt_f16_i16_e32 v95, v95
	v_pack_b32_f16 v93, v93, v95
	s_delay_alu instid0(VALU_DEP_1) | instskip(SKIP_1) | instid1(VALU_DEP_1)
	v_pk_mul_f16 v16, v93, v16
	v_mul_u32_u24_e32 v93, 0x10001, v0
	v_pk_fma_f16 v23, v16, v93, v23
	v_add_co_u32 v16, vcc_lo, v164, s6
	v_pk_fma_f16 v18, v17, v93, v18
	s_wait_alu 0xfffd
	v_add_co_ci_u32_e64 v17, null, 0, v165, vcc_lo
	v_pk_fma_f16 v91, v92, v93, v91
	v_pk_fma_f16 v19, v94, v93, v19
	global_load_b32 v92, v[16:17], off
	v_add_co_u32 v16, vcc_lo, v166, s6
	s_wait_alu 0xfffd
	v_add_co_ci_u32_e64 v17, null, 0, v167, vcc_lo
	global_load_u16 v93, v[16:17], off
	v_add_co_u32 v16, vcc_lo, v160, s6
	s_wait_alu 0xfffd
	v_add_co_ci_u32_e64 v17, null, 0, v161, vcc_lo
	global_load_b32 v94, v[16:17], off
	v_add_co_u32 v16, vcc_lo, v162, s6
	s_wait_alu 0xfffd
	v_add_co_ci_u32_e64 v17, null, 0, v163, vcc_lo
	global_load_u16 v16, v[16:17], off
	s_wait_loadcnt 0x3
	v_ashrrev_i32_e32 v17, v89, v92
	s_delay_alu instid0(VALU_DEP_1) | instskip(SKIP_2) | instid1(VALU_DEP_2)
	v_and_b32_e32 v17, 0xf0f0f0f, v17
	s_wait_loadcnt 0x2
	v_mul_u32_u24_e32 v93, 0x10001, v93
	v_lshlrev_b16 v92, 8, v17
	v_and_b32_e32 v95, 0xf00, v17
	v_lshrrev_b32_e32 v17, 16, v17
	s_delay_alu instid0(VALU_DEP_3) | instskip(NEXT) | instid1(VALU_DEP_1)
	v_add_nc_u16 v92, 0xf800, v92
	v_lshrrev_b16 v92, 8, v92
	s_wait_loadcnt 0x0
	v_mul_u32_u24_e32 v16, 0x10001, v16
	s_delay_alu instid0(VALU_DEP_2) | instskip(SKIP_2) | instid1(VALU_DEP_3)
	v_or_b32_e32 v92, v95, v92
	v_lshlrev_b16 v95, 8, v17
	v_and_b32_e32 v17, 0xf00, v17
	v_add_nc_u16 v92, 0xf800, v92
	s_delay_alu instid0(VALU_DEP_3) | instskip(NEXT) | instid1(VALU_DEP_1)
	v_add_nc_u16 v95, 0xf800, v95
	v_lshrrev_b16 v95, 8, v95
	s_delay_alu instid0(VALU_DEP_1) | instskip(NEXT) | instid1(VALU_DEP_4)
	v_or_b32_e32 v17, v17, v95
	v_lshrrev_b32_e32 v95, 8, v92
	v_bfe_i32 v92, v92, 0, 8
	s_delay_alu instid0(VALU_DEP_3) | instskip(NEXT) | instid1(VALU_DEP_3)
	v_add_nc_u16 v17, 0xf800, v17
	v_bfe_i32 v95, v95, 0, 8
	s_delay_alu instid0(VALU_DEP_3) | instskip(NEXT) | instid1(VALU_DEP_2)
	v_cvt_f16_i16_e32 v92, v92
	v_cvt_f16_i16_e32 v95, v95
	s_delay_alu instid0(VALU_DEP_1) | instskip(SKIP_2) | instid1(VALU_DEP_3)
	v_pack_b32_f16 v92, v92, v95
	v_lshrrev_b32_e32 v95, 8, v17
	v_bfe_i32 v17, v17, 0, 8
	v_pk_mul_f16 v92, v92, v93
	s_delay_alu instid0(VALU_DEP_3) | instskip(NEXT) | instid1(VALU_DEP_3)
	v_bfe_i32 v95, v95, 0, 8
	v_cvt_f16_i16_e32 v17, v17
	s_delay_alu instid0(VALU_DEP_3) | instskip(NEXT) | instid1(VALU_DEP_3)
	v_pk_fma_f16 v91, v92, v21, v91
	v_cvt_f16_i16_e32 v95, v95
	s_delay_alu instid0(VALU_DEP_1) | instskip(NEXT) | instid1(VALU_DEP_1)
	v_pack_b32_f16 v17, v17, v95
	v_pk_mul_f16 v17, v17, v93
	v_ashrrev_i32_e32 v93, v89, v94
	s_delay_alu instid0(VALU_DEP_2) | instskip(NEXT) | instid1(VALU_DEP_2)
	v_pk_fma_f16 v18, v17, v21, v18
	v_and_b32_e32 v93, 0xf0f0f0f, v93
	s_delay_alu instid0(VALU_DEP_1) | instskip(SKIP_2) | instid1(VALU_DEP_3)
	v_lshlrev_b16 v94, 8, v93
	v_and_b32_e32 v95, 0xf00, v93
	v_lshrrev_b32_e32 v93, 16, v93
	v_add_nc_u16 v94, 0xf800, v94
	s_delay_alu instid0(VALU_DEP_1) | instskip(NEXT) | instid1(VALU_DEP_1)
	v_lshrrev_b16 v94, 8, v94
	v_or_b32_e32 v94, v95, v94
	s_delay_alu instid0(VALU_DEP_4) | instskip(SKIP_1) | instid1(VALU_DEP_3)
	v_lshlrev_b16 v95, 8, v93
	v_and_b32_e32 v93, 0xf00, v93
	v_add_nc_u16 v94, 0xf800, v94
	s_delay_alu instid0(VALU_DEP_3) | instskip(NEXT) | instid1(VALU_DEP_1)
	v_add_nc_u16 v95, 0xf800, v95
	v_lshrrev_b16 v95, 8, v95
	s_delay_alu instid0(VALU_DEP_1) | instskip(NEXT) | instid1(VALU_DEP_4)
	v_or_b32_e32 v93, v93, v95
	v_lshrrev_b32_e32 v95, 8, v94
	v_bfe_i32 v94, v94, 0, 8
	s_delay_alu instid0(VALU_DEP_3) | instskip(NEXT) | instid1(VALU_DEP_3)
	v_add_nc_u16 v93, 0xf800, v93
	v_bfe_i32 v95, v95, 0, 8
	s_delay_alu instid0(VALU_DEP_3) | instskip(NEXT) | instid1(VALU_DEP_2)
	v_cvt_f16_i16_e32 v94, v94
	v_cvt_f16_i16_e32 v95, v95
	s_delay_alu instid0(VALU_DEP_1) | instskip(SKIP_2) | instid1(VALU_DEP_3)
	v_pack_b32_f16 v94, v94, v95
	v_lshrrev_b32_e32 v95, 8, v93
	v_bfe_i32 v93, v93, 0, 8
	v_pk_mul_f16 v94, v94, v16
	s_delay_alu instid0(VALU_DEP_3) | instskip(NEXT) | instid1(VALU_DEP_3)
	v_bfe_i32 v95, v95, 0, 8
	v_cvt_f16_i16_e32 v93, v93
	s_delay_alu instid0(VALU_DEP_3) | instskip(NEXT) | instid1(VALU_DEP_3)
	v_pk_fma_f16 v19, v94, v21, v19
	v_cvt_f16_i16_e32 v95, v95
	s_delay_alu instid0(VALU_DEP_1) | instskip(NEXT) | instid1(VALU_DEP_1)
	v_pack_b32_f16 v93, v93, v95
	v_pk_mul_f16 v16, v93, v16
	s_delay_alu instid0(VALU_DEP_1)
	v_pk_fma_f16 v21, v16, v21, v23
	v_add_co_u32 v16, vcc_lo, v156, s6
	s_wait_alu 0xfffd
	v_add_co_ci_u32_e64 v17, null, 0, v157, vcc_lo
	global_load_b32 v23, v[16:17], off
	s_clause 0x1
	scratch_load_b32 v155, off, off offset:316
	scratch_load_b32 v158, off, off offset:320
	s_wait_loadcnt 0x1
	v_add_co_u32 v16, vcc_lo, v155, s6
	s_wait_loadcnt 0x0
	s_wait_alu 0xfffd
	v_add_co_ci_u32_e64 v17, null, 0, v158, vcc_lo
	global_load_u16 v92, v[16:17], off
	s_clause 0x1
	scratch_load_b32 v153, off, off offset:292
	scratch_load_b32 v112, off, off offset:296
	s_wait_loadcnt 0x2
	v_mul_u32_u24_e32 v92, 0x10001, v92
	s_wait_loadcnt 0x1
	v_add_co_u32 v16, vcc_lo, v153, s6
	s_wait_loadcnt 0x0
	s_wait_alu 0xfffd
	v_add_co_ci_u32_e64 v17, null, 0, v112, vcc_lo
	global_load_b32 v93, v[16:17], off
	s_clause 0x4
	scratch_load_b32 v143, off, off offset:300
	scratch_load_b32 v113, off, off offset:304
	scratch_load_b32 v0, off, off offset:528 th:TH_LOAD_LU
	scratch_load_b32 v148, off, off offset:276
	scratch_load_b32 v110, off, off offset:280
	s_wait_loadcnt 0x4
	v_add_co_u32 v16, vcc_lo, v143, s6
	s_wait_loadcnt 0x3
	s_wait_alu 0xfffd
	v_add_co_ci_u32_e64 v17, null, 0, v113, vcc_lo
	global_load_u16 v16, v[16:17], off
	v_ashrrev_i32_e32 v17, v89, v23
	s_delay_alu instid0(VALU_DEP_1) | instskip(NEXT) | instid1(VALU_DEP_1)
	v_and_b32_e32 v17, 0xf0f0f0f, v17
	v_lshlrev_b16 v23, 8, v17
	v_and_b32_e32 v94, 0xf00, v17
	v_lshrrev_b32_e32 v17, 16, v17
	s_delay_alu instid0(VALU_DEP_3) | instskip(NEXT) | instid1(VALU_DEP_1)
	v_add_nc_u16 v23, 0xf800, v23
	v_lshrrev_b16 v23, 8, v23
	s_delay_alu instid0(VALU_DEP_1) | instskip(NEXT) | instid1(VALU_DEP_4)
	v_or_b32_e32 v23, v94, v23
	v_lshlrev_b16 v94, 8, v17
	v_and_b32_e32 v17, 0xf00, v17
	s_delay_alu instid0(VALU_DEP_3) | instskip(NEXT) | instid1(VALU_DEP_3)
	v_add_nc_u16 v23, 0xf800, v23
	v_add_nc_u16 v94, 0xf800, v94
	s_delay_alu instid0(VALU_DEP_1) | instskip(NEXT) | instid1(VALU_DEP_1)
	v_lshrrev_b16 v94, 8, v94
	v_or_b32_e32 v17, v17, v94
	s_delay_alu instid0(VALU_DEP_4) | instskip(SKIP_1) | instid1(VALU_DEP_3)
	v_lshrrev_b32_e32 v94, 8, v23
	v_bfe_i32 v23, v23, 0, 8
	v_add_nc_u16 v17, 0xf800, v17
	s_delay_alu instid0(VALU_DEP_3) | instskip(NEXT) | instid1(VALU_DEP_3)
	v_bfe_i32 v94, v94, 0, 8
	v_cvt_f16_i16_e32 v23, v23
	s_delay_alu instid0(VALU_DEP_2) | instskip(NEXT) | instid1(VALU_DEP_1)
	v_cvt_f16_i16_e32 v94, v94
	v_pack_b32_f16 v23, v23, v94
	v_lshrrev_b32_e32 v94, 8, v17
	v_bfe_i32 v17, v17, 0, 8
	s_delay_alu instid0(VALU_DEP_3) | instskip(NEXT) | instid1(VALU_DEP_3)
	v_pk_mul_f16 v23, v23, v92
	v_bfe_i32 v94, v94, 0, 8
	s_delay_alu instid0(VALU_DEP_3) | instskip(NEXT) | instid1(VALU_DEP_2)
	v_cvt_f16_i16_e32 v17, v17
	v_cvt_f16_i16_e32 v94, v94
	s_delay_alu instid0(VALU_DEP_1) | instskip(NEXT) | instid1(VALU_DEP_1)
	v_pack_b32_f16 v17, v17, v94
	v_pk_mul_f16 v17, v17, v92
	v_ashrrev_i32_e32 v92, v89, v93
	s_delay_alu instid0(VALU_DEP_1) | instskip(NEXT) | instid1(VALU_DEP_1)
	v_and_b32_e32 v92, 0xf0f0f0f, v92
	v_lshlrev_b16 v93, 8, v92
	v_and_b32_e32 v94, 0xf00, v92
	v_lshrrev_b32_e32 v92, 16, v92
	s_delay_alu instid0(VALU_DEP_3) | instskip(NEXT) | instid1(VALU_DEP_1)
	v_add_nc_u16 v93, 0xf800, v93
	v_lshrrev_b16 v93, 8, v93
	s_delay_alu instid0(VALU_DEP_1) | instskip(NEXT) | instid1(VALU_DEP_4)
	v_or_b32_e32 v93, v94, v93
	v_lshlrev_b16 v94, 8, v92
	v_and_b32_e32 v92, 0xf00, v92
	s_delay_alu instid0(VALU_DEP_3) | instskip(NEXT) | instid1(VALU_DEP_3)
	v_add_nc_u16 v93, 0xf800, v93
	v_add_nc_u16 v94, 0xf800, v94
	s_delay_alu instid0(VALU_DEP_1) | instskip(NEXT) | instid1(VALU_DEP_1)
	v_lshrrev_b16 v94, 8, v94
	v_or_b32_e32 v92, v92, v94
	s_delay_alu instid0(VALU_DEP_4) | instskip(SKIP_1) | instid1(VALU_DEP_3)
	v_lshrrev_b32_e32 v94, 8, v93
	v_bfe_i32 v93, v93, 0, 8
	v_add_nc_u16 v92, 0xf800, v92
	s_delay_alu instid0(VALU_DEP_3) | instskip(NEXT) | instid1(VALU_DEP_3)
	v_bfe_i32 v94, v94, 0, 8
	v_cvt_f16_i16_e32 v93, v93
	s_delay_alu instid0(VALU_DEP_2) | instskip(NEXT) | instid1(VALU_DEP_1)
	v_cvt_f16_i16_e32 v94, v94
	v_pack_b32_f16 v93, v93, v94
	v_lshrrev_b32_e32 v94, 8, v92
	v_bfe_i32 v92, v92, 0, 8
	s_delay_alu instid0(VALU_DEP_2) | instskip(NEXT) | instid1(VALU_DEP_2)
	v_bfe_i32 v94, v94, 0, 8
	v_cvt_f16_i16_e32 v92, v92
	s_delay_alu instid0(VALU_DEP_2) | instskip(NEXT) | instid1(VALU_DEP_1)
	v_cvt_f16_i16_e32 v94, v94
	v_pack_b32_f16 v92, v92, v94
	s_wait_loadcnt 0x0
	v_mul_u32_u24_e32 v16, 0x10001, v16
	s_delay_alu instid0(VALU_DEP_1) | instskip(NEXT) | instid1(VALU_DEP_3)
	v_pk_mul_f16 v93, v93, v16
	v_pk_mul_f16 v16, v92, v16
	v_mul_u32_u24_e32 v92, 0x10001, v0
	v_dual_mov_b32 v0, v85 :: v_dual_mov_b32 v85, v79
	v_mov_b32_e32 v79, v75
	v_mov_b32_e32 v75, v7
	s_delay_alu instid0(VALU_DEP_4)
	v_pk_fma_f16 v21, v16, v92, v21
	v_add_co_u32 v16, vcc_lo, v148, s6
	v_pk_fma_f16 v18, v17, v92, v18
	s_wait_alu 0xfffd
	v_add_co_ci_u32_e64 v17, null, 0, v110, vcc_lo
	v_pk_fma_f16 v23, v23, v92, v91
	global_load_b32 v91, v[16:17], off
	s_clause 0x1
	scratch_load_b32 v151, off, off offset:284
	scratch_load_b32 v111, off, off offset:288
	v_pk_fma_f16 v19, v93, v92, v19
	v_dual_mov_b32 v7, v6 :: v_dual_mov_b32 v6, v5
	s_wait_loadcnt 0x1
	v_add_co_u32 v16, vcc_lo, v151, s6
	s_wait_loadcnt 0x0
	s_wait_alu 0xfffd
	v_add_co_ci_u32_e64 v17, null, 0, v111, vcc_lo
	global_load_u16 v92, v[16:17], off
	s_clause 0x1
	scratch_load_b32 v144, off, off offset:260
	scratch_load_b32 v8, off, off offset:264
	s_wait_loadcnt 0x2
	v_mul_u32_u24_e32 v92, 0x10001, v92
	s_wait_loadcnt 0x1
	v_add_co_u32 v16, vcc_lo, v144, s6
	s_wait_loadcnt 0x0
	s_wait_alu 0xfffd
	v_add_co_ci_u32_e64 v17, null, 0, v8, vcc_lo
	global_load_b32 v93, v[16:17], off
	s_clause 0x4
	scratch_load_b32 v146, off, off offset:268
	scratch_load_b32 v9, off, off offset:272
	;; [unrolled: 1-line block ×4, first 2 shown]
	scratch_load_b32 v56, off, off offset:524 th:TH_LOAD_LU
	s_wait_loadcnt 0x4
	v_add_co_u32 v16, vcc_lo, v146, s6
	s_wait_loadcnt 0x3
	s_wait_alu 0xfffd
	v_add_co_ci_u32_e64 v17, null, 0, v9, vcc_lo
	global_load_u16 v16, v[16:17], off
	v_ashrrev_i32_e32 v17, v89, v91
	s_delay_alu instid0(VALU_DEP_1) | instskip(NEXT) | instid1(VALU_DEP_1)
	v_and_b32_e32 v17, 0xf0f0f0f, v17
	v_lshlrev_b16 v91, 8, v17
	v_and_b32_e32 v94, 0xf00, v17
	v_lshrrev_b32_e32 v17, 16, v17
	s_delay_alu instid0(VALU_DEP_3) | instskip(NEXT) | instid1(VALU_DEP_1)
	v_add_nc_u16 v91, 0xf800, v91
	v_lshrrev_b16 v91, 8, v91
	s_delay_alu instid0(VALU_DEP_1) | instskip(NEXT) | instid1(VALU_DEP_4)
	v_or_b32_e32 v91, v94, v91
	v_lshlrev_b16 v94, 8, v17
	v_and_b32_e32 v17, 0xf00, v17
	s_delay_alu instid0(VALU_DEP_3) | instskip(NEXT) | instid1(VALU_DEP_3)
	v_add_nc_u16 v91, 0xf800, v91
	v_add_nc_u16 v94, 0xf800, v94
	s_delay_alu instid0(VALU_DEP_1) | instskip(NEXT) | instid1(VALU_DEP_1)
	v_lshrrev_b16 v94, 8, v94
	v_or_b32_e32 v17, v17, v94
	s_delay_alu instid0(VALU_DEP_4) | instskip(SKIP_1) | instid1(VALU_DEP_3)
	v_lshrrev_b32_e32 v94, 8, v91
	v_bfe_i32 v91, v91, 0, 8
	v_add_nc_u16 v17, 0xf800, v17
	s_delay_alu instid0(VALU_DEP_3) | instskip(NEXT) | instid1(VALU_DEP_3)
	v_bfe_i32 v94, v94, 0, 8
	v_cvt_f16_i16_e32 v91, v91
	s_delay_alu instid0(VALU_DEP_2) | instskip(NEXT) | instid1(VALU_DEP_1)
	v_cvt_f16_i16_e32 v94, v94
	v_pack_b32_f16 v91, v91, v94
	v_lshrrev_b32_e32 v94, 8, v17
	v_bfe_i32 v17, v17, 0, 8
	s_delay_alu instid0(VALU_DEP_3) | instskip(NEXT) | instid1(VALU_DEP_3)
	v_pk_mul_f16 v91, v91, v92
	v_bfe_i32 v94, v94, 0, 8
	s_delay_alu instid0(VALU_DEP_3) | instskip(NEXT) | instid1(VALU_DEP_3)
	v_cvt_f16_i16_e32 v17, v17
	v_pk_fma_f16 v23, v91, v22, v23
	s_delay_alu instid0(VALU_DEP_3) | instskip(NEXT) | instid1(VALU_DEP_1)
	v_cvt_f16_i16_e32 v94, v94
	v_pack_b32_f16 v17, v17, v94
	s_delay_alu instid0(VALU_DEP_1) | instskip(SKIP_1) | instid1(VALU_DEP_2)
	v_pk_mul_f16 v17, v17, v92
	v_ashrrev_i32_e32 v92, v89, v93
	v_pk_fma_f16 v18, v17, v22, v18
	s_delay_alu instid0(VALU_DEP_2) | instskip(NEXT) | instid1(VALU_DEP_1)
	v_and_b32_e32 v92, 0xf0f0f0f, v92
	v_lshlrev_b16 v93, 8, v92
	v_and_b32_e32 v94, 0xf00, v92
	v_lshrrev_b32_e32 v92, 16, v92
	s_delay_alu instid0(VALU_DEP_3) | instskip(NEXT) | instid1(VALU_DEP_1)
	v_add_nc_u16 v93, 0xf800, v93
	v_lshrrev_b16 v93, 8, v93
	s_delay_alu instid0(VALU_DEP_1) | instskip(NEXT) | instid1(VALU_DEP_4)
	v_or_b32_e32 v93, v94, v93
	v_lshlrev_b16 v94, 8, v92
	v_and_b32_e32 v92, 0xf00, v92
	s_delay_alu instid0(VALU_DEP_3) | instskip(NEXT) | instid1(VALU_DEP_3)
	v_add_nc_u16 v93, 0xf800, v93
	v_add_nc_u16 v94, 0xf800, v94
	s_delay_alu instid0(VALU_DEP_1) | instskip(NEXT) | instid1(VALU_DEP_1)
	v_lshrrev_b16 v94, 8, v94
	v_or_b32_e32 v92, v92, v94
	s_delay_alu instid0(VALU_DEP_4) | instskip(SKIP_1) | instid1(VALU_DEP_3)
	v_lshrrev_b32_e32 v94, 8, v93
	v_bfe_i32 v93, v93, 0, 8
	v_add_nc_u16 v92, 0xf800, v92
	s_delay_alu instid0(VALU_DEP_3) | instskip(NEXT) | instid1(VALU_DEP_3)
	v_bfe_i32 v94, v94, 0, 8
	v_cvt_f16_i16_e32 v93, v93
	s_delay_alu instid0(VALU_DEP_2) | instskip(NEXT) | instid1(VALU_DEP_1)
	v_cvt_f16_i16_e32 v94, v94
	v_pack_b32_f16 v93, v93, v94
	v_lshrrev_b32_e32 v94, 8, v92
	v_bfe_i32 v92, v92, 0, 8
	s_delay_alu instid0(VALU_DEP_2) | instskip(NEXT) | instid1(VALU_DEP_2)
	v_bfe_i32 v94, v94, 0, 8
	v_cvt_f16_i16_e32 v92, v92
	s_delay_alu instid0(VALU_DEP_2) | instskip(NEXT) | instid1(VALU_DEP_1)
	v_cvt_f16_i16_e32 v94, v94
	v_pack_b32_f16 v92, v92, v94
	s_wait_loadcnt 0x0
	v_mul_u32_u24_e32 v16, 0x10001, v16
	s_delay_alu instid0(VALU_DEP_1) | instskip(NEXT) | instid1(VALU_DEP_3)
	v_pk_mul_f16 v93, v93, v16
	v_pk_mul_f16 v16, v92, v16
	s_delay_alu instid0(VALU_DEP_2) | instskip(NEXT) | instid1(VALU_DEP_2)
	v_pk_fma_f16 v19, v93, v22, v19
	v_pk_fma_f16 v21, v16, v22, v21
	v_add_co_u32 v16, vcc_lo, v136, s6
	s_wait_alu 0xfffd
	v_add_co_ci_u32_e64 v17, null, 0, v139, vcc_lo
	global_load_b32 v22, v[16:17], off
	v_add_co_u32 v16, vcc_lo, v140, s6
	v_mov_b32_e32 v140, v136
	scratch_load_b32 v136, off, off offset:248 ; 4-byte Folded Reload
	s_wait_alu 0xfffd
	v_add_co_ci_u32_e64 v17, null, 0, v141, vcc_lo
	v_mov_b32_e32 v141, v139
	v_mov_b32_e32 v139, v137
	global_load_u16 v91, v[16:17], off
	s_wait_loadcnt 0x1
	v_add_co_u32 v16, vcc_lo, v136, s6
	s_wait_alu 0xfffd
	v_add_co_ci_u32_e64 v17, null, 0, v138, vcc_lo
	s_wait_loadcnt 0x0
	v_mul_u32_u24_e32 v91, 0x10001, v91
	global_load_b32 v92, v[16:17], off
	v_add_co_u32 v16, vcc_lo, v137, s6
	s_wait_alu 0xfffd
	v_add_co_ci_u32_e64 v17, null, 0, v5, vcc_lo
	v_mov_b32_e32 v137, v133
	global_load_u16 v16, v[16:17], off
	v_ashrrev_i32_e32 v17, v89, v22
	s_delay_alu instid0(VALU_DEP_1) | instskip(NEXT) | instid1(VALU_DEP_1)
	v_and_b32_e32 v17, 0xf0f0f0f, v17
	v_lshlrev_b16 v22, 8, v17
	v_and_b32_e32 v93, 0xf00, v17
	v_lshrrev_b32_e32 v17, 16, v17
	s_delay_alu instid0(VALU_DEP_3) | instskip(NEXT) | instid1(VALU_DEP_1)
	v_add_nc_u16 v22, 0xf800, v22
	v_lshrrev_b16 v22, 8, v22
	s_delay_alu instid0(VALU_DEP_1) | instskip(NEXT) | instid1(VALU_DEP_4)
	v_or_b32_e32 v22, v93, v22
	v_lshlrev_b16 v93, 8, v17
	v_and_b32_e32 v17, 0xf00, v17
	s_delay_alu instid0(VALU_DEP_3) | instskip(NEXT) | instid1(VALU_DEP_3)
	v_add_nc_u16 v22, 0xf800, v22
	v_add_nc_u16 v93, 0xf800, v93
	s_delay_alu instid0(VALU_DEP_1) | instskip(NEXT) | instid1(VALU_DEP_1)
	v_lshrrev_b16 v93, 8, v93
	v_or_b32_e32 v17, v17, v93
	s_delay_alu instid0(VALU_DEP_4) | instskip(SKIP_1) | instid1(VALU_DEP_3)
	v_lshrrev_b32_e32 v93, 8, v22
	v_bfe_i32 v22, v22, 0, 8
	v_add_nc_u16 v17, 0xf800, v17
	s_delay_alu instid0(VALU_DEP_3) | instskip(NEXT) | instid1(VALU_DEP_3)
	v_bfe_i32 v93, v93, 0, 8
	v_cvt_f16_i16_e32 v22, v22
	s_delay_alu instid0(VALU_DEP_2) | instskip(NEXT) | instid1(VALU_DEP_1)
	v_cvt_f16_i16_e32 v93, v93
	v_pack_b32_f16 v22, v22, v93
	v_lshrrev_b32_e32 v93, 8, v17
	v_bfe_i32 v17, v17, 0, 8
	s_delay_alu instid0(VALU_DEP_3) | instskip(NEXT) | instid1(VALU_DEP_3)
	v_pk_mul_f16 v22, v22, v91
	v_bfe_i32 v93, v93, 0, 8
	s_delay_alu instid0(VALU_DEP_3) | instskip(NEXT) | instid1(VALU_DEP_2)
	v_cvt_f16_i16_e32 v17, v17
	v_cvt_f16_i16_e32 v93, v93
	s_delay_alu instid0(VALU_DEP_1) | instskip(NEXT) | instid1(VALU_DEP_1)
	v_pack_b32_f16 v17, v17, v93
	v_pk_mul_f16 v17, v17, v91
	s_wait_loadcnt 0x1
	v_ashrrev_i32_e32 v91, v89, v92
	s_delay_alu instid0(VALU_DEP_1) | instskip(SKIP_2) | instid1(VALU_DEP_2)
	v_and_b32_e32 v91, 0xf0f0f0f, v91
	s_wait_loadcnt 0x0
	v_mul_u32_u24_e32 v16, 0x10001, v16
	v_lshlrev_b16 v92, 8, v91
	v_and_b32_e32 v93, 0xf00, v91
	v_lshrrev_b32_e32 v91, 16, v91
	s_delay_alu instid0(VALU_DEP_3) | instskip(NEXT) | instid1(VALU_DEP_1)
	v_add_nc_u16 v92, 0xf800, v92
	v_lshrrev_b16 v92, 8, v92
	s_delay_alu instid0(VALU_DEP_1) | instskip(NEXT) | instid1(VALU_DEP_4)
	v_or_b32_e32 v92, v93, v92
	v_lshlrev_b16 v93, 8, v91
	v_and_b32_e32 v91, 0xf00, v91
	s_delay_alu instid0(VALU_DEP_3) | instskip(NEXT) | instid1(VALU_DEP_3)
	v_add_nc_u16 v92, 0xf800, v92
	v_add_nc_u16 v93, 0xf800, v93
	s_delay_alu instid0(VALU_DEP_1) | instskip(NEXT) | instid1(VALU_DEP_1)
	v_lshrrev_b16 v93, 8, v93
	v_or_b32_e32 v91, v91, v93
	s_delay_alu instid0(VALU_DEP_4) | instskip(SKIP_1) | instid1(VALU_DEP_3)
	v_lshrrev_b32_e32 v93, 8, v92
	v_bfe_i32 v92, v92, 0, 8
	v_add_nc_u16 v91, 0xf800, v91
	s_delay_alu instid0(VALU_DEP_3) | instskip(NEXT) | instid1(VALU_DEP_3)
	v_bfe_i32 v93, v93, 0, 8
	v_cvt_f16_i16_e32 v92, v92
	s_delay_alu instid0(VALU_DEP_2) | instskip(NEXT) | instid1(VALU_DEP_1)
	v_cvt_f16_i16_e32 v93, v93
	v_pack_b32_f16 v92, v92, v93
	v_lshrrev_b32_e32 v93, 8, v91
	v_bfe_i32 v91, v91, 0, 8
	s_delay_alu instid0(VALU_DEP_3) | instskip(NEXT) | instid1(VALU_DEP_3)
	v_pk_mul_f16 v92, v92, v16
	v_bfe_i32 v93, v93, 0, 8
	s_delay_alu instid0(VALU_DEP_3) | instskip(NEXT) | instid1(VALU_DEP_2)
	v_cvt_f16_i16_e32 v91, v91
	v_cvt_f16_i16_e32 v93, v93
	s_delay_alu instid0(VALU_DEP_1) | instskip(NEXT) | instid1(VALU_DEP_1)
	v_pack_b32_f16 v91, v91, v93
	v_pk_mul_f16 v16, v91, v16
	v_mul_u32_u24_e32 v91, 0x10001, v56
	v_mov_b32_e32 v56, v88
	v_mov_b32_e32 v88, v82
	v_dual_mov_b32 v82, v77 :: v_dual_mov_b32 v77, v73
	v_mov_b32_e32 v73, v71
	v_mov_b32_e32 v71, v3
	;; [unrolled: 1-line block ×3, first 2 shown]
	scratch_load_b32 v2, off, off offset:244 ; 4-byte Folded Reload
	v_pk_fma_f16 v21, v16, v91, v21
	v_add_co_u32 v16, vcc_lo, v130, s6
	v_pk_fma_f16 v18, v17, v91, v18
	s_wait_alu 0xfffd
	v_add_co_ci_u32_e64 v17, null, 0, v131, vcc_lo
	v_pk_fma_f16 v22, v22, v91, v23
	v_pk_fma_f16 v19, v92, v91, v19
	global_load_b32 v23, v[16:17], off
	v_add_co_u32 v16, vcc_lo, v133, s6
	v_mov_b32_e32 v133, v131
	v_mov_b32_e32 v131, v130
	s_wait_loadcnt 0x1
	s_wait_alu 0xfffd
	v_add_co_ci_u32_e64 v17, null, 0, v2, vcc_lo
	global_load_u16 v91, v[16:17], off
	s_clause 0x1
	scratch_load_b32 v101, off, off offset:444 th:TH_LOAD_LU
	scratch_load_b32 v106, off, off offset:448 th:TH_LOAD_LU
	s_wait_loadcnt 0x2
	v_mul_u32_u24_e32 v91, 0x10001, v91
	s_wait_loadcnt 0x1
	v_add_co_u32 v16, vcc_lo, v101, s6
	s_wait_loadcnt 0x0
	s_wait_alu 0xfffd
	v_add_co_ci_u32_e64 v17, null, 0, v106, vcc_lo
	global_load_b32 v92, v[16:17], off
	s_clause 0x3
	scratch_load_b32 v129, off, off offset:236
	scratch_load_b32 v130, off, off offset:240
	scratch_load_b32 v97, off, off offset:428 th:TH_LOAD_LU
	scratch_load_b32 v98, off, off offset:432 th:TH_LOAD_LU
	s_wait_loadcnt 0x3
	v_add_co_u32 v16, vcc_lo, v129, s6
	s_wait_loadcnt 0x2
	s_wait_alu 0xfffd
	v_add_co_ci_u32_e64 v17, null, 0, v130, vcc_lo
	global_load_u16 v16, v[16:17], off
	v_ashrrev_i32_e32 v17, v89, v23
	s_delay_alu instid0(VALU_DEP_1) | instskip(NEXT) | instid1(VALU_DEP_1)
	v_and_b32_e32 v17, 0xf0f0f0f, v17
	v_lshlrev_b16 v23, 8, v17
	v_and_b32_e32 v93, 0xf00, v17
	v_lshrrev_b32_e32 v17, 16, v17
	s_delay_alu instid0(VALU_DEP_3) | instskip(NEXT) | instid1(VALU_DEP_1)
	v_add_nc_u16 v23, 0xf800, v23
	v_lshrrev_b16 v23, 8, v23
	s_delay_alu instid0(VALU_DEP_1) | instskip(NEXT) | instid1(VALU_DEP_4)
	v_or_b32_e32 v23, v93, v23
	v_lshlrev_b16 v93, 8, v17
	v_and_b32_e32 v17, 0xf00, v17
	s_delay_alu instid0(VALU_DEP_3) | instskip(NEXT) | instid1(VALU_DEP_3)
	v_add_nc_u16 v23, 0xf800, v23
	v_add_nc_u16 v93, 0xf800, v93
	s_delay_alu instid0(VALU_DEP_1) | instskip(NEXT) | instid1(VALU_DEP_1)
	v_lshrrev_b16 v93, 8, v93
	v_or_b32_e32 v17, v17, v93
	s_delay_alu instid0(VALU_DEP_4) | instskip(SKIP_1) | instid1(VALU_DEP_3)
	v_lshrrev_b32_e32 v93, 8, v23
	v_bfe_i32 v23, v23, 0, 8
	v_add_nc_u16 v17, 0xf800, v17
	s_delay_alu instid0(VALU_DEP_3) | instskip(NEXT) | instid1(VALU_DEP_3)
	v_bfe_i32 v93, v93, 0, 8
	v_cvt_f16_i16_e32 v23, v23
	s_delay_alu instid0(VALU_DEP_2) | instskip(NEXT) | instid1(VALU_DEP_1)
	v_cvt_f16_i16_e32 v93, v93
	v_pack_b32_f16 v23, v23, v93
	v_lshrrev_b32_e32 v93, 8, v17
	v_bfe_i32 v17, v17, 0, 8
	s_delay_alu instid0(VALU_DEP_3) | instskip(NEXT) | instid1(VALU_DEP_3)
	v_pk_mul_f16 v23, v23, v91
	v_bfe_i32 v93, v93, 0, 8
	s_delay_alu instid0(VALU_DEP_3) | instskip(NEXT) | instid1(VALU_DEP_3)
	v_cvt_f16_i16_e32 v17, v17
	v_pk_fma_f16 v22, v23, v20, v22
	s_delay_alu instid0(VALU_DEP_3) | instskip(NEXT) | instid1(VALU_DEP_1)
	v_cvt_f16_i16_e32 v93, v93
	v_pack_b32_f16 v17, v17, v93
	s_delay_alu instid0(VALU_DEP_1) | instskip(SKIP_1) | instid1(VALU_DEP_2)
	v_pk_mul_f16 v17, v17, v91
	v_ashrrev_i32_e32 v91, v89, v92
	v_pk_fma_f16 v18, v17, v20, v18
	s_delay_alu instid0(VALU_DEP_2) | instskip(NEXT) | instid1(VALU_DEP_1)
	v_and_b32_e32 v91, 0xf0f0f0f, v91
	v_lshlrev_b16 v92, 8, v91
	v_and_b32_e32 v93, 0xf00, v91
	v_lshrrev_b32_e32 v91, 16, v91
	s_delay_alu instid0(VALU_DEP_3) | instskip(NEXT) | instid1(VALU_DEP_1)
	v_add_nc_u16 v92, 0xf800, v92
	v_lshrrev_b16 v92, 8, v92
	s_delay_alu instid0(VALU_DEP_1) | instskip(NEXT) | instid1(VALU_DEP_4)
	v_or_b32_e32 v92, v93, v92
	v_lshlrev_b16 v93, 8, v91
	v_and_b32_e32 v91, 0xf00, v91
	s_delay_alu instid0(VALU_DEP_3) | instskip(NEXT) | instid1(VALU_DEP_3)
	v_add_nc_u16 v92, 0xf800, v92
	v_add_nc_u16 v93, 0xf800, v93
	s_delay_alu instid0(VALU_DEP_1) | instskip(NEXT) | instid1(VALU_DEP_1)
	v_lshrrev_b16 v93, 8, v93
	v_or_b32_e32 v91, v91, v93
	s_delay_alu instid0(VALU_DEP_4) | instskip(SKIP_1) | instid1(VALU_DEP_3)
	v_lshrrev_b32_e32 v93, 8, v92
	v_bfe_i32 v92, v92, 0, 8
	v_add_nc_u16 v91, 0xf800, v91
	s_delay_alu instid0(VALU_DEP_3) | instskip(NEXT) | instid1(VALU_DEP_3)
	v_bfe_i32 v93, v93, 0, 8
	v_cvt_f16_i16_e32 v92, v92
	s_delay_alu instid0(VALU_DEP_2) | instskip(NEXT) | instid1(VALU_DEP_1)
	v_cvt_f16_i16_e32 v93, v93
	v_pack_b32_f16 v92, v92, v93
	v_lshrrev_b32_e32 v93, 8, v91
	v_bfe_i32 v91, v91, 0, 8
	s_delay_alu instid0(VALU_DEP_2) | instskip(NEXT) | instid1(VALU_DEP_2)
	v_bfe_i32 v93, v93, 0, 8
	v_cvt_f16_i16_e32 v91, v91
	s_delay_alu instid0(VALU_DEP_2) | instskip(NEXT) | instid1(VALU_DEP_1)
	v_cvt_f16_i16_e32 v93, v93
	v_pack_b32_f16 v91, v91, v93
	s_wait_loadcnt 0x0
	v_mul_u32_u24_e32 v16, 0x10001, v16
	s_delay_alu instid0(VALU_DEP_1) | instskip(NEXT) | instid1(VALU_DEP_3)
	v_pk_mul_f16 v92, v92, v16
	v_pk_mul_f16 v16, v91, v16
	s_delay_alu instid0(VALU_DEP_2) | instskip(NEXT) | instid1(VALU_DEP_2)
	v_pk_fma_f16 v19, v92, v20, v19
	v_pk_fma_f16 v20, v16, v20, v21
	v_add_co_u32 v16, vcc_lo, v97, s6
	s_wait_alu 0xfffd
	v_add_co_ci_u32_e64 v17, null, 0, v98, vcc_lo
	global_load_b32 v21, v[16:17], off
	s_clause 0x1
	scratch_load_b32 v99, off, off offset:436 th:TH_LOAD_LU
	scratch_load_b32 v100, off, off offset:440 th:TH_LOAD_LU
	s_wait_loadcnt 0x1
	v_add_co_u32 v16, vcc_lo, v99, s6
	s_wait_loadcnt 0x0
	s_wait_alu 0xfffd
	v_add_co_ci_u32_e64 v17, null, 0, v100, vcc_lo
	global_load_u16 v23, v[16:17], off
	s_clause 0x1
	scratch_load_b32 v93, off, off offset:412 th:TH_LOAD_LU
	scratch_load_b32 v94, off, off offset:416 th:TH_LOAD_LU
	s_wait_loadcnt 0x2
	v_mul_u32_u24_e32 v23, 0x10001, v23
	s_wait_loadcnt 0x1
	v_add_co_u32 v16, vcc_lo, v93, s6
	s_wait_loadcnt 0x0
	s_wait_alu 0xfffd
	v_add_co_ci_u32_e64 v17, null, 0, v94, vcc_lo
	global_load_b32 v91, v[16:17], off
	s_clause 0x5
	scratch_load_b32 v95, off, off offset:420 th:TH_LOAD_LU
	scratch_load_b32 v96, off, off offset:424 th:TH_LOAD_LU
	;; [unrolled: 1-line block ×6, first 2 shown]
	s_wait_loadcnt 0x5
	v_add_co_u32 v16, vcc_lo, v95, s6
	s_wait_loadcnt 0x4
	s_wait_alu 0xfffd
	v_add_co_ci_u32_e64 v17, null, 0, v96, vcc_lo
	global_load_u16 v16, v[16:17], off
	v_ashrrev_i32_e32 v17, v89, v21
	s_delay_alu instid0(VALU_DEP_1) | instskip(NEXT) | instid1(VALU_DEP_1)
	v_and_b32_e32 v17, 0xf0f0f0f, v17
	v_lshlrev_b16 v21, 8, v17
	v_and_b32_e32 v92, 0xf00, v17
	v_lshrrev_b32_e32 v17, 16, v17
	s_delay_alu instid0(VALU_DEP_3) | instskip(NEXT) | instid1(VALU_DEP_1)
	v_add_nc_u16 v21, 0xf800, v21
	v_lshrrev_b16 v21, 8, v21
	s_delay_alu instid0(VALU_DEP_1) | instskip(NEXT) | instid1(VALU_DEP_4)
	v_or_b32_e32 v21, v92, v21
	v_lshlrev_b16 v92, 8, v17
	v_and_b32_e32 v17, 0xf00, v17
	s_delay_alu instid0(VALU_DEP_3) | instskip(NEXT) | instid1(VALU_DEP_3)
	v_add_nc_u16 v21, 0xf800, v21
	v_add_nc_u16 v92, 0xf800, v92
	s_delay_alu instid0(VALU_DEP_1) | instskip(NEXT) | instid1(VALU_DEP_1)
	v_lshrrev_b16 v92, 8, v92
	v_or_b32_e32 v17, v17, v92
	s_delay_alu instid0(VALU_DEP_4) | instskip(SKIP_1) | instid1(VALU_DEP_3)
	v_lshrrev_b32_e32 v92, 8, v21
	v_bfe_i32 v21, v21, 0, 8
	v_add_nc_u16 v17, 0xf800, v17
	s_delay_alu instid0(VALU_DEP_3) | instskip(NEXT) | instid1(VALU_DEP_3)
	v_bfe_i32 v92, v92, 0, 8
	v_cvt_f16_i16_e32 v21, v21
	s_delay_alu instid0(VALU_DEP_2) | instskip(NEXT) | instid1(VALU_DEP_1)
	v_cvt_f16_i16_e32 v92, v92
	v_pack_b32_f16 v21, v21, v92
	v_lshrrev_b32_e32 v92, 8, v17
	v_bfe_i32 v17, v17, 0, 8
	s_delay_alu instid0(VALU_DEP_3) | instskip(NEXT) | instid1(VALU_DEP_3)
	v_pk_mul_f16 v21, v21, v23
	v_bfe_i32 v92, v92, 0, 8
	s_delay_alu instid0(VALU_DEP_3) | instskip(NEXT) | instid1(VALU_DEP_2)
	v_cvt_f16_i16_e32 v17, v17
	v_cvt_f16_i16_e32 v92, v92
	s_delay_alu instid0(VALU_DEP_1) | instskip(NEXT) | instid1(VALU_DEP_1)
	v_pack_b32_f16 v17, v17, v92
	v_pk_mul_f16 v17, v17, v23
	v_ashrrev_i32_e32 v23, v89, v91
	s_delay_alu instid0(VALU_DEP_1) | instskip(NEXT) | instid1(VALU_DEP_1)
	v_and_b32_e32 v23, 0xf0f0f0f, v23
	v_lshlrev_b16 v91, 8, v23
	v_and_b32_e32 v92, 0xf00, v23
	v_lshrrev_b32_e32 v23, 16, v23
	s_delay_alu instid0(VALU_DEP_3) | instskip(NEXT) | instid1(VALU_DEP_1)
	v_add_nc_u16 v91, 0xf800, v91
	v_lshrrev_b16 v91, 8, v91
	s_delay_alu instid0(VALU_DEP_1) | instskip(NEXT) | instid1(VALU_DEP_4)
	v_or_b32_e32 v91, v92, v91
	v_lshlrev_b16 v92, 8, v23
	v_and_b32_e32 v23, 0xf00, v23
	s_delay_alu instid0(VALU_DEP_3) | instskip(NEXT) | instid1(VALU_DEP_3)
	v_add_nc_u16 v91, 0xf800, v91
	v_add_nc_u16 v92, 0xf800, v92
	s_delay_alu instid0(VALU_DEP_1) | instskip(NEXT) | instid1(VALU_DEP_1)
	v_lshrrev_b16 v92, 8, v92
	v_or_b32_e32 v23, v23, v92
	s_delay_alu instid0(VALU_DEP_4) | instskip(SKIP_1) | instid1(VALU_DEP_3)
	v_lshrrev_b32_e32 v92, 8, v91
	v_bfe_i32 v91, v91, 0, 8
	v_add_nc_u16 v23, 0xf800, v23
	s_delay_alu instid0(VALU_DEP_3) | instskip(NEXT) | instid1(VALU_DEP_3)
	v_bfe_i32 v92, v92, 0, 8
	v_cvt_f16_i16_e32 v91, v91
	s_delay_alu instid0(VALU_DEP_2) | instskip(NEXT) | instid1(VALU_DEP_1)
	v_cvt_f16_i16_e32 v92, v92
	v_pack_b32_f16 v91, v91, v92
	v_lshrrev_b32_e32 v92, 8, v23
	v_bfe_i32 v23, v23, 0, 8
	s_delay_alu instid0(VALU_DEP_2) | instskip(NEXT) | instid1(VALU_DEP_2)
	v_bfe_i32 v92, v92, 0, 8
	v_cvt_f16_i16_e32 v23, v23
	s_delay_alu instid0(VALU_DEP_2) | instskip(NEXT) | instid1(VALU_DEP_1)
	v_cvt_f16_i16_e32 v92, v92
	v_pack_b32_f16 v23, v23, v92
	s_wait_loadcnt 0x0
	v_mul_u32_u24_e32 v16, 0x10001, v16
	s_delay_alu instid0(VALU_DEP_1) | instskip(NEXT) | instid1(VALU_DEP_3)
	v_pk_mul_f16 v91, v91, v16
	v_pk_mul_f16 v16, v23, v16
	scratch_load_b32 v23, off, off offset:520 th:TH_LOAD_LU ; 4-byte Folded Reload
	s_wait_loadcnt 0x0
	v_mul_u32_u24_e32 v23, 0x10001, v23
	s_delay_alu instid0(VALU_DEP_1)
	v_pk_fma_f16 v21, v21, v23, v22
	v_pk_fma_f16 v22, v91, v23, v19
	;; [unrolled: 1-line block ×3, first 2 shown]
	scratch_load_b32 v16, off, off          ; 4-byte Folded Reload
	v_pk_fma_f16 v92, v17, v23, v18
	scratch_load_b64 v[17:18], off, off offset:512 th:TH_LOAD_LU ; 8-byte Folded Reload
	s_wait_loadcnt 0x1
	v_add_co_u32 v16, vcc_lo, v16, s8
	scratch_store_b32 off, v16, off         ; 4-byte Folded Spill
	scratch_load_b32 v16, off, off offset:4 ; 4-byte Folded Reload
	s_wait_loadcnt 0x0
	s_wait_alu 0xfffd
	v_add_co_ci_u32_e64 v16, null, 0, v16, vcc_lo
	v_add_co_u32 v17, vcc_lo, v17, s4
	s_wait_alu 0xfffd
	v_add_co_ci_u32_e64 v18, null, s5, v18, vcc_lo
	scratch_store_b32 off, v16, off offset:4 ; 4-byte Folded Spill
	scratch_load_b32 v16, off, off offset:8 ; 4-byte Folded Reload
	v_add_co_u32 v90, vcc_lo, v90, s9
	s_wait_alu 0xfffd
	v_add_co_ci_u32_e64 v114, null, 0, v114, vcc_lo
	v_add_co_u32 v115, vcc_lo, v115, s9
	s_wait_alu 0xfffd
	v_add_co_ci_u32_e64 v116, null, 0, v116, vcc_lo
	;; [unrolled: 3-line block ×5, first 2 shown]
	s_wait_loadcnt 0x0
	v_add_co_u32 v16, vcc_lo, v16, s8
	scratch_store_b32 off, v16, off offset:8 ; 4-byte Folded Spill
	scratch_load_b32 v16, off, off offset:12 ; 4-byte Folded Reload
	s_wait_loadcnt 0x0
	s_wait_alu 0xfffd
	v_add_co_ci_u32_e64 v16, null, 0, v16, vcc_lo
	v_add_co_u32 v102, vcc_lo, v102, s8
	s_wait_alu 0xfffd
	v_add_co_ci_u32_e64 v103, null, 0, v103, vcc_lo
	v_add_co_u32 v13, vcc_lo, v13, s9
	;; [unrolled: 3-line block ×5, first 2 shown]
	s_wait_alu 0xfffd
	v_add_co_ci_u32_e64 v125, null, 0, v125, vcc_lo
	s_clause 0x4
	scratch_store_b32 off, v16, off offset:12
	scratch_store_b32 off, v123, off offset:208
	;; [unrolled: 1-line block ×5, first 2 shown]
	scratch_load_b32 v125, off, off offset:392 th:TH_LOAD_LU ; 4-byte Folded Reload
	s_wait_loadcnt 0x0
	v_add_co_u32 v125, vcc_lo, v125, s9
	s_wait_alu 0xfffd
	v_add_co_ci_u32_e64 v126, null, 0, v126, vcc_lo
	v_add_co_u32 v127, vcc_lo, v127, s9
	s_wait_alu 0xfffd
	v_add_co_ci_u32_e64 v128, null, 0, v128, vcc_lo
	s_clause 0x1
	scratch_store_b32 off, v126, off offset:224
	scratch_store_b32 off, v127, off offset:228
	scratch_load_b32 v127, off, off offset:396 th:TH_LOAD_LU ; 4-byte Folded Reload
	scratch_store_b32 off, v128, off offset:232 ; 4-byte Folded Spill
	scratch_load_b32 v128, off, off offset:400 th:TH_LOAD_LU ; 4-byte Folded Reload
	s_wait_loadcnt 0x1
	v_add_co_u32 v127, vcc_lo, v127, s9
	s_wait_loadcnt 0x0
	s_wait_alu 0xfffd
	v_add_co_ci_u32_e64 v128, null, 0, v128, vcc_lo
	v_add_co_u32 v104, vcc_lo, v104, s8
	s_wait_alu 0xfffd
	v_add_co_ci_u32_e64 v105, null, 0, v105, vcc_lo
	v_add_co_u32 v93, vcc_lo, v93, s9
	s_wait_alu 0xfffd
	v_add_co_ci_u32_e64 v94, null, 0, v94, vcc_lo
	v_add_co_u32 v95, vcc_lo, v95, s9
	s_wait_alu 0xfffd
	v_add_co_ci_u32_e64 v96, null, 0, v96, vcc_lo
	v_add_co_u32 v97, vcc_lo, v97, s9
	s_wait_alu 0xfffd
	v_add_co_ci_u32_e64 v98, null, 0, v98, vcc_lo
	v_add_co_u32 v99, vcc_lo, v99, s9
	s_wait_alu 0xfffd
	v_add_co_ci_u32_e64 v100, null, 0, v100, vcc_lo
	v_add_co_u32 v101, vcc_lo, v101, s9
	s_wait_alu 0xfffd
	v_add_co_ci_u32_e64 v106, null, 0, v106, vcc_lo
	v_add_co_u32 v129, vcc_lo, v129, s9
	s_wait_alu 0xfffd
	v_add_co_ci_u32_e64 v130, null, 0, v130, vcc_lo
	s_clause 0x1
	scratch_store_b32 off, v129, off offset:236
	scratch_store_b32 off, v130, off offset:240
	v_dual_mov_b32 v130, v131 :: v_dual_mov_b32 v131, v133
	v_mov_b32_e32 v133, v137
	v_mov_b32_e32 v137, v139
	v_mov_b32_e32 v139, v141
	s_delay_alu instid0(VALU_DEP_4)
	v_add_co_u32 v130, vcc_lo, v130, s9
	s_wait_alu 0xfffd
	v_add_co_ci_u32_e64 v131, null, 0, v131, vcc_lo
	v_add_co_u32 v133, vcc_lo, v133, s9
	s_wait_alu 0xfffd
	v_add_co_ci_u32_e64 v2, null, 0, v2, vcc_lo
	;; [unrolled: 3-line block ×3, first 2 shown]
	s_clause 0x1
	scratch_store_b32 off, v2, off offset:244
	scratch_store_b32 off, v136, off offset:248
	v_mov_b32_e32 v136, v140
	v_mov_b32_e32 v140, v159
	v_add_co_u32 v137, vcc_lo, v137, s9
	v_mov_b32_e32 v141, v174
	s_wait_alu 0xfffd
	v_add_co_ci_u32_e64 v5, null, 0, v5, vcc_lo
	v_add_co_u32 v136, vcc_lo, v136, s9
	s_wait_alu 0xfffd
	v_add_co_ci_u32_e64 v139, null, 0, v139, vcc_lo
	v_add_co_u32 v140, vcc_lo, v140, s9
	;; [unrolled: 3-line block ×15, first 2 shown]
	v_mov_b32_e32 v159, v200
	s_wait_alu 0xfffd
	v_add_co_ci_u32_e64 v169, null, 0, v169, vcc_lo
	v_add_co_u32 v170, vcc_lo, v170, s9
	s_wait_alu 0xfffd
	v_add_co_ci_u32_e64 v171, null, 0, v171, vcc_lo
	v_add_co_u32 v172, vcc_lo, v172, s9
	;; [unrolled: 3-line block ×3, first 2 shown]
	s_clause 0x3
	scratch_store_b32 off, v156, off offset:308
	scratch_store_b32 off, v157, off offset:312
	;; [unrolled: 1-line block ×4, first 2 shown]
	s_wait_alu 0xfffd
	v_add_co_ci_u32_e64 v175, null, 0, v175, vcc_lo
	v_add_co_u32 v158, vcc_lo, v177, s9
	s_wait_alu 0xfffd
	v_add_co_ci_u32_e64 v176, null, 0, v176, vcc_lo
	v_add_co_u32 v178, vcc_lo, v178, s9
	;; [unrolled: 3-line block ×5, first 2 shown]
	v_mov_b32_e32 v177, v194
	s_wait_alu 0xfffd
	v_add_co_ci_u32_e64 v185, null, 0, v185, vcc_lo
	v_add_co_u32 v186, vcc_lo, v186, s9
	s_wait_alu 0xfffd
	v_add_co_ci_u32_e64 v187, null, 0, v187, vcc_lo
	v_add_co_u32 v188, vcc_lo, v188, s9
	v_mov_b32_e32 v194, v203
	s_wait_alu 0xfffd
	v_add_co_ci_u32_e64 v189, null, 0, v189, vcc_lo
	v_add_co_u32 v177, vcc_lo, v177, s9
	s_wait_alu 0xfffd
	v_add_co_ci_u32_e64 v191, null, 0, v191, vcc_lo
	v_add_co_u32 v190, vcc_lo, v190, s9
	;; [unrolled: 3-line block ×5, first 2 shown]
	v_mov_b32_e32 v203, v208
	s_wait_alu 0xfffd
	v_add_co_ci_u32_e64 v199, null, 0, v199, vcc_lo
	v_add_co_u32 v200, vcc_lo, v201, s9
	s_wait_alu 0xfffd
	v_add_co_ci_u32_e64 v198, null, 0, v198, vcc_lo
	v_add_co_u32 v202, vcc_lo, v202, s9
	v_mov_b32_e32 v208, v209
	s_wait_alu 0xfffd
	v_add_co_ci_u32_e64 v203, null, 0, v203, vcc_lo
	v_add_co_u32 v204, vcc_lo, v204, s9
	v_mov_b32_e32 v209, v212
	;; [unrolled: 4-line block ×4, first 2 shown]
	s_wait_alu 0xfffd
	v_add_co_ci_u32_e64 v209, null, 0, v209, vcc_lo
	v_add_co_u32 v207, vcc_lo, v211, s9
	s_wait_alu 0xfffd
	v_add_co_ci_u32_e64 v210, null, 0, v210, vcc_lo
	v_add_co_u32 v212, vcc_lo, v212, s9
	v_mov_b32_e32 v218, v219
	s_wait_alu 0xfffd
	v_add_co_ci_u32_e64 v213, null, 0, v213, vcc_lo
	v_add_co_u32 v214, vcc_lo, v214, s9
	v_mov_b32_e32 v219, v222
	;; [unrolled: 4-line block ×7, first 2 shown]
	s_wait_alu 0xfffd
	v_add_co_ci_u32_e64 v225, null, 0, v225, vcc_lo
	v_add_co_u32 v211, vcc_lo, v211, s9
	s_wait_alu 0xfffd
	v_add_co_ci_u32_e64 v226, null, 0, v226, vcc_lo
	v_add_co_u32 v227, vcc_lo, v227, s9
	v_mov_b32_e32 v234, v235
	s_wait_alu 0xfffd
	v_add_co_ci_u32_e64 v228, null, 0, v228, vcc_lo
	v_add_co_u32 v230, vcc_lo, v230, s9
	v_mov_b32_e32 v235, v239
	s_wait_alu 0xfffd
	v_add_co_ci_u32_e64 v231, null, 0, v231, vcc_lo
	v_add_co_u32 v232, vcc_lo, v232, s9
	s_wait_alu 0xfffd
	v_add_co_ci_u32_e64 v233, null, 0, v233, vcc_lo
	v_add_co_u32 v234, vcc_lo, v234, s9
	v_mov_b32_e32 v239, v246
	s_wait_alu 0xfffd
	v_add_co_ci_u32_e64 v235, null, 0, v235, vcc_lo
	v_add_co_u32 v236, vcc_lo, v236, s9
	v_mov_b32_e32 v229, v243
	;; [unrolled: 11-line block ×4, first 2 shown]
	s_wait_alu 0xfffd
	v_add_co_ci_u32_e64 v249, null, 0, v249, vcc_lo
	v_add_co_u32 v250, vcc_lo, v250, s9
	v_dual_mov_b32 v255, v64 :: v_dual_mov_b32 v254, v4
	s_wait_alu 0xfffd
	v_add_co_ci_u32_e64 v243, null, 0, v243, vcc_lo
	v_add_co_u32 v252, vcc_lo, v252, s9
	v_mov_b32_e32 v64, v58
	v_mov_b32_e32 v58, v60
	s_wait_alu 0xfffd
	v_add_co_ci_u32_e64 v253, null, 0, v253, vcc_lo
	v_add_co_u32 v251, vcc_lo, v251, s9
	v_dual_mov_b32 v60, v59 :: v_dual_mov_b32 v59, v63
	s_wait_alu 0xfffd
	v_add_co_ci_u32_e64 v254, null, 0, v254, vcc_lo
	v_add_co_u32 v255, vcc_lo, v255, s9
	v_mov_b32_e32 v63, v66
	v_mov_b32_e32 v157, v69
	s_wait_alu 0xfffd
	v_add_co_ci_u32_e64 v64, null, 0, v64, vcc_lo
	v_add_co_u32 v58, vcc_lo, v58, s9
	v_dual_mov_b32 v66, v68 :: v_dual_mov_b32 v155, v72
	s_wait_alu 0xfffd
	v_add_co_ci_u32_e64 v60, null, 0, v60, vcc_lo
	v_add_co_u32 v59, vcc_lo, v59, s9
	v_dual_mov_b32 v68, v61 :: v_dual_mov_b32 v61, v65
	;; [unrolled: 4-line block ×18, first 2 shown]
	s_wait_alu 0xfffd
	v_add_co_ci_u32_e64 v49, null, 0, v49, vcc_lo
	v_add_co_u32 v50, vcc_lo, v50, s9
	v_mov_b32_e32 v55, v70
	v_mov_b32_e32 v69, v74
	s_wait_alu 0xfffd
	v_add_co_ci_u32_e64 v51, null, 0, v51, vcc_lo
	v_add_co_u32 v52, vcc_lo, v52, s9
	v_mov_b32_e32 v70, v1
	s_wait_alu 0xfffd
	v_add_co_ci_u32_e64 v53, null, 0, v53, vcc_lo
	v_add_co_u32 v54, vcc_lo, v54, s9
	s_wait_alu 0xfffd
	v_add_co_ci_u32_e64 v55, null, 0, v55, vcc_lo
	v_add_co_u32 v69, vcc_lo, v69, s9
	s_clause 0xd
	scratch_store_b32 off, v138, off offset:252
	scratch_store_b32 off, v5, off offset:256
	;; [unrolled: 1-line block ×14, first 2 shown]
	v_dual_mov_b32 v5, v6 :: v_dual_mov_b32 v6, v7
	v_mov_b32_e32 v7, v75
	v_mov_b32_e32 v75, v79
	;; [unrolled: 1-line block ×3, first 2 shown]
	v_dual_mov_b32 v85, v0 :: v_dual_mov_b32 v0, v78
	v_dual_mov_b32 v143, v83 :: v_dual_mov_b32 v156, v84
	scratch_load_b32 v83, off, off offset:508 th:TH_LOAD_LU ; 4-byte Folded Reload
	s_wait_alu 0xfffd
	v_add_co_ci_u32_e64 v70, null, 0, v70, vcc_lo
	v_add_co_u32 v129, vcc_lo, v134, s9
	s_clause 0x5
	scratch_load_b32 v134, off, off offset:504 th:TH_LOAD_LU
	scratch_load_b32 v4, off, off offset:500 th:TH_LOAD_LU
	;; [unrolled: 1-line block ×6, first 2 shown]
	v_dual_mov_b32 v2, v3 :: v_dual_mov_b32 v9, v10
	v_dual_mov_b32 v10, v149 :: v_dual_mov_b32 v149, v12
	v_mov_b32_e32 v1, v14
	s_wait_alu 0xfffd
	s_delay_alu instid0(VALU_DEP_3)
	v_add_co_ci_u32_e64 v2, null, 0, v2, vcc_lo
	v_dual_mov_b32 v3, v71 :: v_dual_mov_b32 v14, v132
	v_mov_b32_e32 v71, v73
	v_dual_mov_b32 v73, v77 :: v_dual_mov_b32 v8, v76
	v_mov_b32_e32 v76, v81
	v_dual_mov_b32 v12, v80 :: v_dual_mov_b32 v77, v82
	v_dual_mov_b32 v81, v87 :: v_dual_mov_b32 v80, v86
	;; [unrolled: 1-line block ×3, first 2 shown]
	v_mov_b32_e32 v86, v121
	v_mov_b32_e32 v88, v56
	s_wait_loadcnt 0x5
	v_add_co_u32 v134, vcc_lo, v134, s9
	s_wait_alu 0xfffd
	v_add_co_ci_u32_e64 v174, null, 0, v135, vcc_lo
	scratch_load_b32 v135, off, off offset:452 th:TH_LOAD_LU ; 4-byte Folded Reload
	v_add_co_u32 v5, vcc_lo, v5, s9
	s_wait_alu 0xfffd
	v_add_co_ci_u32_e64 v6, null, 0, v6, vcc_lo
	s_wait_loadcnt 0x0
	v_add_co_u32 v135, vcc_lo, v135, s9
	s_wait_alu 0xfffd
	v_add_co_ci_u32_e64 v138, null, 0, v142, vcc_lo
	scratch_load_b32 v142, off, off offset:456 th:TH_LOAD_LU ; 4-byte Folded Reload
	v_add_co_u32 v144, vcc_lo, v145, s9
	scratch_load_b32 v145, off, off offset:460 th:TH_LOAD_LU ; 4-byte Folded Reload
	s_wait_alu 0xfffd
	v_add_co_ci_u32_e64 v9, null, 0, v9, vcc_lo
	v_add_co_u32 v10, vcc_lo, v10, s9
	s_wait_loadcnt 0x1
	s_wait_alu 0xfffd
	v_add_co_ci_u32_e64 v142, null, 0, v142, vcc_lo
	s_wait_loadcnt 0x0
	v_add_co_u32 v145, vcc_lo, v145, s9
	s_wait_alu 0xfffd
	v_add_co_ci_u32_e64 v149, null, 0, v149, vcc_lo
	v_add_co_u32 v0, vcc_lo, v0, s9
	s_wait_alu 0xfffd
	v_add_co_ci_u32_e64 v1, null, 0, v1, vcc_lo
	v_add_co_u32 v143, vcc_lo, v143, s9
	s_wait_alu 0xfffd
	v_add_co_ci_u32_e64 v14, null, 0, v14, vcc_lo
	v_add_co_u32 v3, vcc_lo, v3, s9
	s_wait_alu 0xfffd
	v_add_co_ci_u32_e64 v4, null, 0, v4, vcc_lo
	v_add_co_u32 v71, vcc_lo, v71, s9
	s_wait_alu 0xfffd
	v_add_co_ci_u32_e64 v72, null, 0, v72, vcc_lo
	v_add_co_u32 v7, vcc_lo, v7, s9
	s_wait_alu 0xfffd
	v_add_co_ci_u32_e64 v8, null, 0, v8, vcc_lo
	v_add_co_u32 v73, vcc_lo, v73, s9
	s_wait_alu 0xfffd
	v_add_co_ci_u32_e64 v74, null, 0, v74, vcc_lo
	v_add_co_u32 v75, vcc_lo, v75, s9
	s_wait_alu 0xfffd
	v_add_co_ci_u32_e64 v12, null, 0, v12, vcc_lo
	v_add_co_u32 v76, vcc_lo, v76, s9
	s_wait_alu 0xfffd
	v_add_co_ci_u32_e64 v77, null, 0, v77, vcc_lo
	v_add_co_u32 v156, vcc_lo, v156, s9
	s_wait_alu 0xfffd
	v_add_co_ci_u32_e64 v78, null, 0, v78, vcc_lo
	v_add_co_u32 v79, vcc_lo, v79, s9
	s_wait_alu 0xfffd
	v_add_co_ci_u32_e64 v80, null, 0, v80, vcc_lo
	v_add_co_u32 v81, vcc_lo, v81, s9
	s_wait_alu 0xfffd
	v_add_co_ci_u32_e64 v82, null, 0, v82, vcc_lo
	v_add_co_u32 v83, vcc_lo, v83, s9
	s_wait_alu 0xfffd
	v_add_co_ci_u32_e64 v84, null, 0, v84, vcc_lo
	v_add_co_u32 v85, vcc_lo, v85, s9
	s_wait_alu 0xfffd
	v_add_co_ci_u32_e64 v86, null, 0, v86, vcc_lo
	v_add_co_u32 v87, vcc_lo, v87, s9
	s_wait_alu 0xfffd
	v_add_co_ci_u32_e64 v88, null, 0, v88, vcc_lo
	v_add_co_u32 v57, vcc_lo, v57, s9
	s_wait_alu 0xfffd
	v_add_co_ci_u32_e64 v132, null, 0, v67, vcc_lo
	v_add_co_u32 v146, vcc_lo, v147, s9
	scratch_load_b32 v147, off, off offset:480 th:TH_LOAD_LU ; 4-byte Folded Reload
	s_wait_alu 0xfffd
	v_add_co_ci_u32_e64 v148, null, 0, v150, vcc_lo
	scratch_load_b32 v150, off, off offset:484 th:TH_LOAD_LU ; 4-byte Folded Reload
	s_wait_loadcnt 0x1
	v_add_co_u32 v147, vcc_lo, v147, s9
	s_wait_loadcnt 0x0
	s_wait_alu 0xfffd
	v_add_co_ci_u32_e64 v150, null, 0, v150, vcc_lo
	v_add_co_u32 v151, vcc_lo, v152, s9
	s_wait_alu 0xfffd
	v_add_co_ci_u32_e64 v153, null, 0, v154, vcc_lo
	s_cbranch_scc1 .LBB27_30
; %bb.28:                               ;   in Loop: Header=BB27_15 Depth=1
	s_clause 0x19
	scratch_store_b32 off, v19, off offset:392
	scratch_store_b32 off, v57, off offset:476
	;; [unrolled: 1-line block ×26, first 2 shown]
	s_clause 0x3
	scratch_load_b32 v124, off, off offset:488 th:TH_LOAD_LU
	scratch_load_b32 v11, off, off offset:472
	scratch_load_b32 v121, off, off
	scratch_load_b32 v152, off, off offset:324
	v_dual_mov_b32 v126, v22 :: v_dual_mov_b32 v57, v18
	v_dual_mov_b32 v154, v92 :: v_dual_mov_b32 v67, v21
	v_mov_b32_e32 v56, v17
	s_branch .LBB27_15
.LBB27_29:
	v_dual_mov_b32 v21, 0 :: v_dual_mov_b32 v92, 0
	v_dual_mov_b32 v9, 0xfeffffff :: v_dual_mov_b32 v22, 0
	v_mov_b32_e32 v19, 0
	s_branch .LBB27_31
.LBB27_30:
	s_clause 0x5
	scratch_load_b32 v32, off, off offset:580
	scratch_load_b32 v33, off, off offset:576
	;; [unrolled: 1-line block ×6, first 2 shown]
	v_mbcnt_lo_u32_b32 v121, -1, 0
.LBB27_31:
	s_wait_loadcnt 0x5
	v_or_b32_e32 v0, s95, v32
	s_cmp_lg_u64 s[76:77], 0
	s_cselect_b32 s3, -1, 0
	s_delay_alu instid0(VALU_DEP_1)
	v_cmp_eq_u32_e32 vcc_lo, 0, v0
	s_wait_alu 0xfffe
	s_and_b32 s4, vcc_lo, s3
	s_wait_alu 0xfffe
	s_and_saveexec_b32 s3, s4
	s_cbranch_execz .LBB27_33
; %bb.32:
	s_lshl_b64 s[4:5], s[92:93], 2
	s_wait_loadcnt 0x0
	v_max_num_f32_e32 v0, v9, v9
	s_wait_alu 0xfffe
	s_add_nc_u64 s[4:5], s[76:77], s[4:5]
	s_load_b32 s4, s[4:5], 0x0
	s_wait_kmcnt 0x0
	v_max_num_f32_e64 v1, s4, s4
	s_delay_alu instid0(VALU_DEP_1) | instskip(NEXT) | instid1(VALU_DEP_1)
	v_max_num_f32_e32 v0, v0, v1
	v_sub_f32_e32 v2, s4, v0
	s_delay_alu instid0(VALU_DEP_1) | instskip(NEXT) | instid1(VALU_DEP_1)
	v_mul_f32_e32 v4, 0x3fb8aa3b, v2
	v_fma_f32 v7, 0x3fb8aa3b, v2, -v4
	v_rndne_f32_e32 v8, v4
	s_delay_alu instid0(VALU_DEP_1) | instskip(SKIP_2) | instid1(VALU_DEP_2)
	v_dual_fmac_f32 v7, 0x32a5705f, v2 :: v_dual_sub_f32 v4, v4, v8
	v_sub_f32_e32 v1, v9, v0
	v_mov_b32_e32 v9, v0
	v_dual_add_f32 v4, v4, v7 :: v_dual_mul_f32 v3, 0x3fb8aa3b, v1
	v_cmp_ngt_f32_e32 vcc_lo, 0xc2ce8ed0, v1
	s_delay_alu instid0(VALU_DEP_2) | instskip(NEXT) | instid1(VALU_DEP_2)
	v_exp_f32_e32 v4, v4
	v_fma_f32 v5, 0x3fb8aa3b, v1, -v3
	v_rndne_f32_e32 v6, v3
	s_delay_alu instid0(VALU_DEP_2) | instskip(NEXT) | instid1(VALU_DEP_2)
	v_fmac_f32_e32 v5, 0x32a5705f, v1
	v_sub_f32_e32 v3, v3, v6
	s_delay_alu instid0(VALU_DEP_1) | instskip(SKIP_2) | instid1(VALU_DEP_3)
	v_add_f32_e32 v3, v3, v5
	v_cvt_i32_f32_e32 v5, v6
	v_cvt_i32_f32_e32 v6, v8
	v_exp_f32_e32 v3, v3
	s_delay_alu instid0(TRANS32_DEP_2) | instid1(VALU_DEP_1)
	v_ldexp_f32 v4, v4, v6
	s_delay_alu instid0(TRANS32_DEP_1) | instskip(SKIP_1) | instid1(VALU_DEP_1)
	v_ldexp_f32 v3, v3, v5
	s_wait_alu 0xfffd
	v_cndmask_b32_e32 v3, 0, v3, vcc_lo
	v_cmp_ngt_f32_e32 vcc_lo, 0xc2ce8ed0, v2
	s_wait_alu 0xfffd
	v_cndmask_b32_e32 v4, 0, v4, vcc_lo
	v_cmp_nlt_f32_e32 vcc_lo, 0x42b17218, v1
	s_wait_alu 0xfffd
	v_cndmask_b32_e32 v1, 0x7f800000, v3, vcc_lo
	v_cmp_nlt_f32_e32 vcc_lo, 0x42b17218, v2
	s_delay_alu instid0(VALU_DEP_2) | instskip(SKIP_4) | instid1(VALU_DEP_2)
	v_cvt_f16_f32_e32 v3, v1
	s_wait_alu 0xfffd
	v_cndmask_b32_e32 v2, 0x7f800000, v4, vcc_lo
	v_cmp_eq_u32_e32 vcc_lo, 0, v33
	s_wait_alu 0xfffd
	v_dual_cndmask_b32 v2, 0, v2 :: v_dual_and_b32 v3, 0xffff, v3
	s_delay_alu instid0(VALU_DEP_1) | instskip(NEXT) | instid1(VALU_DEP_2)
	v_fmac_f32_e32 v2, v11, v1
	v_mul_u32_u24_e32 v1, 0x10001, v3
	s_delay_alu instid0(VALU_DEP_2) | instskip(NEXT) | instid1(VALU_DEP_2)
	v_mov_b32_e32 v11, v2
	v_pk_mul_f16 v21, v21, v1
	v_pk_mul_f16 v92, v92, v1
	;; [unrolled: 1-line block ×4, first 2 shown]
.LBB27_33:
	s_wait_alu 0xfffe
	s_or_b32 exec_lo, exec_lo, s3
	s_and_saveexec_b32 s3, s2
	s_cbranch_execz .LBB27_35
; %bb.34:
	v_dual_mov_b32 v0, 0xfeffffff :: v_dual_mov_b32 v1, 0
	s_wait_loadcnt 0x2
	v_add_nc_u32_e32 v2, 0x800, v14
	ds_store_2addr_b32 v2, v0, v1 offset1:32
.LBB27_35:
	s_wait_alu 0xfffe
	s_or_b32 exec_lo, exec_lo, s3
	s_wait_loadcnt 0x4
	v_cmp_eq_u32_e32 vcc_lo, 0, v33
	v_lshlrev_b32_e32 v2, 2, v32
	s_wait_storecnt 0x0
	s_wait_loadcnt_dscnt 0x0
	s_barrier_signal -1
	s_barrier_wait -1
	global_inv scope:SCOPE_SE
	s_and_saveexec_b32 s2, vcc_lo
; %bb.36:
	ds_store_b32 v2, v9 offset:2048
; %bb.37:
	s_wait_alu 0xfffe
	s_or_b32 exec_lo, exec_lo, s2
	s_wait_loadcnt_dscnt 0x0
	s_barrier_signal -1
	s_barrier_wait -1
	global_inv scope:SCOPE_SE
	ds_load_b32 v0, v14 offset:2048
	v_xor_b32_e32 v1, 16, v121
	v_xor_b32_e32 v4, 8, v121
	;; [unrolled: 1-line block ×5, first 2 shown]
	v_cmp_gt_i32_e64 s2, 32, v1
	s_load_b32 s1, s[0:1], 0xd4
	v_lshlrev_b32_e32 v13, 3, v33
	v_cndmask_b32_e64 v1, v121, v1, s2
	v_cmp_gt_i32_e64 s2, 32, v4
	s_delay_alu instid0(VALU_DEP_3) | instskip(NEXT) | instid1(VALU_DEP_3)
	v_lshl_add_u32 v13, v32, 9, v13
	v_lshlrev_b32_e32 v3, 2, v1
	s_wait_alu 0xf1ff
	s_delay_alu instid0(VALU_DEP_3)
	v_cndmask_b32_e64 v4, v121, v4, s2
	v_cmp_gt_i32_e64 s2, 32, v5
	s_wait_dscnt 0x0
	ds_bpermute_b32 v1, v3, v0
	v_max_num_f32_e32 v0, v0, v0
	s_wait_alu 0xf1ff
	v_cndmask_b32_e64 v5, v121, v5, s2
	v_cmp_gt_i32_e64 s2, 32, v6
	v_lshlrev_b32_e32 v4, 2, v4
	s_delay_alu instid0(VALU_DEP_3) | instskip(SKIP_1) | instid1(VALU_DEP_3)
	v_lshlrev_b32_e32 v5, 2, v5
	s_wait_alu 0xf1ff
	v_cndmask_b32_e64 v6, v121, v6, s2
	v_cmp_gt_i32_e64 s2, 32, v7
	s_delay_alu instid0(VALU_DEP_2) | instskip(SKIP_1) | instid1(VALU_DEP_2)
	v_lshlrev_b32_e32 v6, 2, v6
	s_wait_alu 0xf1ff
	v_cndmask_b32_e64 v7, v121, v7, s2
	s_wait_dscnt 0x0
	v_max_num_f32_e32 v1, v1, v1
	s_delay_alu instid0(VALU_DEP_1) | instskip(SKIP_3) | instid1(VALU_DEP_1)
	v_max_num_f32_e32 v0, v0, v1
	ds_bpermute_b32 v1, v4, v0
	s_wait_dscnt 0x0
	v_max_num_f32_e32 v1, v1, v1
	v_max_num_f32_e32 v0, v0, v1
	ds_bpermute_b32 v1, v5, v0
	s_wait_dscnt 0x0
	v_max_num_f32_e32 v1, v1, v1
	s_delay_alu instid0(VALU_DEP_1) | instskip(SKIP_3) | instid1(VALU_DEP_1)
	v_max_num_f32_e32 v0, v0, v1
	ds_bpermute_b32 v1, v6, v0
	s_wait_dscnt 0x0
	v_dual_max_num_f32 v8, v1, v1 :: v_dual_lshlrev_b32 v1, 2, v7
	v_max_num_f32_e32 v0, v0, v8
	ds_bpermute_b32 v7, v1, v0
	s_wait_dscnt 0x0
	v_max_num_f32_e32 v7, v7, v7
	s_delay_alu instid0(VALU_DEP_1) | instskip(NEXT) | instid1(VALU_DEP_1)
	v_max_num_f32_e32 v0, v0, v7
	v_sub_f32_e32 v7, v9, v0
	s_delay_alu instid0(VALU_DEP_1) | instskip(NEXT) | instid1(VALU_DEP_1)
	v_mul_f32_e32 v8, 0x3fb8aa3b, v7
	v_fma_f32 v9, 0x3fb8aa3b, v7, -v8
	v_rndne_f32_e32 v10, v8
	s_delay_alu instid0(VALU_DEP_1) | instskip(SKIP_1) | instid1(VALU_DEP_2)
	v_dual_sub_f32 v8, v8, v10 :: v_dual_fmamk_f32 v9, v7, 0x32a5705f, v9
	v_cmp_ngt_f32_e64 s2, 0xc2ce8ed0, v7
	v_add_f32_e32 v8, v8, v9
	v_cvt_i32_f32_e32 v9, v10
	s_delay_alu instid0(VALU_DEP_2) | instskip(NEXT) | instid1(TRANS32_DEP_1)
	v_exp_f32_e32 v8, v8
	v_ldexp_f32 v8, v8, v9
	s_wait_alu 0xf1ff
	s_delay_alu instid0(VALU_DEP_1) | instskip(SKIP_2) | instid1(VALU_DEP_1)
	v_cndmask_b32_e64 v8, 0, v8, s2
	v_cmp_nlt_f32_e64 s2, 0x42b17218, v7
	s_wait_alu 0xf1ff
	v_cndmask_b32_e64 v7, 0x7f800000, v8, s2
	s_delay_alu instid0(VALU_DEP_1)
	v_mul_f32_e32 v8, v11, v7
	v_cvt_f16_f32_e32 v10, v7
	ds_bpermute_b32 v8, v3, v8
	s_wait_dscnt 0x0
	v_fmac_f32_e32 v8, v11, v7
	ds_bpermute_b32 v9, v4, v8
	s_wait_dscnt 0x0
	v_add_f32_e32 v8, v8, v9
	ds_bpermute_b32 v9, v5, v8
	s_wait_dscnt 0x0
	v_add_f32_e32 v8, v8, v9
	;; [unrolled: 3-line block ×3, first 2 shown]
	v_and_b32_e32 v9, 0xffff, v10
	ds_bpermute_b32 v8, v1, v7
	v_mul_u32_u24_e32 v12, 0x10001, v9
	s_delay_alu instid0(VALU_DEP_1)
	v_pk_mul_f16 v9, v21, v12
	v_pk_mul_f16 v10, v92, v12
	;; [unrolled: 1-line block ×4, first 2 shown]
	ds_store_2addr_b64 v13, v[9:10], v[11:12] offset1:32
	s_and_saveexec_b32 s0, vcc_lo
	s_cbranch_execz .LBB27_39
; %bb.38:
	s_wait_dscnt 0x1
	v_add_f32_e32 v7, v7, v8
	ds_store_b32 v2, v7 offset:2176
.LBB27_39:
	s_or_b32 exec_lo, exec_lo, s0
	s_wait_loadcnt_dscnt 0x0
	s_barrier_signal -1
	s_barrier_wait -1
	global_inv scope:SCOPE_SE
	scratch_load_b32 v11, off, off offset:552 th:TH_LOAD_LU ; 4-byte Folded Reload
	ds_load_b32 v2, v14 offset:2176
	s_mul_i32 s2, s90, s88
	s_mov_b32 s3, 0
	s_wait_alu 0xfffe
	s_add_co_i32 s2, s2, ttmp9
	s_wait_alu 0xfffe
	s_mul_i32 s2, s2, s89
	s_wait_alu 0xfffe
	s_add_co_i32 s2, s2, s92
	s_wait_kmcnt 0x0
	s_wait_alu 0xfffe
	s_mul_i32 s2, s1, s2
	s_wait_alu 0xfffe
	s_add_co_i32 s2, s2, s95
	s_cmp_eq_u32 s1, 1
	s_wait_dscnt 0x0
	ds_bpermute_b32 v3, v3, v2
	s_wait_dscnt 0x0
	v_add_f32_e32 v2, v2, v3
	ds_bpermute_b32 v3, v4, v2
	s_wait_dscnt 0x0
	v_add_f32_e32 v2, v2, v3
	;; [unrolled: 3-line block ×3, first 2 shown]
	ds_bpermute_b32 v3, v6, v2
	s_wait_loadcnt 0x0
	ds_load_u16 v4, v11
	ds_load_u16 v5, v11 offset:1792
	ds_load_u16 v6, v11 offset:1280
	ds_load_u16 v7, v11 offset:768
	ds_load_u16 v8, v11 offset:256
	ds_load_u16 v9, v11 offset:512
	ds_load_u16 v10, v11 offset:1024
	ds_load_u16 v11, v11 offset:1536
	s_wait_dscnt 0x8
	v_add_f32_e32 v2, v2, v3
	ds_bpermute_b32 v1, v1, v2
	s_wait_dscnt 0x8
	v_cvt_f32_f16_e32 v3, v4
	s_wait_dscnt 0x7
	v_cvt_f32_f16_e32 v5, v5
	;; [unrolled: 2-line block ×6, first 2 shown]
	v_add_f32_e32 v3, 0, v3
	s_wait_dscnt 0x2
	v_cvt_f32_f16_e32 v9, v10
	v_add_f32_e32 v4, 0, v4
	s_delay_alu instid0(VALU_DEP_3) | instskip(SKIP_1) | instid1(VALU_DEP_2)
	v_add_f32_e32 v3, v3, v8
	s_wait_dscnt 0x0
	v_dual_add_f32 v1, v2, v1 :: v_dual_add_f32 v4, v4, v7
	v_cvt_f32_f16_e32 v7, v11
	s_delay_alu instid0(VALU_DEP_2) | instskip(NEXT) | instid1(VALU_DEP_1)
	v_dual_add_f32 v3, v3, v9 :: v_dual_add_f32 v4, v4, v6
	v_dual_add_f32 v6, v3, v7 :: v_dual_add_f32 v7, v4, v5
	s_delay_alu instid0(VALU_DEP_1) | instskip(NEXT) | instid1(VALU_DEP_2)
	v_div_scale_f32 v2, null, v1, v1, v6
	v_div_scale_f32 v4, null, v1, v1, v7
	s_delay_alu instid0(VALU_DEP_2) | instskip(SKIP_1) | instid1(VALU_DEP_2)
	v_rcp_f32_e32 v5, v2
	v_div_scale_f32 v11, s0, v7, v1, v7
	v_rcp_f32_e32 v8, v4
	s_delay_alu instid0(TRANS32_DEP_2) | instskip(NEXT) | instid1(TRANS32_DEP_1)
	v_fma_f32 v3, -v2, v5, 1.0
	v_fma_f32 v9, -v4, v8, 1.0
	s_delay_alu instid0(VALU_DEP_2) | instskip(SKIP_2) | instid1(VALU_DEP_1)
	v_fmac_f32_e32 v5, v3, v5
	v_mov_b32_e32 v3, 0
	v_div_scale_f32 v10, vcc_lo, v6, v1, v6
	v_dual_fmac_f32 v8, v9, v8 :: v_dual_mul_f32 v9, v10, v5
	s_delay_alu instid0(VALU_DEP_1) | instskip(NEXT) | instid1(VALU_DEP_1)
	v_fma_f32 v13, -v2, v9, v10
	v_dual_mul_f32 v12, v11, v8 :: v_dual_fmac_f32 v9, v13, v5
	s_delay_alu instid0(VALU_DEP_1) | instskip(NEXT) | instid1(VALU_DEP_2)
	v_fma_f32 v14, -v4, v12, v11
	v_fma_f32 v10, -v2, v9, v10
	s_delay_alu instid0(VALU_DEP_2)
	v_fmac_f32_e32 v12, v14, v8
	s_wait_alu 0xfffe
	v_lshl_or_b32 v2, s2, 8, v15
	s_wait_alu 0xfffd
	v_div_fmas_f32 v9, v10, v5, v9
	v_fma_f32 v11, -v4, v12, v11
	s_mov_b32 vcc_lo, s0
	v_lshlrev_b64_e32 v[4:5], 2, v[2:3]
	v_cmp_eq_u32_e64 s0, 0, v15
	s_wait_alu 0xfffe
	v_div_fmas_f32 v2, v11, v8, v12
	v_div_fixup_f32 v8, v9, v1, v6
	s_delay_alu instid0(VALU_DEP_4) | instskip(NEXT) | instid1(VALU_DEP_3)
	v_add_co_u32 v4, vcc_lo, s80, v4
	v_div_fixup_f32 v2, v2, v1, v7
	s_wait_alu 0xfffd
	v_add_co_ci_u32_e64 v5, null, s81, v5, vcc_lo
	s_cselect_b32 vcc_lo, -1, 0
	s_cmp_lg_u32 s1, 1
	s_wait_alu 0xfffe
	v_cndmask_b32_e32 v6, v6, v8, vcc_lo
	v_cndmask_b32_e32 v2, v7, v2, vcc_lo
	s_cselect_b32 s1, -1, 0
	s_clause 0x1
	global_store_b32 v[4:5], v6, off
	global_store_b32 v[4:5], v2, off offset:512
	s_and_b32 s0, s0, s1
	s_delay_alu instid0(SALU_CYCLE_1)
	s_and_saveexec_b32 s1, s0
	s_cbranch_execz .LBB27_41
; %bb.40:
	s_lshl_b64 s[0:1], s[2:3], 3
	s_delay_alu instid0(SALU_CYCLE_1)
	s_add_nc_u64 s[0:1], s[82:83], s[0:1]
	global_store_b64 v3, v[0:1], s[0:1]
.LBB27_41:
	s_nop 0
	s_sendmsg sendmsg(MSG_DEALLOC_VGPRS)
	s_endpgm
	.section	.rodata,"a",@progbits
	.p2align	6, 0x0
	.amdhsa_kernel _ZL18flash_attn_ext_vecILi256ELi1EL9ggml_type3ELS0_2ELb1EEvPKcS2_S2_S2_S2_PKiPfP15HIP_vector_typeIfLj2EEffffjfiS6_IjLj3EEiiiiiiiiiiiliiliiiiil
		.amdhsa_group_segment_fixed_size 2304
		.amdhsa_private_segment_fixed_size 668
		.amdhsa_kernarg_size 464
		.amdhsa_user_sgpr_count 2
		.amdhsa_user_sgpr_dispatch_ptr 0
		.amdhsa_user_sgpr_queue_ptr 0
		.amdhsa_user_sgpr_kernarg_segment_ptr 1
		.amdhsa_user_sgpr_dispatch_id 0
		.amdhsa_user_sgpr_private_segment_size 0
		.amdhsa_wavefront_size32 1
		.amdhsa_uses_dynamic_stack 0
		.amdhsa_enable_private_segment 1
		.amdhsa_system_sgpr_workgroup_id_x 1
		.amdhsa_system_sgpr_workgroup_id_y 1
		.amdhsa_system_sgpr_workgroup_id_z 1
		.amdhsa_system_sgpr_workgroup_info 0
		.amdhsa_system_vgpr_workitem_id 1
		.amdhsa_next_free_vgpr 256
		.amdhsa_next_free_sgpr 101
		.amdhsa_reserve_vcc 1
		.amdhsa_float_round_mode_32 0
		.amdhsa_float_round_mode_16_64 0
		.amdhsa_float_denorm_mode_32 3
		.amdhsa_float_denorm_mode_16_64 3
		.amdhsa_fp16_overflow 0
		.amdhsa_workgroup_processor_mode 1
		.amdhsa_memory_ordered 1
		.amdhsa_forward_progress 1
		.amdhsa_inst_pref_size 255
		.amdhsa_round_robin_scheduling 0
		.amdhsa_exception_fp_ieee_invalid_op 0
		.amdhsa_exception_fp_denorm_src 0
		.amdhsa_exception_fp_ieee_div_zero 0
		.amdhsa_exception_fp_ieee_overflow 0
		.amdhsa_exception_fp_ieee_underflow 0
		.amdhsa_exception_fp_ieee_inexact 0
		.amdhsa_exception_int_div_zero 0
	.end_amdhsa_kernel
	.section	.text._ZL18flash_attn_ext_vecILi256ELi1EL9ggml_type3ELS0_2ELb1EEvPKcS2_S2_S2_S2_PKiPfP15HIP_vector_typeIfLj2EEffffjfiS6_IjLj3EEiiiiiiiiiiiliiliiiiil,"axG",@progbits,_ZL18flash_attn_ext_vecILi256ELi1EL9ggml_type3ELS0_2ELb1EEvPKcS2_S2_S2_S2_PKiPfP15HIP_vector_typeIfLj2EEffffjfiS6_IjLj3EEiiiiiiiiiiiliiliiiiil,comdat
.Lfunc_end27:
	.size	_ZL18flash_attn_ext_vecILi256ELi1EL9ggml_type3ELS0_2ELb1EEvPKcS2_S2_S2_S2_PKiPfP15HIP_vector_typeIfLj2EEffffjfiS6_IjLj3EEiiiiiiiiiiiliiliiiiil, .Lfunc_end27-_ZL18flash_attn_ext_vecILi256ELi1EL9ggml_type3ELS0_2ELb1EEvPKcS2_S2_S2_S2_PKiPfP15HIP_vector_typeIfLj2EEffffjfiS6_IjLj3EEiiiiiiiiiiiliiliiiiil
                                        ; -- End function
	.set _ZL18flash_attn_ext_vecILi256ELi1EL9ggml_type3ELS0_2ELb1EEvPKcS2_S2_S2_S2_PKiPfP15HIP_vector_typeIfLj2EEffffjfiS6_IjLj3EEiiiiiiiiiiiliiliiiiil.num_vgpr, 256
	.set _ZL18flash_attn_ext_vecILi256ELi1EL9ggml_type3ELS0_2ELb1EEvPKcS2_S2_S2_S2_PKiPfP15HIP_vector_typeIfLj2EEffffjfiS6_IjLj3EEiiiiiiiiiiiliiliiiiil.num_agpr, 0
	.set _ZL18flash_attn_ext_vecILi256ELi1EL9ggml_type3ELS0_2ELb1EEvPKcS2_S2_S2_S2_PKiPfP15HIP_vector_typeIfLj2EEffffjfiS6_IjLj3EEiiiiiiiiiiiliiliiiiil.numbered_sgpr, 101
	.set _ZL18flash_attn_ext_vecILi256ELi1EL9ggml_type3ELS0_2ELb1EEvPKcS2_S2_S2_S2_PKiPfP15HIP_vector_typeIfLj2EEffffjfiS6_IjLj3EEiiiiiiiiiiiliiliiiiil.num_named_barrier, 0
	.set _ZL18flash_attn_ext_vecILi256ELi1EL9ggml_type3ELS0_2ELb1EEvPKcS2_S2_S2_S2_PKiPfP15HIP_vector_typeIfLj2EEffffjfiS6_IjLj3EEiiiiiiiiiiiliiliiiiil.private_seg_size, 668
	.set _ZL18flash_attn_ext_vecILi256ELi1EL9ggml_type3ELS0_2ELb1EEvPKcS2_S2_S2_S2_PKiPfP15HIP_vector_typeIfLj2EEffffjfiS6_IjLj3EEiiiiiiiiiiiliiliiiiil.uses_vcc, 1
	.set _ZL18flash_attn_ext_vecILi256ELi1EL9ggml_type3ELS0_2ELb1EEvPKcS2_S2_S2_S2_PKiPfP15HIP_vector_typeIfLj2EEffffjfiS6_IjLj3EEiiiiiiiiiiiliiliiiiil.uses_flat_scratch, 1
	.set _ZL18flash_attn_ext_vecILi256ELi1EL9ggml_type3ELS0_2ELb1EEvPKcS2_S2_S2_S2_PKiPfP15HIP_vector_typeIfLj2EEffffjfiS6_IjLj3EEiiiiiiiiiiiliiliiiiil.has_dyn_sized_stack, 0
	.set _ZL18flash_attn_ext_vecILi256ELi1EL9ggml_type3ELS0_2ELb1EEvPKcS2_S2_S2_S2_PKiPfP15HIP_vector_typeIfLj2EEffffjfiS6_IjLj3EEiiiiiiiiiiiliiliiiiil.has_recursion, 0
	.set _ZL18flash_attn_ext_vecILi256ELi1EL9ggml_type3ELS0_2ELb1EEvPKcS2_S2_S2_S2_PKiPfP15HIP_vector_typeIfLj2EEffffjfiS6_IjLj3EEiiiiiiiiiiiliiliiiiil.has_indirect_call, 0
	.section	.AMDGPU.csdata,"",@progbits
; Kernel info:
; codeLenInByte = 50912
; TotalNumSgprs: 103
; NumVgprs: 256
; ScratchSize: 668
; MemoryBound: 0
; FloatMode: 240
; IeeeMode: 1
; LDSByteSize: 2304 bytes/workgroup (compile time only)
; SGPRBlocks: 0
; VGPRBlocks: 31
; NumSGPRsForWavesPerEU: 103
; NumVGPRsForWavesPerEU: 256
; Occupancy: 5
; WaveLimiterHint : 0
; COMPUTE_PGM_RSRC2:SCRATCH_EN: 1
; COMPUTE_PGM_RSRC2:USER_SGPR: 2
; COMPUTE_PGM_RSRC2:TRAP_HANDLER: 0
; COMPUTE_PGM_RSRC2:TGID_X_EN: 1
; COMPUTE_PGM_RSRC2:TGID_Y_EN: 1
; COMPUTE_PGM_RSRC2:TGID_Z_EN: 1
; COMPUTE_PGM_RSRC2:TIDIG_COMP_CNT: 1
	.section	.text._ZL18flash_attn_ext_vecILi256ELi2EL9ggml_type3ELS0_2ELb0EEvPKcS2_S2_S2_S2_PKiPfP15HIP_vector_typeIfLj2EEffffjfiS6_IjLj3EEiiiiiiiiiiiliiliiiiil,"axG",@progbits,_ZL18flash_attn_ext_vecILi256ELi2EL9ggml_type3ELS0_2ELb0EEvPKcS2_S2_S2_S2_PKiPfP15HIP_vector_typeIfLj2EEffffjfiS6_IjLj3EEiiiiiiiiiiiliiliiiiil,comdat
	.globl	_ZL18flash_attn_ext_vecILi256ELi2EL9ggml_type3ELS0_2ELb0EEvPKcS2_S2_S2_S2_PKiPfP15HIP_vector_typeIfLj2EEffffjfiS6_IjLj3EEiiiiiiiiiiiliiliiiiil ; -- Begin function _ZL18flash_attn_ext_vecILi256ELi2EL9ggml_type3ELS0_2ELb0EEvPKcS2_S2_S2_S2_PKiPfP15HIP_vector_typeIfLj2EEffffjfiS6_IjLj3EEiiiiiiiiiiiliiliiiiil
	.p2align	8
	.type	_ZL18flash_attn_ext_vecILi256ELi2EL9ggml_type3ELS0_2ELb0EEvPKcS2_S2_S2_S2_PKiPfP15HIP_vector_typeIfLj2EEffffjfiS6_IjLj3EEiiiiiiiiiiiliiliiiiil,@function
_ZL18flash_attn_ext_vecILi256ELi2EL9ggml_type3ELS0_2ELb0EEvPKcS2_S2_S2_S2_PKiPfP15HIP_vector_typeIfLj2EEffffjfiS6_IjLj3EEiiiiiiiiiiiliiliiiiil: ; @_ZL18flash_attn_ext_vecILi256ELi2EL9ggml_type3ELS0_2ELb0EEvPKcS2_S2_S2_S2_PKiPfP15HIP_vector_typeIfLj2EEffffjfiS6_IjLj3EEiiiiiiiiiiiliiliiiiil
; %bb.0:
	s_clause 0x2
	s_load_b64 s[72:73], s[2:3], 0x64
	s_load_b64 s[12:13], s[2:3], 0x80
	;; [unrolled: 1-line block ×3, first 2 shown]
	s_lshr_b32 s8, ttmp7, 16
	v_mov_b32_e32 v40, 1.0
	s_wait_kmcnt 0x0
	s_cvt_f32_u32 s4, s73
	s_sub_co_i32 s5, 0, s73
	s_delay_alu instid0(SALU_CYCLE_2) | instskip(NEXT) | instid1(TRANS32_DEP_1)
	v_rcp_iflag_f32_e32 v1, s4
	v_readfirstlane_b32 s4, v1
	s_mul_f32 s4, s4, 0x4f7ffffe
	s_wait_alu 0xfffe
	s_delay_alu instid0(SALU_CYCLE_2) | instskip(SKIP_1) | instid1(SALU_CYCLE_2)
	s_cvt_u32_f32 s4, s4
	s_wait_alu 0xfffe
	s_mul_i32 s5, s5, s4
	s_wait_alu 0xfffe
	s_mul_hi_u32 s5, s4, s5
	s_wait_alu 0xfffe
	s_add_co_i32 s4, s4, s5
	s_wait_alu 0xfffe
	s_mul_hi_u32 s4, s8, s4
	s_wait_alu 0xfffe
	s_mul_i32 s5, s4, s73
	s_add_co_i32 s9, s4, 1
	s_wait_alu 0xfffe
	s_sub_co_i32 s5, s8, s5
	s_wait_alu 0xfffe
	s_sub_co_i32 s10, s5, s73
	s_cmp_ge_u32 s5, s73
	s_cselect_b32 s4, s9, s4
	s_cselect_b32 s5, s10, s5
	s_wait_alu 0xfffe
	s_add_co_i32 s9, s4, 1
	s_cmp_ge_u32 s5, s73
	s_cselect_b32 s74, s9, s4
	s_abs_i32 s4, s13
	s_abs_i32 s11, s73
	s_wait_alu 0xfffe
	s_cvt_f32_u32 s5, s4
	s_sub_co_i32 s9, 0, s4
	s_xor_b32 s10, s73, s13
	s_wait_alu 0xfffe
	v_rcp_iflag_f32_e32 v1, s5
	s_ashr_i32 s13, s10, 31
	s_delay_alu instid0(TRANS32_DEP_1) | instskip(SKIP_2) | instid1(SALU_CYCLE_2)
	v_readfirstlane_b32 s5, v1
	s_mul_f32 s5, s5, 0x4f7ffffe
	s_wait_alu 0xfffe
	s_cvt_u32_f32 s5, s5
	s_wait_alu 0xfffe
	s_delay_alu instid0(SALU_CYCLE_2) | instskip(NEXT) | instid1(SALU_CYCLE_1)
	s_mul_i32 s9, s9, s5
	s_mul_hi_u32 s9, s5, s9
	s_delay_alu instid0(SALU_CYCLE_1)
	s_add_co_i32 s5, s5, s9
	s_mul_i32 s9, s74, s73
	s_wait_alu 0xfffe
	s_mul_hi_u32 s5, s11, s5
	s_sub_co_i32 s76, s8, s9
	s_wait_alu 0xfffe
	s_mul_i32 s10, s5, s4
	s_add_co_i32 s9, s5, 1
	s_sub_co_i32 s8, s11, s10
	s_delay_alu instid0(SALU_CYCLE_1)
	s_sub_co_i32 s10, s8, s4
	s_cmp_ge_u32 s8, s4
	s_cselect_b32 s5, s9, s5
	s_cselect_b32 s8, s10, s8
	s_wait_alu 0xfffe
	s_add_co_i32 s14, s5, 1
	s_cmp_ge_u32 s8, s4
	s_load_b128 s[8:11], s[2:3], 0x40
	s_cselect_b32 s4, s14, s5
	s_wait_alu 0xfffe
	s_xor_b32 s5, s4, s13
	s_load_b32 s4, s[2:3], 0x50
	s_sub_co_i32 s15, s5, s13
	s_abs_i32 s13, s6
	s_abs_i32 s14, s15
	s_cvt_f32_u32 s5, s13
	s_cvt_f32_u32 s6, s14
	s_wait_alu 0xfffe
	s_delay_alu instid0(SALU_CYCLE_1) | instskip(NEXT) | instid1(SALU_CYCLE_1)
	v_rcp_iflag_f32_e32 v1, s5
	v_rcp_iflag_f32_e32 v2, s6
	s_wait_kmcnt 0x0
	s_cmp_le_f32 s9, 0
	s_mov_b32 s9, 0
	s_delay_alu instid0(TRANS32_DEP_2) | instskip(NEXT) | instid1(TRANS32_DEP_1)
	v_readfirstlane_b32 s16, v1
	v_readfirstlane_b32 s17, v2
	s_cbranch_scc1 .LBB28_2
; %bb.1:
	v_sub_co_u32 v1, s4, s76, s4
	s_and_b32 s6, s4, exec_lo
	s_cselect_b32 s6, s10, s11
	s_add_co_i32 s10, s76, 1
	v_readfirstlane_b32 s5, v1
	s_lshl_b32 s5, s5, 1
	s_wait_alu 0xfffe
	s_or_b32 s5, s5, 1
	s_and_b32 s4, s4, exec_lo
	s_wait_alu 0xfffe
	s_cselect_b32 s4, s10, s5
	s_cmp_neq_f32 s6, 1.0
	s_wait_alu 0xfffe
	s_cvt_f32_i32 s4, s4
	s_wait_alu 0xfffe
	s_delay_alu instid0(SALU_CYCLE_2)
	s_cselect_b32 s5, s4, 1.0
	s_wait_alu 0xfffe
	s_cmp_neq_f32 s5, 0
	s_cselect_b32 s4, s6, 1.0
	s_wait_alu 0xfffe
	v_frexp_mant_f32_e64 v1, |s4|
	s_delay_alu instid0(VALU_DEP_1) | instskip(SKIP_3) | instid1(SALU_CYCLE_1)
	v_readfirstlane_b32 s6, v1
	v_cvt_f64_f32_e64 v[1:2], |s4|
	s_cmp_lt_f32 s6, 0x3f2aaaab
	s_cselect_b32 s10, -1, 0
	s_and_b32 s11, s10, exec_lo
	s_cselect_b32 s11, 2.0, 1.0
	s_delay_alu instid0(SALU_CYCLE_1) | instskip(SKIP_1) | instid1(SALU_CYCLE_2)
	s_mul_f32 s6, s6, s11
	s_wait_alu 0xfffe
	s_add_f32 s11, s6, 1.0
	s_add_f32 s19, s6, -1.0
	s_delay_alu instid0(SALU_CYCLE_2) | instskip(SKIP_1) | instid1(SALU_CYCLE_3)
	v_s_rcp_f32 s18, s11
	s_add_f32 s22, s11, -1.0
	s_sub_f32 s6, s6, s22
	s_delay_alu instid0(TRANS32_DEP_1) | instskip(NEXT) | instid1(SALU_CYCLE_3)
	s_mul_f32 s20, s19, s18
	s_mul_f32 s21, s11, s20
	s_delay_alu instid0(SALU_CYCLE_3) | instskip(NEXT) | instid1(VALU_DEP_1)
	s_xor_b32 s23, s21, 0x80000000
	v_frexp_exp_i32_f64_e32 v1, v[1:2]
	s_fmac_f32 s23, s20, s11
	s_wait_alu 0xfffe
	s_delay_alu instid0(SALU_CYCLE_2) | instskip(NEXT) | instid1(SALU_CYCLE_3)
	s_fmac_f32 s23, s20, s6
	s_add_f32 s6, s21, s23
	s_wait_alu 0xfffe
	s_delay_alu instid0(SALU_CYCLE_2) | instskip(SKIP_2) | instid1(SALU_CYCLE_1)
	s_sub_f32 s11, s19, s6
	s_sub_f32 s21, s6, s21
	s_wait_alu 0xfffe
	s_sub_f32 s19, s19, s11
	s_delay_alu instid0(SALU_CYCLE_1) | instskip(NEXT) | instid1(SALU_CYCLE_2)
	s_sub_f32 s21, s21, s23
	s_sub_f32 s6, s19, s6
	s_wait_alu 0xfffe
	s_delay_alu instid0(SALU_CYCLE_2) | instskip(SKIP_2) | instid1(SALU_CYCLE_1)
	s_add_f32 s6, s21, s6
	s_mov_b32 s21, 0x3e76c4e1
	s_wait_alu 0xfffe
	s_add_f32 s6, s11, s6
	s_wait_alu 0xfffe
	s_delay_alu instid0(SALU_CYCLE_2) | instskip(SKIP_1) | instid1(SALU_CYCLE_2)
	s_mul_f32 s6, s18, s6
	s_wait_alu 0xfffe
	s_add_f32 s11, s20, s6
	s_wait_alu 0xfffe
	s_delay_alu instid0(SALU_CYCLE_2) | instskip(SKIP_1) | instid1(SALU_CYCLE_2)
	s_sub_f32 s18, s11, s20
	s_mul_f32 s19, s11, s11
	s_sub_f32 s6, s6, s18
	s_delay_alu instid0(SALU_CYCLE_2) | instskip(NEXT) | instid1(SALU_CYCLE_1)
	s_xor_b32 s18, s19, 0x80000000
	s_fmac_f32 s18, s11, s11
	s_wait_alu 0xfffe
	s_add_f32 s20, s6, s6
	s_delay_alu instid0(SALU_CYCLE_3) | instskip(NEXT) | instid1(SALU_CYCLE_3)
	s_fmac_f32 s18, s11, s20
	s_add_f32 s20, s19, s18
	s_delay_alu instid0(SALU_CYCLE_3) | instskip(SKIP_1) | instid1(SALU_CYCLE_2)
	s_fmaak_f32 s21, s20, s21, 0x3e91f4c4
	s_sub_f32 s19, s20, s19
	s_fmaak_f32 s21, s20, s21, 0x3ecccdef
	s_delay_alu instid0(SALU_CYCLE_2) | instskip(SKIP_1) | instid1(SALU_CYCLE_1)
	s_sub_f32 s18, s18, s19
	s_mul_f32 s19, s11, s20
	s_mul_f32 s22, s20, s21
	s_delay_alu instid0(SALU_CYCLE_2) | instskip(NEXT) | instid1(SALU_CYCLE_2)
	s_xor_b32 s24, s19, 0x80000000
	s_xor_b32 s23, s22, 0x80000000
	s_fmac_f32 s24, s20, s11
	s_fmac_f32 s23, s20, s21
	s_delay_alu instid0(SALU_CYCLE_2) | instskip(NEXT) | instid1(SALU_CYCLE_2)
	s_fmac_f32 s24, s20, s6
	s_fmac_f32 s23, s18, s21
	s_delay_alu instid0(SALU_CYCLE_2) | instskip(NEXT) | instid1(SALU_CYCLE_2)
	s_fmac_f32 s24, s18, s11
	s_add_f32 s21, s22, s23
	s_delay_alu instid0(SALU_CYCLE_3) | instskip(SKIP_1) | instid1(SALU_CYCLE_2)
	s_sub_f32 s22, s21, s22
	s_add_f32 s25, s21, 0x3f2aaaaa
	s_sub_f32 s22, s23, s22
	s_delay_alu instid0(SALU_CYCLE_2) | instskip(NEXT) | instid1(SALU_CYCLE_2)
	s_add_f32 s23, s25, 0xbf2aaaaa
	s_add_f32 s20, s22, 0x31739010
	s_delay_alu instid0(SALU_CYCLE_2) | instskip(NEXT) | instid1(SALU_CYCLE_3)
	s_sub_f32 s21, s21, s23
	s_add_f32 s18, s20, s21
	s_add_f32 s20, s19, s24
	s_delay_alu instid0(SALU_CYCLE_2) | instskip(NEXT) | instid1(SALU_CYCLE_2)
	s_add_f32 s21, s25, s18
	s_sub_f32 s19, s20, s19
	s_delay_alu instid0(SALU_CYCLE_2) | instskip(SKIP_1) | instid1(SALU_CYCLE_1)
	s_mul_f32 s22, s20, s21
	s_sub_f32 s23, s25, s21
	s_sub_f32 s19, s24, s19
	s_delay_alu instid0(SALU_CYCLE_1) | instskip(NEXT) | instid1(SALU_CYCLE_1)
	s_xor_b32 s25, s22, 0x80000000
	s_add_f32 s18, s18, s23
	s_fmac_f32 s25, s20, s21
	v_readfirstlane_b32 s23, v1
	v_ldexp_f32 v1, s11, 1
	s_cmp_lg_u32 s10, 0
	s_fmac_f32 s25, s20, s18
	s_sub_co_ci_u32 s10, s23, 0
	s_delay_alu instid0(VALU_DEP_1) | instskip(NEXT) | instid1(SALU_CYCLE_1)
	v_readfirstlane_b32 s11, v1
	s_fmac_f32 s25, s19, s21
	s_wait_alu 0xfffe
	s_cvt_f32_i32 s10, s10
	v_ldexp_f32 v1, s6, 1
	s_add_f32 s18, s22, s25
	s_wait_alu 0xfffe
	s_mul_f32 s6, s10, 0x3f317218
	s_delay_alu instid0(VALU_DEP_1)
	v_readfirstlane_b32 s21, v1
	s_add_f32 s19, s11, s18
	s_sub_f32 s20, s18, s22
	s_wait_alu 0xfffe
	s_xor_b32 s22, s6, 0x80000000
	s_sub_f32 s11, s19, s11
	s_sub_f32 s20, s25, s20
	s_fmamk_f32 s22, s10, 0x3f317218, s22
	s_wait_alu 0xfffe
	s_sub_f32 s11, s18, s11
	s_add_f32 s18, s21, s20
	s_fmamk_f32 s10, s10, 0xb102e308, s22
	s_wait_alu 0xfffe
	s_delay_alu instid0(SALU_CYCLE_1) | instskip(NEXT) | instid1(SALU_CYCLE_1)
	s_add_f32 s11, s18, s11
	s_add_f32 s18, s6, s10
	s_wait_alu 0xfffe
	s_delay_alu instid0(SALU_CYCLE_1) | instskip(NEXT) | instid1(SALU_CYCLE_1)
	s_add_f32 s20, s19, s11
	s_sub_f32 s6, s18, s6
	s_delay_alu instid0(SALU_CYCLE_2)
	s_add_f32 s21, s18, s20
	s_sub_f32 s19, s20, s19
	s_wait_alu 0xfffe
	s_sub_f32 s6, s10, s6
	s_sub_f32 s22, s21, s18
	;; [unrolled: 1-line block ×3, first 2 shown]
	s_delay_alu instid0(SALU_CYCLE_2) | instskip(SKIP_4) | instid1(SALU_CYCLE_3)
	s_sub_f32 s23, s21, s22
	s_sub_f32 s11, s20, s22
	s_wait_alu 0xfffe
	s_add_f32 s19, s6, s10
	s_sub_f32 s18, s18, s23
	s_add_f32 s11, s11, s18
	s_delay_alu instid0(SALU_CYCLE_1) | instskip(SKIP_1) | instid1(SALU_CYCLE_1)
	s_sub_f32 s18, s19, s6
	s_wait_alu 0xfffe
	s_add_f32 s11, s19, s11
	s_delay_alu instid0(SALU_CYCLE_1) | instskip(SKIP_4) | instid1(SALU_CYCLE_2)
	s_sub_f32 s19, s19, s18
	s_sub_f32 s10, s10, s18
	s_wait_alu 0xfffe
	s_add_f32 s20, s21, s11
	s_sub_f32 s6, s6, s19
	s_sub_f32 s18, s20, s21
	s_wait_alu 0xfffe
	s_delay_alu instid0(SALU_CYCLE_1) | instskip(NEXT) | instid1(SALU_CYCLE_1)
	s_add_f32 s6, s10, s6
	s_sub_f32 s10, s11, s18
	s_wait_alu 0xfffe
	s_delay_alu instid0(SALU_CYCLE_2) | instskip(SKIP_1) | instid1(SALU_CYCLE_2)
	s_add_f32 s6, s6, s10
	s_wait_alu 0xfffe
	s_add_f32 s10, s20, s6
	s_wait_alu 0xfffe
	s_delay_alu instid0(SALU_CYCLE_2) | instskip(SKIP_2) | instid1(SALU_CYCLE_1)
	s_mul_f32 s11, s5, s10
	s_sub_f32 s18, s10, s20
	s_wait_alu 0xfffe
	s_xor_b32 s19, s11, 0x80000000
	s_delay_alu instid0(SALU_CYCLE_1) | instskip(SKIP_2) | instid1(SALU_CYCLE_2)
	s_sub_f32 s6, s6, s18
	s_fmac_f32 s19, s5, s10
	s_wait_alu 0xfffe
	s_fmac_f32 s19, s5, s6
	v_cmp_class_f32_e64 s6, s11, 0x204
	s_delay_alu instid0(SALU_CYCLE_2) | instskip(SKIP_2) | instid1(SALU_CYCLE_1)
	s_add_f32 s10, s11, s19
	s_and_b32 s6, s6, exec_lo
	s_wait_alu 0xfffe
	s_sub_f32 s6, s10, s11
	s_cselect_b32 s10, s11, s10
	s_wait_alu 0xfffe
	s_and_b32 s11, s10, 0x7fffffff
	s_sub_f32 s6, s19, s6
	s_wait_alu 0xfffe
	s_cmp_neq_f32 s11, 0x7f800000
	s_delay_alu instid0(SALU_CYCLE_1)
	s_cselect_b32 s6, s6, 0
	s_cmp_eq_f32 s10, 0x42b17218
	s_cselect_b32 s11, 0x37000000, 0
	s_wait_alu 0xfffe
	s_sub_f32 s10, s10, s11
	s_add_f32 s6, s11, s6
	s_wait_alu 0xfffe
	s_delay_alu instid0(SALU_CYCLE_1) | instskip(NEXT) | instid1(SALU_CYCLE_3)
	s_mul_f32 s18, s10, 0x3fb8aa3b
	s_xor_b32 s19, s18, 0x80000000
	s_rndne_f32 s20, s18
	s_fmamk_f32 s19, s10, 0x3fb8aa3b, s19
	s_cmp_nlt_f32 s10, 0xc2ce8ed0
	s_delay_alu instid0(SALU_CYCLE_1) | instskip(NEXT) | instid1(SALU_CYCLE_1)
	s_sub_f32 s18, s18, s20
	s_fmamk_f32 s19, s10, 0x32a5705f, s19
	s_cselect_b32 vcc_lo, -1, 0
	s_cmp_ngt_f32 s10, 0x42b17218
	s_trunc_f32 s10, s5
	s_add_f32 s18, s18, s19
	s_cvt_i32_f32 s19, s20
	s_delay_alu instid0(SALU_CYCLE_2)
	v_s_exp_f32 s18, s18
	s_wait_alu 0xf1ff
	s_delay_alu instid0(TRANS32_DEP_1) | instid1(SALU_CYCLE_1)
	v_ldexp_f32 v1, s18, s19
	s_mul_f32 s18, s5, 0.5
	s_delay_alu instid0(VALU_DEP_1)
	v_cndmask_b32_e32 v1, 0, v1, vcc_lo
	s_cselect_b32 vcc_lo, -1, 0
	s_wait_alu 0xfffe
	s_cmp_eq_f32 s10, s5
	s_trunc_f32 s19, s18
	v_cndmask_b32_e32 v1, 0x7f800000, v1, vcc_lo
	s_cselect_b32 s20, -1, 0
	s_wait_alu 0xfffe
	s_cmp_neq_f32 s19, s18
	s_delay_alu instid0(VALU_DEP_1)
	v_fma_f32 v2, s6, v1, v1
	v_cmp_class_f32_e64 vcc_lo, v1, 0x204
	s_cselect_b32 s11, -1, 0
	s_wait_alu 0xfffe
	s_and_b32 s6, s20, s11
	s_wait_alu 0xfffd
	v_cndmask_b32_e32 v1, v2, v1, vcc_lo
	s_wait_alu 0xfffe
	s_and_b32 s11, s6, exec_lo
	s_cselect_b32 s11, s4, 1.0
	s_cmp_eq_f32 s10, s5
	v_cmp_class_f32_e64 s10, s4, 0x204
	s_wait_alu 0xfffe
	v_bfi_b32 v1, 0x7fffffff, v1, s11
	s_cselect_b32 vcc_lo, -1, 0
	s_cmp_lt_f32 s4, 0
	s_wait_alu 0xfffe
	s_delay_alu instid0(VALU_DEP_1) | instskip(SKIP_3) | instid1(VALU_DEP_1)
	v_cndmask_b32_e32 v2, 0x7fc00000, v1, vcc_lo
	s_cselect_b32 vcc_lo, -1, 0
	s_cmp_eq_f32 s4, 0
	s_wait_alu 0xfffe
	v_cndmask_b32_e32 v1, v1, v2, vcc_lo
	s_cselect_b32 s11, -1, 0
	s_wait_alu 0xfffe
	s_or_b32 vcc_lo, s11, s10
	s_cmp_lt_f32 s5, 0
	s_cselect_b32 s5, -1, 0
	s_wait_alu 0xfffe
	s_xor_b32 s5, s5, s11
	s_wait_alu 0xfffe
	s_and_b32 s5, s5, exec_lo
	s_cselect_b32 s5, 0, 0x7f800000
	s_and_b32 s6, s6, exec_lo
	s_cselect_b32 s6, s4, 0
	s_cmp_o_f32 s4, s4
	s_wait_alu 0xfffe
	v_mov_b32_e32 v2, s6
	s_delay_alu instid0(VALU_DEP_1) | instskip(NEXT) | instid1(VALU_DEP_1)
	v_bfi_b32 v2, 0x7fffffff, s5, v2
	v_cndmask_b32_e32 v1, v1, v2, vcc_lo
	s_cselect_b32 vcc_lo, -1, 0
	s_wait_alu 0xfffe
	s_delay_alu instid0(VALU_DEP_1)
	v_cndmask_b32_e32 v40, 0x7fc00000, v1, vcc_lo
.LBB28_2:
	s_load_b64 s[0:1], s[0:1], 0x4
	v_bfe_u32 v37, v0, 10, 10
	v_and_b32_e32 v119, 0x3ff, v0
	s_load_b512 s[52:67], s[2:3], 0x0
	v_bfe_u32 v0, v0, 20, 10
	s_delay_alu instid0(VALU_DEP_3) | instskip(NEXT) | instid1(VALU_DEP_3)
	v_dual_mov_b32 v5, 0 :: v_dual_lshlrev_b32 v38, 9, v37
	v_lshlrev_b32_e32 v39, 2, v119
	s_lshl_b32 s94, ttmp9, 1
	s_mov_b32 s10, exec_lo
	s_wait_kmcnt 0x0
	v_mul_u32_u24_e32 v1, s1, v37
	s_lshr_b32 s0, s0, 16
	s_wait_alu 0xfffe
	s_mul_i32 s0, s0, s1
	s_wait_alu 0xfffe
	v_mad_u32_u24 v1, s0, v119, v1
	v_cmp_lt_u32_e64 s0, 1, v37
	s_delay_alu instid0(VALU_DEP_2) | instskip(NEXT) | instid1(VALU_DEP_1)
	v_add_lshl_u32 v4, v1, v0, 5
	v_add_nc_u32_e32 v0, 0xa04, v4
	v_add_nc_u32_e32 v1, 0xa0c, v4
	;; [unrolled: 1-line block ×4, first 2 shown]
	ds_store_2addr_b32 v0, v5, v5 offset1:1
	ds_store_2addr_b32 v1, v5, v5 offset1:1
	;; [unrolled: 1-line block ×3, first 2 shown]
	ds_store_2addr_b32 v3, v5, v5 offset0:128 offset1:135
	v_cmpx_gt_u32_e32 2, v37
	s_cbranch_execz .LBB28_17
; %bb.3:
	v_lshl_add_u32 v2, v119, 3, v38
	v_sub_nc_u32_e32 v1, 0, v39
	v_or_b32_e32 v0, s94, v37
	v_add_nc_u32_e32 v6, v38, v119
	s_mov_b32 s1, exec_lo
	s_delay_alu instid0(VALU_DEP_3) | instskip(NEXT) | instid1(VALU_DEP_3)
	v_add_nc_u32_e32 v7, v2, v1
	v_cmpx_le_i32_e64 s72, v0
	s_wait_alu 0xfffe
	s_xor_b32 s1, exec_lo, s1
	s_cbranch_execz .LBB28_7
; %bb.4:
	v_mov_b32_e32 v0, 0
	v_mad_u32_u24 v1, v119, 3, v6
	s_mov_b32 s4, exec_lo
	ds_store_b32 v7, v0
	ds_store_b32 v1, v0 offset:128
	v_cmpx_gt_u32_e32 8, v119
; %bb.5:
	v_mov_b32_e32 v1, v0
	ds_store_b64 v2, v[0:1] offset:256
; %bb.6:
	s_wait_alu 0xfffe
	s_or_b32 exec_lo, exec_lo, s4
                                        ; implicit-def: $vgpr7
                                        ; implicit-def: $vgpr6
.LBB28_7:
	s_wait_alu 0xfffe
	s_and_not1_saveexec_b32 s1, s1
	s_cbranch_execz .LBB28_17
; %bb.8:
	s_load_b96 s[4:6], s[2:3], 0x70
	v_lshlrev_b32_e32 v1, 2, v39
	s_wait_kmcnt 0x0
	v_mul_lo_u32 v0, s4, v37
	s_mul_i32 s1, s74, s6
	s_mul_i32 s4, s4, s94
	;; [unrolled: 1-line block ×3, first 2 shown]
	s_wait_alu 0xfffe
	s_add_co_i32 s1, s1, s4
	s_mov_b32 s6, exec_lo
	s_wait_alu 0xfffe
	s_add_co_i32 s4, s1, s5
	s_wait_alu 0xfffe
	s_ashr_i32 s5, s4, 31
	v_ashrrev_i32_e32 v2, 31, v0
	s_wait_alu 0xfffe
	s_add_nc_u64 s[4:5], s[52:53], s[4:5]
	s_wait_alu 0xfffe
	v_add_co_u32 v0, vcc_lo, s4, v0
	s_wait_alu 0xfffd
	v_add_co_ci_u32_e64 v2, null, s5, v2, vcc_lo
	s_delay_alu instid0(VALU_DEP_2) | instskip(SKIP_1) | instid1(VALU_DEP_2)
	v_add_co_u32 v0, vcc_lo, v0, v1
	s_wait_alu 0xfffd
	v_add_co_ci_u32_e64 v1, null, 0, v2, vcc_lo
	v_mbcnt_lo_u32_b32 v2, -1, 0
	global_load_b128 v[16:19], v[0:1], off
	v_xor_b32_e32 v8, 4, v2
	v_xor_b32_e32 v11, 2, v2
	s_delay_alu instid0(VALU_DEP_2) | instskip(SKIP_2) | instid1(VALU_DEP_3)
	v_cmp_gt_i32_e32 vcc_lo, 32, v8
	s_wait_alu 0xfffd
	v_cndmask_b32_e32 v8, v2, v8, vcc_lo
	v_cmp_gt_i32_e32 vcc_lo, 32, v11
	s_wait_alu 0xfffd
	s_delay_alu instid0(VALU_DEP_2) | instskip(SKIP_4) | instid1(VALU_DEP_2)
	v_dual_cndmask_b32 v11, v2, v11 :: v_dual_lshlrev_b32 v8, 2, v8
	s_wait_loadcnt 0x0
	v_dual_mul_f32 v3, s8, v16 :: v_dual_mul_f32 v14, s8, v19
	v_mul_f32_e32 v13, s8, v17
	v_mul_f32_e32 v15, s8, v18
	v_max_num_f32_e64 v9, |v3|, |v13|
	s_delay_alu instid0(VALU_DEP_1) | instskip(SKIP_3) | instid1(VALU_DEP_1)
	v_max3_num_f32 v9, v9, |v15|, |v14|
	ds_bpermute_b32 v10, v8, v9
	s_wait_dscnt 0x0
	v_max_num_f32_e32 v12, v10, v10
	v_dual_max_num_f32 v11, v9, v12 :: v_dual_lshlrev_b32 v10, 2, v11
	v_xor_b32_e32 v12, 1, v2
	ds_bpermute_b32 v9, v10, v11
	v_cmp_gt_i32_e32 vcc_lo, 32, v12
	s_wait_alu 0xfffd
	v_cndmask_b32_e32 v2, v2, v12, vcc_lo
	s_wait_dscnt 0x0
	s_delay_alu instid0(VALU_DEP_1) | instskip(NEXT) | instid1(VALU_DEP_1)
	v_dual_max_num_f32 v12, v9, v9 :: v_dual_lshlrev_b32 v9, 2, v2
	v_max_num_f32_e32 v2, v11, v12
	v_fma_f32 v12, s8, v16, v13
	ds_bpermute_b32 v11, v9, v2
	v_fmac_f32_e32 v12, s8, v18
	s_delay_alu instid0(VALU_DEP_1) | instskip(SKIP_4) | instid1(VALU_DEP_1)
	v_fmac_f32_e32 v12, s8, v19
	ds_bpermute_b32 v16, v8, v12
	s_wait_dscnt 0x1
	v_max_num_f32_e32 v11, v11, v11
	s_wait_dscnt 0x0
	v_dual_max_num_f32 v2, v2, v11 :: v_dual_add_f32 v11, v12, v16
	s_delay_alu instid0(VALU_DEP_1) | instskip(SKIP_3) | instid1(TRANS32_DEP_1)
	v_div_scale_f32 v17, null, 0x42fe0000, 0x42fe0000, v2
	v_div_scale_f32 v19, vcc_lo, v2, 0x42fe0000, v2
	ds_bpermute_b32 v16, v10, v11
	v_rcp_f32_e32 v18, v17
	v_fma_f32 v12, -v17, v18, 1.0
	s_wait_dscnt 0x0
	s_delay_alu instid0(VALU_DEP_1) | instskip(NEXT) | instid1(VALU_DEP_1)
	v_dual_fmac_f32 v18, v12, v18 :: v_dual_add_f32 v11, v11, v16
	v_mul_f32_e32 v20, v19, v18
	s_delay_alu instid0(VALU_DEP_1) | instskip(NEXT) | instid1(VALU_DEP_1)
	v_fma_f32 v12, -v17, v20, v19
	v_fmac_f32_e32 v20, v12, v18
	ds_bpermute_b32 v12, v9, v11
	v_fma_f32 v16, -v17, v20, v19
	s_wait_alu 0xfffd
	s_delay_alu instid0(VALU_DEP_1) | instskip(NEXT) | instid1(VALU_DEP_1)
	v_div_fmas_f32 v16, v16, v18, v20
	v_div_fixup_f32 v2, v16, 0x42fe0000, v2
	v_mov_b32_e32 v16, 0
	s_delay_alu instid0(VALU_DEP_2)
	v_cmpx_neq_f32_e32 0, v2
	s_cbranch_execz .LBB28_10
; %bb.9:
	v_div_scale_f32 v16, null, v2, v2, v3
	v_div_scale_f32 v17, null, v2, v2, v13
	;; [unrolled: 1-line block ×3, first 2 shown]
	s_delay_alu instid0(VALU_DEP_3) | instskip(SKIP_1) | instid1(VALU_DEP_3)
	v_rcp_f32_e32 v18, v16
	v_div_scale_f32 v20, null, v2, v2, v14
	v_rcp_f32_e32 v21, v17
	s_delay_alu instid0(VALU_DEP_2) | instskip(SKIP_1) | instid1(VALU_DEP_2)
	v_rcp_f32_e32 v22, v19
	v_div_scale_f32 v26, vcc_lo, v3, v2, v3
	v_rcp_f32_e32 v23, v20
	v_fma_f32 v24, -v16, v18, 1.0
	s_delay_alu instid0(TRANS32_DEP_3) | instskip(NEXT) | instid1(TRANS32_DEP_2)
	v_fma_f32 v25, -v17, v21, 1.0
	v_fma_f32 v27, -v19, v22, 1.0
	s_delay_alu instid0(VALU_DEP_3) | instskip(SKIP_1) | instid1(TRANS32_DEP_1)
	v_fmac_f32_e32 v18, v24, v18
	v_div_scale_f32 v24, s1, v13, v2, v13
	v_fma_f32 v28, -v20, v23, 1.0
	s_delay_alu instid0(VALU_DEP_4) | instskip(SKIP_1) | instid1(VALU_DEP_3)
	v_dual_fmac_f32 v21, v25, v21 :: v_dual_fmac_f32 v22, v27, v22
	v_div_scale_f32 v25, s4, v15, v2, v15
	v_dual_fmac_f32 v23, v28, v23 :: v_dual_mul_f32 v28, v26, v18
	s_delay_alu instid0(VALU_DEP_3) | instskip(SKIP_1) | instid1(VALU_DEP_4)
	v_mul_f32_e32 v29, v24, v21
	v_div_scale_f32 v27, s5, v14, v2, v14
	v_mul_f32_e32 v30, v25, v22
	s_delay_alu instid0(VALU_DEP_4) | instskip(NEXT) | instid1(VALU_DEP_4)
	v_fma_f32 v32, -v16, v28, v26
	v_fma_f32 v33, -v17, v29, v24
	s_delay_alu instid0(VALU_DEP_4) | instskip(NEXT) | instid1(VALU_DEP_4)
	v_mul_f32_e32 v31, v27, v23
	v_fma_f32 v34, -v19, v30, v25
	s_delay_alu instid0(VALU_DEP_3) | instskip(NEXT) | instid1(VALU_DEP_3)
	v_dual_fmac_f32 v28, v32, v18 :: v_dual_fmac_f32 v29, v33, v21
	v_fma_f32 v35, -v20, v31, v27
	s_delay_alu instid0(VALU_DEP_3) | instskip(NEXT) | instid1(VALU_DEP_3)
	v_fmac_f32_e32 v30, v34, v22
	v_fma_f32 v16, -v16, v28, v26
	s_delay_alu instid0(VALU_DEP_4) | instskip(NEXT) | instid1(VALU_DEP_4)
	v_fma_f32 v17, -v17, v29, v24
	v_fmac_f32_e32 v31, v35, v23
	s_delay_alu instid0(VALU_DEP_4)
	v_fma_f32 v19, -v19, v30, v25
	s_wait_alu 0xfffd
	v_div_fmas_f32 v16, v16, v18, v28
	s_mov_b32 vcc_lo, s1
	s_wait_alu 0xfffe
	v_div_fmas_f32 v17, v17, v21, v29
	s_mov_b32 vcc_lo, s4
	v_div_fixup_f32 v3, v16, v2, v3
	s_wait_alu 0xfffe
	v_div_fmas_f32 v18, v19, v22, v30
	v_fma_f32 v19, -v20, v31, v27
	s_mov_b32 vcc_lo, s5
	v_div_fixup_f32 v13, v17, v2, v13
	v_trunc_f32_e32 v21, v3
	v_div_fixup_f32 v15, v18, v2, v15
	s_wait_alu 0xfffe
	v_div_fmas_f32 v18, v19, v23, v31
	s_delay_alu instid0(VALU_DEP_2) | instskip(NEXT) | instid1(VALU_DEP_2)
	v_trunc_f32_e32 v17, v15
	v_div_fixup_f32 v14, v18, v2, v14
	v_trunc_f32_e32 v18, v13
	s_delay_alu instid0(VALU_DEP_3) | instskip(NEXT) | instid1(VALU_DEP_3)
	v_sub_f32_e32 v19, v15, v17
	v_trunc_f32_e32 v16, v14
	s_delay_alu instid0(VALU_DEP_3) | instskip(NEXT) | instid1(VALU_DEP_3)
	v_sub_f32_e32 v20, v13, v18
	v_cmp_ge_f32_e64 s1, |v19|, 0.5
	s_delay_alu instid0(VALU_DEP_3) | instskip(SKIP_1) | instid1(VALU_DEP_2)
	v_sub_f32_e32 v22, v14, v16
	s_wait_alu 0xf1ff
	v_cndmask_b32_e64 v19, 0, 1.0, s1
	v_cmp_ge_f32_e64 s1, |v20|, 0.5
	s_delay_alu instid0(VALU_DEP_2) | instskip(SKIP_1) | instid1(VALU_DEP_2)
	v_bfi_b32 v15, 0x7fffffff, v19, v15
	s_wait_alu 0xf1ff
	v_cndmask_b32_e64 v20, 0, 1.0, s1
	v_sub_f32_e32 v19, v3, v21
	v_cmp_ge_f32_e64 s1, |v22|, 0.5
	s_delay_alu instid0(VALU_DEP_3) | instskip(SKIP_1) | instid1(VALU_DEP_2)
	v_bfi_b32 v13, 0x7fffffff, v20, v13
	s_wait_alu 0xf1ff
	v_cndmask_b32_e64 v22, 0, 1.0, s1
	v_cmp_ge_f32_e64 s1, |v19|, 0.5
	s_delay_alu instid0(VALU_DEP_3) | instskip(NEXT) | instid1(VALU_DEP_3)
	v_add_f32_e32 v13, v18, v13
	v_bfi_b32 v14, 0x7fffffff, v22, v14
	v_add_f32_e32 v15, v17, v15
	s_wait_alu 0xf1ff
	v_cndmask_b32_e64 v17, 0, 1.0, s1
	v_cvt_i32_f32_e32 v13, v13
	v_add_f32_e32 v14, v16, v14
	v_cvt_i32_f32_e32 v15, v15
	s_delay_alu instid0(VALU_DEP_4) | instskip(NEXT) | instid1(VALU_DEP_4)
	v_bfi_b32 v3, 0x7fffffff, v17, v3
	v_and_b32_e32 v13, 0xff, v13
	s_delay_alu instid0(VALU_DEP_4) | instskip(NEXT) | instid1(VALU_DEP_4)
	v_cvt_i32_f32_e32 v14, v14
	v_and_b32_e32 v15, 0xff, v15
	s_delay_alu instid0(VALU_DEP_4) | instskip(NEXT) | instid1(VALU_DEP_4)
	v_add_f32_e32 v3, v21, v3
	v_lshlrev_b32_e32 v13, 8, v13
	s_delay_alu instid0(VALU_DEP_3) | instskip(NEXT) | instid1(VALU_DEP_3)
	v_lshlrev_b32_e32 v15, 16, v15
	v_cvt_i32_f32_e32 v3, v3
	s_delay_alu instid0(VALU_DEP_2) | instskip(NEXT) | instid1(VALU_DEP_2)
	v_lshl_or_b32 v14, v14, 24, v15
	v_and_b32_e32 v3, 0xff, v3
	s_delay_alu instid0(VALU_DEP_1)
	v_or3_b32 v16, v14, v13, v3
.LBB28_10:
	s_or_b32 exec_lo, exec_lo, s6
	v_and_b32_e32 v3, 7, v119
	ds_store_b32 v7, v16
	v_cmp_eq_u32_e64 s1, 0, v3
	s_and_saveexec_b32 s4, s1
	s_cbranch_execz .LBB28_12
; %bb.11:
	s_wait_dscnt 0x1
	v_add_f32_e32 v3, v11, v12
	ds_store_b64 v6, v[2:3] offset:256
.LBB28_12:
	s_wait_alu 0xfffe
	s_or_b32 exec_lo, exec_lo, s4
	global_load_b128 v[14:17], v[0:1], off offset:512
	s_wait_loadcnt_dscnt 0x1
	v_dual_mul_f32 v3, s8, v14 :: v_dual_mul_f32 v12, s8, v17
	v_mul_f32_e32 v11, s8, v15
	v_mul_f32_e32 v13, s8, v16
	s_delay_alu instid0(VALU_DEP_2) | instskip(NEXT) | instid1(VALU_DEP_1)
	v_max_num_f32_e64 v0, |v3|, |v11|
	v_max3_num_f32 v0, v0, |v13|, |v12|
	ds_bpermute_b32 v1, v8, v0
	s_wait_dscnt 0x0
	v_max_num_f32_e32 v1, v1, v1
	s_delay_alu instid0(VALU_DEP_1) | instskip(SKIP_3) | instid1(VALU_DEP_1)
	v_max_num_f32_e32 v0, v0, v1
	v_fma_f32 v2, s8, v14, v11
	ds_bpermute_b32 v1, v10, v0
	v_fmac_f32_e32 v2, s8, v16
	v_fmac_f32_e32 v2, s8, v17
	s_mov_b32 s8, exec_lo
	ds_bpermute_b32 v8, v8, v2
	s_wait_dscnt 0x1
	v_max_num_f32_e32 v1, v1, v1
	s_delay_alu instid0(VALU_DEP_1) | instskip(SKIP_3) | instid1(VALU_DEP_1)
	v_max_num_f32_e32 v0, v0, v1
	ds_bpermute_b32 v1, v9, v0
	s_wait_dscnt 0x0
	v_max_num_f32_e32 v1, v1, v1
	v_dual_max_num_f32 v0, v0, v1 :: v_dual_add_f32 v1, v2, v8
	s_delay_alu instid0(VALU_DEP_1) | instskip(SKIP_3) | instid1(TRANS32_DEP_1)
	v_div_scale_f32 v14, null, 0x42fe0000, 0x42fe0000, v0
	ds_bpermute_b32 v8, v10, v1
	v_div_scale_f32 v10, vcc_lo, v0, 0x42fe0000, v0
	v_rcp_f32_e32 v15, v14
	v_fma_f32 v2, -v14, v15, 1.0
	s_delay_alu instid0(VALU_DEP_1) | instskip(SKIP_1) | instid1(VALU_DEP_1)
	v_fmac_f32_e32 v15, v2, v15
	s_wait_dscnt 0x0
	v_dual_add_f32 v1, v1, v8 :: v_dual_mul_f32 v16, v10, v15
	s_delay_alu instid0(VALU_DEP_1) | instskip(NEXT) | instid1(VALU_DEP_1)
	v_fma_f32 v2, -v14, v16, v10
	v_fmac_f32_e32 v16, v2, v15
	ds_bpermute_b32 v2, v9, v1
	v_fma_f32 v8, -v14, v16, v10
	s_wait_alu 0xfffd
	s_delay_alu instid0(VALU_DEP_1) | instskip(NEXT) | instid1(VALU_DEP_1)
	v_div_fmas_f32 v8, v8, v15, v16
	v_div_fixup_f32 v0, v8, 0x42fe0000, v0
	v_mov_b32_e32 v8, 0
	s_delay_alu instid0(VALU_DEP_2)
	v_cmpx_neq_f32_e32 0, v0
	s_cbranch_execz .LBB28_14
; %bb.13:
	v_div_scale_f32 v8, null, v0, v0, v3
	v_div_scale_f32 v9, null, v0, v0, v11
	v_div_scale_f32 v14, null, v0, v0, v13
	s_delay_alu instid0(VALU_DEP_3) | instskip(SKIP_1) | instid1(VALU_DEP_3)
	v_rcp_f32_e32 v10, v8
	v_div_scale_f32 v15, null, v0, v0, v12
	v_rcp_f32_e32 v16, v9
	s_delay_alu instid0(VALU_DEP_2) | instskip(SKIP_1) | instid1(VALU_DEP_2)
	v_rcp_f32_e32 v17, v14
	v_div_scale_f32 v21, vcc_lo, v3, v0, v3
	v_rcp_f32_e32 v18, v15
	v_fma_f32 v19, -v8, v10, 1.0
	s_delay_alu instid0(TRANS32_DEP_3) | instskip(NEXT) | instid1(TRANS32_DEP_2)
	v_fma_f32 v20, -v9, v16, 1.0
	v_fma_f32 v22, -v14, v17, 1.0
	s_delay_alu instid0(VALU_DEP_3) | instskip(SKIP_1) | instid1(TRANS32_DEP_1)
	v_fmac_f32_e32 v10, v19, v10
	v_div_scale_f32 v19, s4, v11, v0, v11
	v_fma_f32 v23, -v15, v18, 1.0
	s_delay_alu instid0(VALU_DEP_4) | instskip(SKIP_1) | instid1(VALU_DEP_3)
	v_dual_fmac_f32 v17, v22, v17 :: v_dual_fmac_f32 v16, v20, v16
	v_div_scale_f32 v20, s5, v13, v0, v13
	v_fmac_f32_e32 v18, v23, v18
	v_mul_f32_e32 v23, v21, v10
	v_div_scale_f32 v22, s6, v12, v0, v12
	s_delay_alu instid0(VALU_DEP_4) | instskip(NEXT) | instid1(VALU_DEP_3)
	v_mul_f32_e32 v25, v20, v17
	v_fma_f32 v27, -v8, v23, v21
	s_delay_alu instid0(VALU_DEP_2) | instskip(NEXT) | instid1(VALU_DEP_1)
	v_fma_f32 v29, -v14, v25, v20
	v_dual_mul_f32 v24, v19, v16 :: v_dual_fmac_f32 v25, v29, v17
	s_delay_alu instid0(VALU_DEP_1) | instskip(NEXT) | instid1(VALU_DEP_4)
	v_fma_f32 v28, -v9, v24, v19
	v_fmac_f32_e32 v23, v27, v10
	s_delay_alu instid0(VALU_DEP_3) | instskip(NEXT) | instid1(VALU_DEP_3)
	v_fma_f32 v14, -v14, v25, v20
	v_fmac_f32_e32 v24, v28, v16
	s_delay_alu instid0(VALU_DEP_3) | instskip(NEXT) | instid1(VALU_DEP_2)
	v_fma_f32 v8, -v8, v23, v21
	v_fma_f32 v9, -v9, v24, v19
	s_wait_alu 0xfffd
	s_delay_alu instid0(VALU_DEP_2)
	v_div_fmas_f32 v8, v8, v10, v23
	s_mov_b32 vcc_lo, s4
	s_wait_alu 0xfffe
	v_div_fmas_f32 v9, v9, v16, v24
	s_mov_b32 vcc_lo, s5
	v_div_fixup_f32 v3, v8, v0, v3
	s_wait_alu 0xfffe
	v_div_fmas_f32 v10, v14, v17, v25
	s_mov_b32 vcc_lo, s6
	v_div_fixup_f32 v9, v9, v0, v11
	v_mul_f32_e32 v26, v22, v18
	v_trunc_f32_e32 v16, v3
	v_div_fixup_f32 v10, v10, v0, v13
	s_delay_alu instid0(VALU_DEP_3) | instskip(NEXT) | instid1(VALU_DEP_2)
	v_fma_f32 v30, -v15, v26, v22
	v_trunc_f32_e32 v11, v10
	s_delay_alu instid0(VALU_DEP_2) | instskip(NEXT) | instid1(VALU_DEP_1)
	v_fmac_f32_e32 v26, v30, v18
	v_fma_f32 v14, -v15, v26, v22
	s_wait_alu 0xfffe
	s_delay_alu instid0(VALU_DEP_1) | instskip(NEXT) | instid1(VALU_DEP_1)
	v_div_fmas_f32 v13, v14, v18, v26
	v_div_fixup_f32 v12, v13, v0, v12
	v_trunc_f32_e32 v13, v9
	v_sub_f32_e32 v14, v10, v11
	s_delay_alu instid0(VALU_DEP_3) | instskip(NEXT) | instid1(VALU_DEP_3)
	v_trunc_f32_e32 v8, v12
	v_sub_f32_e32 v15, v9, v13
	s_delay_alu instid0(VALU_DEP_3) | instskip(NEXT) | instid1(VALU_DEP_3)
	v_cmp_ge_f32_e64 s4, |v14|, 0.5
	v_sub_f32_e32 v17, v12, v8
	s_wait_alu 0xf1ff
	s_delay_alu instid0(VALU_DEP_2) | instskip(SKIP_1) | instid1(VALU_DEP_2)
	v_cndmask_b32_e64 v14, 0, 1.0, s4
	v_cmp_ge_f32_e64 s4, |v15|, 0.5
	v_bfi_b32 v10, 0x7fffffff, v14, v10
	s_wait_alu 0xf1ff
	s_delay_alu instid0(VALU_DEP_2) | instskip(SKIP_2) | instid1(VALU_DEP_3)
	v_cndmask_b32_e64 v15, 0, 1.0, s4
	v_sub_f32_e32 v14, v3, v16
	v_cmp_ge_f32_e64 s4, |v17|, 0.5
	v_bfi_b32 v9, 0x7fffffff, v15, v9
	s_wait_alu 0xf1ff
	s_delay_alu instid0(VALU_DEP_2) | instskip(SKIP_1) | instid1(VALU_DEP_3)
	v_cndmask_b32_e64 v17, 0, 1.0, s4
	v_cmp_ge_f32_e64 s4, |v14|, 0.5
	v_add_f32_e32 v9, v13, v9
	s_delay_alu instid0(VALU_DEP_3) | instskip(NEXT) | instid1(VALU_DEP_2)
	v_bfi_b32 v12, 0x7fffffff, v17, v12
	v_cvt_i32_f32_e32 v9, v9
	v_add_f32_e32 v10, v11, v10
	s_wait_alu 0xf1ff
	v_cndmask_b32_e64 v11, 0, 1.0, s4
	s_delay_alu instid0(VALU_DEP_3) | instskip(NEXT) | instid1(VALU_DEP_3)
	v_and_b32_e32 v9, 0xff, v9
	v_cvt_i32_f32_e32 v10, v10
	s_delay_alu instid0(VALU_DEP_3) | instskip(NEXT) | instid1(VALU_DEP_3)
	v_bfi_b32 v3, 0x7fffffff, v11, v3
	v_dual_add_f32 v8, v8, v12 :: v_dual_lshlrev_b32 v9, 8, v9
	s_delay_alu instid0(VALU_DEP_2) | instskip(NEXT) | instid1(VALU_DEP_2)
	v_dual_add_f32 v3, v16, v3 :: v_dual_and_b32 v10, 0xff, v10
	v_cvt_i32_f32_e32 v8, v8
	s_delay_alu instid0(VALU_DEP_2) | instskip(NEXT) | instid1(VALU_DEP_3)
	v_lshlrev_b32_e32 v10, 16, v10
	v_cvt_i32_f32_e32 v3, v3
	s_delay_alu instid0(VALU_DEP_2) | instskip(NEXT) | instid1(VALU_DEP_2)
	v_lshl_or_b32 v8, v8, 24, v10
	v_and_b32_e32 v3, 0xff, v3
	s_delay_alu instid0(VALU_DEP_1)
	v_or3_b32 v8, v8, v9, v3
.LBB28_14:
	s_wait_alu 0xfffe
	s_or_b32 exec_lo, exec_lo, s8
	ds_store_b32 v7, v8 offset:128
	s_and_saveexec_b32 s4, s1
	s_cbranch_execz .LBB28_16
; %bb.15:
	s_wait_dscnt 0x1
	v_add_f32_e32 v1, v1, v2
	ds_store_b64 v6, v[0:1] offset:288
.LBB28_16:
	s_wait_alu 0xfffe
	s_or_b32 exec_lo, exec_lo, s4
.LBB28_17:
	s_delay_alu instid0(SALU_CYCLE_1)
	s_or_b32 exec_lo, exec_lo, s10
	v_and_b32_e32 v3, 1, v119
	s_wait_dscnt 0x0
	s_barrier_signal -1
	s_barrier_wait -1
	global_inv scope:SCOPE_SE
	v_lshlrev_b32_e32 v0, 2, v3
	ds_load_b128 v[6:9], v5 offset:256
	s_cmp_eq_u64 s[62:63], 0
	s_mov_b32 s53, s12
	ds_load_2addr_b32 v[1:2], v0 offset1:2
	s_wait_dscnt 0x1
	scratch_store_b128 off, v[6:9], off offset:292 ; 16-byte Folded Spill
	ds_load_b128 v[6:9], v5 offset:272
	s_wait_dscnt 0x1
	scratch_store_b64 off, v[1:2], off offset:260 ; 8-byte Folded Spill
	ds_load_2addr_b32 v[1:2], v0 offset0:4 offset1:6
	s_wait_dscnt 0x1
	scratch_store_b128 off, v[6:9], off offset:308 ; 16-byte Folded Spill
	ds_load_b128 v[6:9], v5 offset:288
	s_wait_dscnt 0x1
	scratch_store_b64 off, v[1:2], off offset:268 ; 8-byte Folded Spill
	ds_load_2addr_b32 v[1:2], v0 offset0:8 offset1:10
	;; [unrolled: 6-line block ×7, first 2 shown]
	s_wait_dscnt 0x1
	scratch_store_b128 off, v[5:8], off offset:628 ; 16-byte Folded Spill
	s_wait_dscnt 0x0
	scratch_store_b64 off, v[1:2], off offset:380 ; 8-byte Folded Spill
	ds_load_2addr_b32 v[1:2], v0 offset0:32 offset1:34
	s_wait_dscnt 0x0
	scratch_store_b64 off, v[1:2], off offset:388 ; 8-byte Folded Spill
	ds_load_2addr_b32 v[1:2], v0 offset0:36 offset1:38
	;; [unrolled: 3-line block ×24, first 2 shown]
	s_wait_dscnt 0x0
	scratch_store_b64 off, v[1:2], off offset:604 ; 8-byte Folded Spill
	s_wait_loadcnt 0x0
	s_wait_storecnt 0x0
	s_barrier_signal -1
	s_barrier_wait -1
	global_inv scope:SCOPE_SE
	s_cbranch_scc1 .LBB28_19
; %bb.18:
	s_load_b32 s1, s[2:3], 0xd0
	s_mov_b32 s5, 0
	s_wait_kmcnt 0x0
	s_mul_i32 s1, s1, s74
	s_wait_alu 0xfffe
	s_add_co_i32 s4, s1, ttmp9
	s_wait_alu 0xfffe
	s_lshl_b64 s[4:5], s[4:5], 2
	s_wait_alu 0xfffe
	s_add_nc_u64 s[4:5], s[62:63], s[4:5]
	s_load_b32 s53, s[4:5], 0x0
.LBB28_19:
	s_mov_b32 s80, 0xfeffffff
	s_mov_b32 s82, 0
	;; [unrolled: 1-line block ×3, first 2 shown]
	v_dual_mov_b32 v54, s80 :: v_dual_lshlrev_b32 v1, 5, v37
	s_mov_b32 s83, s82
	v_dual_mov_b32 v22, s82 :: v_dual_add_nc_u32 v127, 0xa00, v4
	s_delay_alu instid0(VALU_DEP_2)
	v_add_nc_u32_e32 v21, v1, v119
	s_and_b32 s62, ttmp7, 0xffff
	v_mov_b32_e32 v55, s81
	v_mov_b32_e32 v23, s83
	v_mbcnt_lo_u32_b32 v242, -1, 0
	v_lshlrev_b32_e32 v2, 1, v21
	s_lshl_b32 s63, s62, 7
	s_wait_kmcnt 0x0
	s_cmp_ge_i32 s63, s53
	scratch_store_b32 off, v2, off offset:1140 ; 4-byte Folded Spill
	s_cbranch_scc1 .LBB28_33
; %bb.20:
	s_mul_f32 s1, s17, 0x4f7ffffe
	s_mul_f32 s4, s16, 0x4f7ffffe
	s_sub_co_i32 s5, 0, s14
	s_sub_co_i32 s6, 0, s13
	s_wait_alu 0xfffe
	s_cvt_u32_f32 s1, s1
	s_cvt_u32_f32 s11, s4
	s_abs_i32 s8, s76
	s_clause 0x2
	scratch_store_b32 off, v21, off offset:1188
	scratch_store_b32 off, v38, off offset:1180
	scratch_store_b32 off, v37, off offset:1176
	s_wait_alu 0xfffe
	s_mul_i32 s5, s5, s1
	s_mul_i32 s6, s6, s11
	s_wait_alu 0xfffe
	s_mul_hi_u32 s5, s1, s5
	s_mul_hi_u32 s6, s11, s6
	s_wait_alu 0xfffe
	s_add_co_i32 s10, s1, s5
	s_add_co_i32 s16, s11, s6
	s_mov_b32 s11, s9
	s_clause 0x1
	s_load_b64 s[86:87], s[2:3], 0x8c
	s_load_b128 s[68:71], s[2:3], 0x98
	s_mul_u64 s[10:11], s[8:9], s[10:11]
	s_ashr_i32 s1, s76, 31
	s_wait_alu 0xfffe
	s_mul_i32 s6, s11, s14
	s_ashr_i32 s5, s15, 31
	s_wait_alu 0xfffe
	s_sub_co_i32 s6, s8, s6
	s_abs_i32 s4, s74
	s_ashr_i32 s75, s74, 31
	s_xor_b32 s1, s1, s5
	s_add_co_i32 s8, s11, 1
	s_wait_alu 0xfffe
	s_sub_co_i32 s10, s6, s14
	s_cmp_ge_u32 s6, s14
	s_mov_b32 s5, s9
	s_cselect_b32 s8, s8, s11
	s_wait_alu 0xfffe
	s_cselect_b32 s6, s10, s6
	s_add_co_i32 s10, s8, 1
	s_wait_alu 0xfffe
	s_cmp_ge_u32 s6, s14
	s_mov_b32 s17, s9
	s_cselect_b32 s6, s10, s8
	s_mul_u64 s[8:9], s[4:5], s[16:17]
	s_wait_alu 0xfffe
	s_xor_b32 s5, s6, s1
	v_and_b32_e32 v2, 0x7e, v119
	s_wait_alu 0xfffe
	s_sub_co_i32 s1, s5, s1
	s_mul_i32 s5, s9, s13
	s_wait_kmcnt 0x0
	s_wait_alu 0xfffe
	s_mul_i32 s84, s1, s87
	s_mul_i32 s88, s1, s71
	s_sub_co_i32 s1, s4, s5
	s_clause 0x1
	s_load_b32 s5, s[2:3], 0xd4
	s_load_b64 s[8:9], s[2:3], 0xc8
	s_ashr_i32 s85, s84, 31
	s_ashr_i32 s89, s88, 31
	s_sub_co_i32 s4, s1, s13
	s_cmp_ge_u32 s1, s13
	v_add_nc_u32_e32 v117, v1, v2
	s_wait_alu 0xfffe
	s_cselect_b32 s1, s4, s1
	s_mul_i32 s71, s7, s94
	s_wait_alu 0xfffe
	s_sub_co_i32 s4, s1, s13
	s_cmp_ge_u32 s1, s13
	v_add_nc_u32_e32 v4, s12, v117
	s_wait_alu 0xfffe
	s_cselect_b32 s1, s4, s1
	s_ashr_i32 s77, s71, 31
	s_wait_alu 0xfffe
	s_xor_b32 s1, s1, s75
	s_mov_b32 s93, s82
	s_wait_alu 0xfffe
	s_sub_co_i32 s6, s1, s75
	v_ashrrev_i32_e32 v5, 31, v4
	s_wait_alu 0xfffe
	s_ashr_i32 s7, s6, 31
	s_cmp_lg_u64 s[58:59], 0
	v_bfe_u32 v7, v119, 3, 27
	s_cselect_b32 s95, -1, 0
	s_wait_kmcnt 0x0
	s_lshl_b32 s78, s5, 7
	s_cmp_lt_i32 s94, s72
	s_load_b64 s[4:5], s[2:3], 0xa8
	s_cselect_b32 s1, -1, 0
	s_or_b32 s10, s94, 1
	s_wait_alu 0xfffe
	s_and_b32 s87, s95, s1
	s_cmp_lt_i32 s10, s72
	v_cmp_eq_u32_e64 s1, 0, v3
	s_cselect_b32 s96, -1, 0
	s_lshl_b32 s92, s63, 1
	v_lshlrev_b64_e32 v[3:4], 1, v[4:5]
	s_mul_u64 s[90:91], s[8:9], s[6:7]
	s_add_nc_u64 s[6:7], s[58:59], s[92:93]
	v_add_nc_u32_e32 v6, 0x80, v39
	s_wait_alu 0xfffe
	s_add_nc_u64 s[6:7], s[6:7], s[90:91]
	s_ashr_i32 s8, s12, 31
	s_wait_alu 0xfffe
	v_add_co_u32 v2, vcc_lo, s6, v3
	v_mul_u32_u24_e32 v3, 18, v7
	v_add_co_u32 v5, s9, s12, v117
	scratch_store_b32 off, v2, off offset:252 ; 4-byte Folded Spill
	s_wait_alu 0xfffd
	v_add_co_ci_u32_e64 v2, null, s7, v4, vcc_lo
	v_mul_hi_u32_u24_e32 v4, 18, v7
	v_lshrrev_b32_e32 v13, 5, v6
	v_and_b32_e32 v14, 12, v6
	s_wait_alu 0xf1ff
	v_add_co_ci_u32_e64 v6, null, s8, 0, s9
	v_mul_lo_u32 v9, v1, s70
	s_wait_kmcnt 0x0
	v_mad_co_u64_u32 v[11:12], null, s4, s74, v[3:4]
	s_delay_alu instid0(VALU_DEP_3)
	v_lshlrev_b64_e32 v[5:6], 1, v[5:6]
	s_mul_i32 s5, s5, s74
	s_mul_i32 s8, s4, s75
	v_mul_hi_u32_u24_e32 v8, 18, v13
	v_mul_u32_u24_e32 v7, 18, v13
	s_wait_alu 0xfffe
	s_add_co_i32 s8, s8, s5
	v_ashrrev_i32_e32 v10, 31, v9
	s_wait_alu 0xfffe
	v_add_nc_u32_e32 v12, s8, v12
	v_add_co_u32 v121, vcc_lo, s6, v5
	v_mad_co_u64_u32 v[28:29], null, s4, s74, v[7:8]
	s_wait_alu 0xfffd
	v_add_co_ci_u32_e64 v122, null, s7, v6, vcc_lo
	v_add_co_u32 v120, vcc_lo, v11, v9
	s_wait_alu 0xfffd
	v_add_co_ci_u32_e64 v209, null, v12, v10, vcc_lo
	v_add_co_u32 v16, vcc_lo, v11, v14
	s_wait_alu 0xfffd
	v_add_co_ci_u32_e64 v17, null, 0, v12, vcc_lo
	v_add_nc_u32_e32 v25, s8, v29
	s_delay_alu instid0(VALU_DEP_3) | instskip(SKIP_1) | instid1(VALU_DEP_3)
	v_add_co_u32 v211, vcc_lo, v16, v9
	s_wait_alu 0xfffd
	v_add_co_ci_u32_e64 v123, null, v17, v10, vcc_lo
	v_add_co_u32 v27, vcc_lo, v28, v14
	s_wait_alu 0xfffd
	v_add_co_ci_u32_e64 v26, null, 0, v25, vcc_lo
	v_add_co_u32 v93, vcc_lo, v28, v9
	v_add_nc_u32_e32 v23, s70, v9
	s_wait_alu 0xfffd
	v_add_co_ci_u32_e64 v126, null, v25, v10, vcc_lo
	v_add_co_u32 v124, vcc_lo, v27, v9
	s_wait_alu 0xfffd
	v_add_co_ci_u32_e64 v85, null, v26, v10, vcc_lo
	v_add_co_u32 v20, vcc_lo, v11, s88
	v_ashrrev_i32_e32 v24, 31, v23
	s_wait_alu 0xfffd
	v_add_co_ci_u32_e64 v18, null, s89, v12, vcc_lo
	v_add_co_u32 v21, vcc_lo, v16, s88
	s_wait_alu 0xfffd
	v_add_co_ci_u32_e64 v19, null, s89, v17, vcc_lo
	v_add_co_u32 v125, vcc_lo, v20, v23
	;; [unrolled: 3-line block ×4, first 2 shown]
	v_add_nc_u32_e32 v28, 31, v1
	s_wait_alu 0xfffd
	v_add_co_ci_u32_e64 v25, null, s89, v25, vcc_lo
	v_add_co_u32 v29, vcc_lo, v27, s88
	s_wait_alu 0xfffd
	v_add_co_ci_u32_e64 v49, null, s89, v26, vcc_lo
	v_mul_lo_u32 v26, s70, v28
	v_add_co_u32 v234, vcc_lo, v22, v23
	v_add_nc_u32_e32 v27, 30, v1
	v_add_nc_u32_e32 v15, s70, v23
	s_wait_alu 0xfffd
	v_add_co_ci_u32_e64 v116, null, v25, v24, vcc_lo
	v_add_co_u32 v240, vcc_lo, v29, v23
	v_ashrrev_i32_e32 v23, 31, v26
	s_wait_alu 0xfffd
	v_add_co_ci_u32_e64 v238, null, v49, v24, vcc_lo
	v_mul_lo_u32 v27, s70, v27
	v_add_co_u32 v52, vcc_lo, v29, v26
	s_wait_alu 0xfffd
	v_add_co_ci_u32_e64 v53, null, v49, v23, vcc_lo
	v_add_co_u32 v54, vcc_lo, v22, v26
	s_wait_alu 0xfffd
	v_add_co_ci_u32_e64 v55, null, v25, v23, vcc_lo
	;; [unrolled: 3-line block ×3, first 2 shown]
	v_add_nc_u32_e32 v30, 29, v1
	v_add_co_u32 v58, vcc_lo, v20, v26
	s_wait_alu 0xfffd
	v_add_co_ci_u32_e64 v59, null, v18, v23, vcc_lo
	v_ashrrev_i32_e32 v23, 31, v27
	v_mul_lo_u32 v26, s70, v30
	v_add_co_u32 v60, vcc_lo, v29, v27
	v_add_nc_u32_e32 v30, 28, v1
	s_wait_alu 0xfffd
	v_add_co_ci_u32_e64 v61, null, v49, v23, vcc_lo
	v_add_co_u32 v62, vcc_lo, v22, v27
	s_wait_alu 0xfffd
	v_add_co_ci_u32_e64 v63, null, v25, v23, vcc_lo
	v_add_co_u32 v64, vcc_lo, v21, v27
	;; [unrolled: 3-line block ×3, first 2 shown]
	s_wait_alu 0xfffd
	v_add_co_ci_u32_e64 v67, null, v18, v23, vcc_lo
	v_ashrrev_i32_e32 v23, 31, v26
	v_mul_lo_u32 v27, s70, v30
	v_add_co_u32 v68, vcc_lo, v29, v26
	v_add_nc_u32_e32 v30, 27, v1
	s_wait_alu 0xfffd
	v_add_co_ci_u32_e64 v69, null, v49, v23, vcc_lo
	v_add_co_u32 v70, vcc_lo, v22, v26
	s_wait_alu 0xfffd
	v_add_co_ci_u32_e64 v71, null, v25, v23, vcc_lo
	v_add_co_u32 v72, vcc_lo, v21, v26
	;; [unrolled: 3-line block ×3, first 2 shown]
	s_wait_alu 0xfffd
	v_add_co_ci_u32_e64 v75, null, v18, v23, vcc_lo
	v_ashrrev_i32_e32 v23, 31, v27
	v_add_co_u32 v76, vcc_lo, v29, v27
	v_mul_lo_u32 v26, s70, v30
	v_add_nc_u32_e32 v32, s70, v15
	s_wait_alu 0xfffd
	v_add_co_ci_u32_e64 v77, null, v49, v23, vcc_lo
	v_add_co_u32 v78, vcc_lo, v22, v27
	s_wait_alu 0xfffd
	v_add_co_ci_u32_e64 v79, null, v25, v23, vcc_lo
	v_add_co_u32 v80, vcc_lo, v21, v27
	;; [unrolled: 3-line block ×3, first 2 shown]
	s_wait_alu 0xfffd
	v_add_co_ci_u32_e64 v83, null, v18, v23, vcc_lo
	v_add_nc_u32_e32 v23, 26, v1
	v_ashrrev_i32_e32 v27, 31, v26
	v_add_co_u32 v84, vcc_lo, v22, v26
	v_add_co_u32 v142, s4, v21, v26
	s_delay_alu instid0(VALU_DEP_4)
	v_mul_lo_u32 v23, s70, v23
	v_add_co_u32 v86, s5, v20, v26
	v_add_co_u32 v87, s6, v29, v26
	v_add_nc_u32_e32 v26, 25, v1
	s_wait_alu 0xf1ff
	v_add_co_ci_u32_e64 v88, null, v49, v27, s6
	s_wait_alu 0xfffd
	v_add_co_ci_u32_e64 v89, null, v25, v27, vcc_lo
	v_mul_lo_u32 v26, s70, v26
	v_add_co_ci_u32_e64 v90, null, v19, v27, s4
	v_add_co_ci_u32_e64 v91, null, v18, v27, s5
	v_ashrrev_i32_e32 v27, 31, v23
	v_add_co_u32 v92, vcc_lo, v22, v23
	v_add_co_u32 v101, s4, v21, v23
	v_add_co_u32 v94, s5, v20, v23
	;; [unrolled: 1-line block ×3, first 2 shown]
	v_add_nc_u32_e32 v23, 24, v1
	s_wait_alu 0xf1ff
	v_add_co_ci_u32_e64 v96, null, v49, v27, s6
	s_wait_alu 0xfffd
	v_add_co_ci_u32_e64 v97, null, v25, v27, vcc_lo
	v_add_co_ci_u32_e64 v98, null, v19, v27, s4
	v_add_co_ci_u32_e64 v99, null, v18, v27, s5
	v_mul_lo_u32 v23, s70, v23
	v_ashrrev_i32_e32 v27, 31, v26
	v_add_co_u32 v100, vcc_lo, v22, v26
	v_add_co_u32 v4, s4, v21, v26
	v_add_co_u32 v102, s5, v20, v26
	;; [unrolled: 1-line block ×3, first 2 shown]
	v_add_nc_u32_e32 v26, 23, v1
	s_wait_alu 0xf1ff
	v_add_co_ci_u32_e64 v104, null, v49, v27, s6
	s_wait_alu 0xfffd
	v_add_co_ci_u32_e64 v105, null, v25, v27, vcc_lo
	v_mul_lo_u32 v26, s70, v26
	v_add_co_ci_u32_e64 v106, null, v19, v27, s4
	v_add_co_ci_u32_e64 v107, null, v18, v27, s5
	v_ashrrev_i32_e32 v27, 31, v23
	v_add_co_u32 v108, vcc_lo, v22, v23
	v_add_co_u32 v109, s4, v21, v23
	v_add_co_u32 v110, s5, v20, v23
	;; [unrolled: 1-line block ×3, first 2 shown]
	v_add_nc_u32_e32 v23, 22, v1
	s_wait_alu 0xf1ff
	v_add_co_ci_u32_e64 v112, null, v49, v27, s6
	s_wait_alu 0xfffd
	v_add_co_ci_u32_e64 v113, null, v25, v27, vcc_lo
	v_add_co_ci_u32_e64 v114, null, v19, v27, s4
	v_add_co_ci_u32_e64 v115, null, v18, v27, s5
	v_mul_lo_u32 v23, s70, v23
	v_ashrrev_i32_e32 v27, 31, v26
	v_add_co_u32 v231, vcc_lo, v22, v26
	v_add_co_u32 v237, s4, v21, v26
	v_add_co_u32 v191, s5, v20, v26
	;; [unrolled: 1-line block ×3, first 2 shown]
	v_add_nc_u32_e32 v26, 21, v1
	s_wait_alu 0xf1ff
	v_add_co_ci_u32_e64 v227, null, v49, v27, s6
	s_wait_alu 0xfffd
	v_add_co_ci_u32_e64 v216, null, v25, v27, vcc_lo
	v_mul_lo_u32 v26, s70, v26
	v_add_co_ci_u32_e64 v250, null, v19, v27, s4
	v_add_co_ci_u32_e64 v208, null, v18, v27, s5
	v_ashrrev_i32_e32 v27, 31, v23
	v_add_co_u32 v253, vcc_lo, v22, v23
	v_add_co_u32 v130, s4, v21, v23
	v_add_co_u32 v137, s5, v20, v23
	;; [unrolled: 1-line block ×3, first 2 shown]
	v_add_nc_u32_e32 v23, 20, v1
	v_add_nc_u32_e32 v33, s70, v32
	s_wait_alu 0xf1ff
	v_add_co_ci_u32_e64 v233, null, v49, v27, s6
	s_wait_alu 0xfffd
	v_add_co_ci_u32_e64 v129, null, v25, v27, vcc_lo
	v_add_co_ci_u32_e64 v131, null, v19, v27, s4
	v_add_co_ci_u32_e64 v132, null, v18, v27, s5
	v_ashrrev_i32_e32 v27, 31, v26
	v_add_co_u32 v235, vcc_lo, v22, v26
	v_add_co_u32 v204, s4, v21, v26
	v_add_co_u32 v24, s5, v20, v26
	;; [unrolled: 1-line block ×3, first 2 shown]
	v_add_nc_u32_e32 v26, 19, v1
	v_mul_lo_u32 v23, s70, v23
	v_add_nc_u32_e32 v34, s70, v33
	s_wait_alu 0xf1ff
	v_add_co_ci_u32_e64 v138, null, v49, v27, s6
	v_mul_lo_u32 v26, s70, v26
	s_wait_alu 0xfffd
	v_add_co_ci_u32_e64 v252, null, v25, v27, vcc_lo
	v_add_nc_u32_e32 v35, s70, v34
	v_add_co_ci_u32_e64 v140, null, v19, v27, s4
	v_add_co_ci_u32_e64 v194, null, v18, v27, s5
	v_ashrrev_i32_e32 v27, 31, v23
	v_add_co_u32 v139, vcc_lo, v22, v23
	v_add_co_u32 v143, s4, v21, v23
	v_add_co_u32 v144, s5, v20, v23
	v_add_co_u32 v145, s6, v29, v23
	v_ashrrev_i32_e32 v23, 31, v26
	v_add_nc_u32_e32 v30, s70, v35
	s_wait_alu 0xf1ff
	v_add_co_ci_u32_e64 v146, null, v49, v27, s6
	s_wait_alu 0xfffd
	v_add_co_ci_u32_e64 v147, null, v25, v27, vcc_lo
	v_add_co_ci_u32_e64 v148, null, v19, v27, s4
	v_add_co_ci_u32_e64 v149, null, v18, v27, s5
	v_add_co_u32 v150, vcc_lo, v22, v26
	v_add_co_u32 v151, s4, v21, v26
	v_add_co_u32 v152, s5, v20, v26
	;; [unrolled: 1-line block ×3, first 2 shown]
	s_wait_alu 0xf1ff
	v_add_co_ci_u32_e64 v154, null, v49, v23, s6
	s_wait_alu 0xfffd
	v_add_co_ci_u32_e64 v155, null, v25, v23, vcc_lo
	v_add_co_ci_u32_e64 v156, null, v19, v23, s4
	v_add_co_ci_u32_e64 v157, null, v18, v23, s5
	v_add_nc_u32_e32 v23, s70, v30
	scratch_store_b32 off, v2, off offset:256 ; 4-byte Folded Spill
	v_lshlrev_b32_e32 v1, 1, v1
	v_ashrrev_i32_e32 v220, 31, v33
	v_add_co_u32 v232, s41, v22, v33
	v_add_nc_u32_e32 v26, s70, v23
	v_ashrrev_i32_e32 v222, 31, v15
	v_add_co_u32 v223, s49, v21, v15
	v_add_co_u32 v224, s50, v20, v15
	s_delay_alu instid0(VALU_DEP_4) | instskip(SKIP_3) | instid1(VALU_DEP_4)
	v_add_nc_u32_e32 v27, s70, v26
	v_ashrrev_i32_e32 v210, 31, v26
	v_add_co_u32 v246, s51, v22, v15
	v_ashrrev_i32_e32 v215, 31, v23
	v_add_nc_u32_e32 v31, s70, v27
	v_ashrrev_i32_e32 v205, 31, v27
	v_ashrrev_i32_e32 v217, 31, v30
	;; [unrolled: 1-line block ×4, first 2 shown]
	v_add_nc_u32_e32 v36, s70, v31
	v_ashrrev_i32_e32 v200, 31, v31
	v_ashrrev_i32_e32 v221, 31, v32
	v_add_co_u32 v243, s45, v22, v32
	s_delay_alu instid0(VALU_DEP_4)
	v_add_co_u32 v2, s10, v20, v36
	v_add_nc_u32_e32 v37, s70, v36
	v_add_co_u32 v198, s7, v29, v36
	scratch_store_b32 off, v2, off offset:156 ; 4-byte Folded Spill
	v_add_co_u32 v2, s11, v29, v31
	v_add_nc_u32_e32 v136, s70, v37
	v_ashrrev_i32_e32 v190, 31, v37
	v_ashrrev_i32_e32 v195, 31, v36
	scratch_store_b32 off, v2, off offset:172 ; 4-byte Folded Spill
	v_add_co_u32 v2, s12, v22, v31
	v_add_nc_u32_e32 v38, s70, v136
	v_add_co_u32 v202, s8, v22, v36
	scratch_store_b32 off, v2, off offset:148 ; 4-byte Folded Spill
	v_add_co_u32 v2, s13, v21, v31
	v_add_co_u32 v201, s9, v21, v36
	v_add_co_u32 v244, s46, v21, v32
	scratch_store_b32 off, v2, off offset:160 ; 4-byte Folded Spill
	v_add_co_u32 v2, s14, v20, v31
	v_add_co_u32 v245, s47, v20, v32
	s_wait_alu 0xf1ff
	v_add_co_ci_u32_e64 v28, null, v19, v200, s13
	scratch_store_b32 off, v2, off offset:140 ; 4-byte Folded Spill
	v_add_co_u32 v2, s15, v29, v27
	v_add_co_u32 v212, s43, v20, v33
	v_add_co_ci_u32_e64 v206, null, v18, v195, s10
	scratch_store_b32 off, v2, off offset:152 ; 4-byte Folded Spill
	v_add_co_u32 v2, s16, v22, v27
	v_add_co_ci_u32_e64 v214, null, v18, v200, s14
	v_add_co_ci_u32_e64 v17, null, v25, v195, s8
	scratch_store_b32 off, v2, off offset:132 ; 4-byte Folded Spill
	v_add_co_u32 v2, s17, v21, v27
	s_delay_alu instid0(VALU_DEP_1)
	v_add_co_ci_u32_e64 v118, null, v19, v205, s17
	v_add_co_ci_u32_e64 v7, null, v25, v200, s12
	scratch_store_b32 off, v2, off offset:144 ; 4-byte Folded Spill
	v_add_co_u32 v2, s18, v20, v27
	s_wait_alu 0xf1ff
	v_add_co_ci_u32_e64 v43, null, v18, v205, s18
	v_add_co_ci_u32_e64 v11, null, v25, v205, s16
	scratch_store_b32 off, v2, off offset:124 ; 4-byte Folded Spill
	v_add_co_u32 v2, s19, v29, v26
	s_wait_alu 0xf1ff
	v_add_co_ci_u32_e64 v14, null, v49, v210, s19
	s_clause 0x1
	scratch_store_b32 off, v1, off offset:1160
	scratch_store_b32 off, v2, off offset:136
	v_add_co_u32 v2, s20, v22, v26
	s_delay_alu instid0(VALU_DEP_1)
	v_add_co_ci_u32_e64 v16, null, v25, v210, s20
	v_add_co_ci_u32_e64 v10, null, v49, v205, s15
	scratch_store_b32 off, v2, off offset:116 ; 4-byte Folded Spill
	v_add_co_u32 v2, s21, v21, v26
	s_wait_alu 0xf1ff
	v_add_co_ci_u32_e64 v50, null, v19, v210, s21
	s_add_nc_u64 s[14:15], s[54:55], s[84:85]
	scratch_store_b32 off, v2, off offset:128 ; 4-byte Folded Spill
	v_add_co_u32 v2, s22, v20, v26
	v_add_co_ci_u32_e64 v26, null, v25, v220, s41
	v_add_co_ci_u32_e64 v47, null, v18, v210, s22
	scratch_store_b32 off, v2, off offset:108 ; 4-byte Folded Spill
	v_add_co_u32 v2, s23, v29, v23
	v_add_co_ci_u32_e64 v210, null, v19, v222, s49
	s_clause 0x1
	scratch_store_b32 off, v26, off offset:188
	scratch_store_b32 off, v2, off offset:120
	v_add_co_u32 v2, s24, v22, v23
	v_add_co_ci_u32_e64 v26, null, v18, v220, s43
	v_add_co_ci_u32_e64 v213, null, v25, v215, s24
	scratch_store_b32 off, v2, off offset:100 ; 4-byte Folded Spill
	v_add_co_u32 v2, s25, v21, v23
	s_wait_alu 0xf1ff
	v_add_co_ci_u32_e64 v175, null, v19, v215, s25
	v_add_co_ci_u32_e64 v228, null, v49, v215, s23
	scratch_store_b32 off, v2, off offset:112 ; 4-byte Folded Spill
	v_add_co_u32 v2, s26, v20, v23
	s_delay_alu instid0(VALU_DEP_1)
	v_add_co_ci_u32_e64 v48, null, v18, v215, s26
	v_xor_b32_e32 v215, 16, v242
	scratch_store_b32 off, v2, off offset:92 ; 4-byte Folded Spill
	v_add_co_u32 v2, s27, v29, v30
	s_wait_alu 0xf1ff
	v_add_co_ci_u32_e64 v51, null, v49, v217, s27
	v_add_co_ci_u32_e64 v13, null, v49, v195, s7
	scratch_store_b32 off, v2, off offset:104 ; 4-byte Folded Spill
	v_add_co_u32 v2, s28, v22, v30
	v_add_co_ci_u32_e64 v6, null, v49, v200, s11
	s_clause 0x1
	scratch_store_b32 off, v119, off offset:1172
	scratch_store_b32 off, v2, off offset:84
	v_add_co_u32 v2, s29, v21, v30
	s_mov_b32 s79, s82
	s_mul_i32 s8, s70, s63
	s_mul_i32 s10, s78, s86
	scratch_store_b32 off, v2, off offset:96 ; 4-byte Folded Spill
	v_add_co_u32 v2, s30, v20, v30
	s_mul_i32 s11, s78, s70
	s_and_b32 s12, s95, s96
	scratch_store_b32 off, v2, off offset:76 ; 4-byte Folded Spill
	v_add_co_u32 v2, s31, v29, v35
	scratch_store_b32 off, v2, off offset:88 ; 4-byte Folded Spill
	v_add_co_u32 v2, s33, v22, v35
	;; [unrolled: 2-line block ×3, first 2 shown]
	s_delay_alu instid0(VALU_DEP_1)
	v_add_co_ci_u32_e64 v36, null, v19, v218, s34
	scratch_store_b32 off, v2, off offset:80 ; 4-byte Folded Spill
	v_add_co_u32 v2, s35, v20, v35
	v_add_co_ci_u32_e64 v35, null, v18, v217, s30
	scratch_store_b32 off, v2, off offset:60 ; 4-byte Folded Spill
	v_add_co_u32 v2, s36, v29, v34
	scratch_store_b32 off, v2, off offset:72 ; 4-byte Folded Spill
	v_add_co_u32 v2, s37, v22, v34
	;; [unrolled: 2-line block ×4, first 2 shown]
	s_delay_alu instid0(VALU_DEP_1)
	v_add_co_ci_u32_e64 v44, null, v18, v219, s39
	v_add_co_ci_u32_e64 v34, null, v49, v218, s31
	scratch_store_b32 off, v2, off offset:44 ; 4-byte Folded Spill
	v_add_co_u32 v2, s40, v29, v33
	scratch_store_b32 off, v2, off offset:56 ; 4-byte Folded Spill
	v_add_co_u32 v2, s42, v21, v33
	scratch_store_b32 off, v39, off offset:1184 ; 4-byte Folded Spill
	v_add_nc_u32_e32 v39, s70, v38
	s_wait_alu 0xf1ff
	v_add_co_ci_u32_e64 v46, null, v19, v220, s42
	scratch_store_b32 off, v2, off offset:48 ; 4-byte Folded Spill
	v_add_co_u32 v2, s44, v29, v32
	v_add_co_ci_u32_e64 v32, null, v19, v217, s29
	v_add_co_ci_u32_e64 v33, null, v25, v217, s28
	scratch_store_b32 off, v2, off offset:36 ; 4-byte Folded Spill
	v_add_co_u32 v2, s48, v29, v15
	scratch_store_b32 off, v40, off offset:652 ; 4-byte Folded Spill
	v_add_nc_u32_e32 v40, s70, v39
	v_ashrrev_i32_e32 v15, 31, v136
	scratch_store_b32 off, v2, off offset:40 ; 4-byte Folded Spill
	v_add_co_ci_u32_e64 v2, null, v19, v195, s9
	v_add_nc_u32_e32 v41, s70, v40
	v_add_co_ci_u32_e64 v45, null, v49, v221, s44
	s_mul_i32 s9, s86, s63
	v_ashrrev_i32_e32 v42, 31, v41
	v_add_co_u32 v158, vcc_lo, v22, v41
	v_add_co_u32 v159, s4, v21, v41
	v_add_co_u32 v160, s5, v20, v41
	;; [unrolled: 1-line block ×3, first 2 shown]
	v_ashrrev_i32_e32 v41, 31, v40
	s_wait_alu 0xf1ff
	v_add_co_ci_u32_e64 v162, null, v49, v42, s6
	s_wait_alu 0xfffd
	v_add_co_ci_u32_e64 v163, null, v25, v42, vcc_lo
	v_add_co_ci_u32_e64 v164, null, v19, v42, s4
	v_add_co_ci_u32_e64 v165, null, v18, v42, s5
	v_add_co_u32 v166, vcc_lo, v22, v40
	v_add_co_u32 v167, s4, v21, v40
	v_add_co_u32 v168, s5, v20, v40
	;; [unrolled: 1-line block ×3, first 2 shown]
	v_ashrrev_i32_e32 v40, 31, v39
	s_wait_alu 0xf1ff
	v_add_co_ci_u32_e64 v170, null, v49, v41, s6
	s_wait_alu 0xfffd
	v_add_co_ci_u32_e64 v171, null, v25, v41, vcc_lo
	v_add_co_ci_u32_e64 v172, null, v19, v41, s4
	v_add_co_ci_u32_e64 v173, null, v18, v41, s5
	v_add_co_u32 v174, vcc_lo, v22, v39
	v_add_co_u32 v203, s4, v21, v39
	v_add_co_u32 v176, s5, v20, v39
	;; [unrolled: 1-line block ×3, first 2 shown]
	v_ashrrev_i32_e32 v39, 31, v38
	s_wait_alu 0xfffd
	v_add_co_ci_u32_e64 v179, null, v25, v40, vcc_lo
	v_add_co_u32 v182, vcc_lo, v22, v38
	s_wait_alu 0xf1ff
	v_add_co_ci_u32_e64 v178, null, v49, v40, s6
	v_add_co_ci_u32_e64 v180, null, v19, v40, s4
	v_add_co_u32 v183, s4, v21, v38
	v_add_co_u32 v185, s6, v29, v38
	s_wait_alu 0xfffd
	v_add_co_ci_u32_e64 v187, null, v25, v39, vcc_lo
	v_add_co_u32 v225, vcc_lo, v29, v37
	v_add_co_u32 v29, s52, v29, v136
	v_add_co_ci_u32_e64 v181, null, v18, v40, s5
	v_add_co_u32 v184, s5, v20, v38
	s_wait_alu 0xf1ff
	v_add_co_ci_u32_e64 v188, null, v19, v39, s4
	v_add_co_u32 v197, s4, v22, v37
	v_add_co_ci_u32_e64 v3, null, v49, v15, s52
	v_add_co_u32 v22, s52, v22, v136
	;; [unrolled: 2-line block ×3, first 2 shown]
	s_wait_alu 0xf1ff
	v_add_co_ci_u32_e64 v23, null, v25, v15, s52
	v_add_co_u32 v21, s52, v21, v136
	s_wait_alu 0xf1ff
	v_add_co_ci_u32_e64 v5, null, v19, v15, s52
	v_add_co_ci_u32_e64 v12, null, v19, v190, s5
	;; [unrolled: 1-line block ×5, first 2 shown]
	v_add_co_u32 v199, s6, v20, v37
	v_add_co_u32 v20, s52, v20, v136
	s_wait_alu 0xf1ff
	v_add_co_ci_u32_e64 v15, null, v18, v15, s52
	s_wait_alu 0xfffd
	v_add_co_ci_u32_e64 v8, null, v49, v190, vcc_lo
	v_add_co_ci_u32_e64 v9, null, v25, v190, s4
	v_add_co_ci_u32_e64 v190, null, v18, v190, s6
	v_add_co_ci_u32_e64 v39, null, v18, v218, s35
	scratch_store_b32 off, v19, off offset:176 ; 4-byte Folded Spill
	v_add_co_ci_u32_e64 v19, null, v18, v222, s50
	v_add_co_ci_u32_e64 v18, null, v18, v221, s47
	;; [unrolled: 1-line block ×4, first 2 shown]
	scratch_store_b32 off, v18, off offset:164 ; 4-byte Folded Spill
	v_add_co_ci_u32_e64 v18, null, v25, v221, s45
	v_xor_b32_e32 v136, 8, v242
	s_mul_u64 s[4:5], s[68:69], s[74:75]
	v_add_co_ci_u32_e64 v38, null, v49, v219, s36
	scratch_store_b32 off, v18, off offset:184 ; 4-byte Folded Spill
	v_add_co_ci_u32_e64 v18, null, v25, v222, s51
	v_xor_b32_e32 v25, 1, v242
	s_wait_alu 0xfffe
	v_add_co_u32 v0, s13, s4, v0
	scratch_store_b32 off, v18, off offset:168 ; 4-byte Folded Spill
	v_and_b32_e32 v18, 30, v242
	s_wait_alu 0xf1ff
	v_add_co_ci_u32_e64 v217, null, s5, 0, s13
	s_add_nc_u64 s[6:7], s[90:91], s[92:93]
	v_add_co_ci_u32_e64 v42, null, v49, v220, s40
	v_add_nc_u32_e32 v18, 2, v18
	s_wait_alu 0xfffe
	s_add_nc_u64 s[16:17], s[58:59], s[6:7]
	v_add_co_ci_u32_e64 v49, null, v49, v222, s48
	s_lshl_b64 s[6:7], s[78:79], 1
	v_cmp_lt_i32_e32 vcc_lo, v25, v18
	s_wait_alu 0xfffd
	v_cndmask_b32_e32 v18, v242, v25, vcc_lo
	v_xor_b32_e32 v25, 4, v242
	v_mul_lo_u32 v1, v117, s86
	s_delay_alu instid0(VALU_DEP_3) | instskip(SKIP_2) | instid1(VALU_DEP_1)
	v_lshlrev_b32_e32 v18, 2, v18
	scratch_store_b32 off, v18, off offset:1164 ; 4-byte Folded Spill
	v_xor_b32_e32 v18, 2, v242
	v_cmp_gt_i32_e32 vcc_lo, 32, v18
	s_wait_alu 0xfffd
	v_cndmask_b32_e32 v18, v242, v18, vcc_lo
	v_cmp_gt_i32_e32 vcc_lo, 32, v25
	s_wait_alu 0xfffd
	s_delay_alu instid0(VALU_DEP_2)
	v_dual_cndmask_b32 v25, v242, v25 :: v_dual_lshlrev_b32 v18, 2, v18
	v_cmp_gt_i32_e32 vcc_lo, 32, v136
	scratch_store_b32 off, v18, off offset:1144 ; 4-byte Folded Spill
	v_lshlrev_b32_e32 v18, 2, v25
	s_wait_alu 0xfffd
	v_cndmask_b32_e32 v136, v242, v136, vcc_lo
	v_cmp_gt_i32_e32 vcc_lo, 32, v215
	v_add_nc_u32_e32 v25, s86, v1
	scratch_store_b32 off, v18, off offset:1148 ; 4-byte Folded Spill
	s_wait_alu 0xfffd
	v_dual_cndmask_b32 v215, v242, v215 :: v_dual_lshlrev_b32 v18, 2, v136
	v_add_co_u32 v218, vcc_lo, v0, v25
	scratch_store_b32 off, v18, off offset:1152 ; 4-byte Folded Spill
	v_lshlrev_b32_e32 v18, 2, v215
	v_ashrrev_i32_e32 v215, 31, v25
	s_wait_alu 0xfffd
	s_delay_alu instid0(VALU_DEP_1)
	v_add_co_ci_u32_e64 v219, null, v217, v215, vcc_lo
	v_add_co_u32 v218, vcc_lo, s14, v218
	scratch_store_b32 off, v18, off offset:1156 ; 4-byte Folded Spill
	v_lshlrev_b32_e32 v18, 1, v117
	scratch_store_b32 off, v218, off offset:12 ; 4-byte Folded Spill
	s_wait_alu 0xfffd
	v_add_co_ci_u32_e64 v218, null, s15, v219, vcc_lo
	s_wait_alu 0xfffe
	v_add_co_u32 v18, s13, s16, v18
	s_add_nc_u64 s[14:15], s[14:15], s[4:5]
	s_add_nc_u64 s[4:5], s[4:5], s[84:85]
	v_add_co_u32 v18, vcc_lo, v18, 2
	scratch_store_b32 off, v218, off offset:16 ; 4-byte Folded Spill
	v_add_co_ci_u32_e64 v218, null, s17, 0, s13
	scratch_store_b32 off, v18, off offset:20 ; 4-byte Folded Spill
	s_add_nc_u64 s[16:17], s[56:57], s[88:89]
	s_wait_alu 0xfffe
	s_add_nc_u64 s[4:5], s[54:55], s[4:5]
	s_wait_alu 0xfffd
	v_add_co_ci_u32_e64 v18, null, 0, v218, vcc_lo
	scratch_store_b32 off, v18, off offset:24 ; 4-byte Folded Spill
	v_add_co_u32 v18, vcc_lo, v121, 2
	s_clause 0x1
	scratch_store_b32 off, v26, off offset:180
	scratch_store_b32 off, v18, off offset:4
	s_wait_alu 0xfffd
	v_add_co_ci_u32_e64 v18, null, 0, v122, vcc_lo
	scratch_store_b32 off, v18, off offset:8 ; 4-byte Folded Spill
	v_add_co_u32 v18, vcc_lo, s16, v211
	s_wait_alu 0xfffd
	v_add_co_ci_u32_e64 v211, null, s17, v123, vcc_lo
	v_add_co_u32 v26, vcc_lo, s16, v120
	scratch_store_b32 off, v26, off offset:664 ; 4-byte Folded Spill
	s_wait_alu 0xfffd
	v_add_co_ci_u32_e64 v26, null, s17, v209, vcc_lo
	v_add_co_u32 v18, vcc_lo, v18, 2
	scratch_store_b32 off, v18, off offset:672 ; 4-byte Folded Spill
	s_wait_alu 0xfffd
	v_add_co_ci_u32_e64 v18, null, 0, v211, vcc_lo
	scratch_store_b32 off, v18, off offset:676 ; 4-byte Folded Spill
	v_add_co_u32 v18, vcc_lo, s16, v93
	scratch_store_b32 off, v18, off offset:680 ; 4-byte Folded Spill
	s_wait_alu 0xfffd
	v_add_co_ci_u32_e64 v18, null, s17, v126, vcc_lo
	scratch_store_b32 off, v18, off offset:684 ; 4-byte Folded Spill
	v_add_co_u32 v18, vcc_lo, s14, v25
	v_ashrrev_i32_e32 v25, 31, v1
	scratch_store_b32 off, v18, off offset:28 ; 4-byte Folded Spill
	s_wait_alu 0xfffd
	v_add_co_ci_u32_e64 v18, null, s15, v215, vcc_lo
	v_add_co_u32 v0, vcc_lo, v0, s84
	scratch_store_b32 off, v18, off offset:32 ; 4-byte Folded Spill
	s_wait_alu 0xfffd
	v_add_co_ci_u32_e64 v18, null, s85, v217, vcc_lo
	v_add_co_u32 v0, vcc_lo, v0, v1
	s_wait_alu 0xfffd
	s_delay_alu instid0(VALU_DEP_2)
	v_add_co_ci_u32_e64 v18, null, v18, v25, vcc_lo
	v_add_co_u32 v209, vcc_lo, s16, v124
	s_wait_alu 0xfffd
	v_add_co_ci_u32_e64 v211, null, s17, v85, vcc_lo
	v_add_co_u32 v0, vcc_lo, s54, v0
	scratch_store_b32 off, v26, off offset:668 ; 4-byte Folded Spill
	s_wait_alu 0xfffd
	v_add_co_ci_u32_e64 v251, null, s55, v18, vcc_lo
	scratch_store_b32 off, v0, off          ; 4-byte Folded Spill
	v_add_co_u32 v0, vcc_lo, v209, 2
	scratch_store_b32 off, v0, off offset:656 ; 4-byte Folded Spill
	s_wait_alu 0xfffd
	v_add_co_ci_u32_e64 v0, null, 0, v211, vcc_lo
	scratch_store_b32 off, v0, off offset:660 ; 4-byte Folded Spill
	v_add_co_u32 v0, vcc_lo, s56, v134
	s_wait_alu 0xfffd
	v_add_co_ci_u32_e64 v18, null, s57, v133, vcc_lo
	v_add_co_u32 v254, vcc_lo, s56, v125
	s_wait_alu 0xfffd
	v_add_co_ci_u32_e64 v255, null, s57, v128, vcc_lo
	;; [unrolled: 3-line block ×8, first 2 shown]
	s_delay_alu instid0(VALU_DEP_2) | instskip(SKIP_1) | instid1(VALU_DEP_2)
	v_add_co_u32 v240, vcc_lo, v0, 2
	s_wait_alu 0xfffd
	v_add_co_ci_u32_e64 v133, null, 0, v18, vcc_lo
	s_wait_alu 0xfffe
	v_add_co_u32 v0, vcc_lo, s4, v1
	s_wait_alu 0xfffd
	v_add_co_ci_u32_e64 v1, null, s5, v25, vcc_lo
	v_add_co_u32 v18, vcc_lo, s56, v52
	s_wait_alu 0xfffd
	v_add_co_ci_u32_e64 v19, null, s57, v53, vcc_lo
	;; [unrolled: 3-line block ×120, first 2 shown]
	v_add_co_u32 v189, vcc_lo, v0, 2
	s_clause 0x1
	scratch_load_b32 v0, off, off offset:172 th:TH_LOAD_LU
	scratch_load_b32 v5, off, off offset:156 th:TH_LOAD_LU
	s_wait_alu 0xfffd
	v_add_co_ci_u32_e64 v190, null, 0, v1, vcc_lo
	v_mov_b32_e32 v23, v25
	s_wait_loadcnt 0x1
	v_add_co_u32 v0, vcc_lo, s56, v0
	s_wait_alu 0xfffd
	v_add_co_ci_u32_e64 v1, null, s57, v6, vcc_lo
	s_wait_loadcnt 0x0
	v_add_co_u32 v196, vcc_lo, s56, v5
	s_wait_alu 0xfffd
	v_add_co_ci_u32_e64 v197, null, s57, v206, vcc_lo
	v_add_co_u32 v198, vcc_lo, v0, 2
	s_clause 0x1
	scratch_load_b32 v0, off, off offset:160 th:TH_LOAD_LU
	scratch_load_b32 v5, off, off offset:148 th:TH_LOAD_LU
	s_wait_alu 0xfffd
	v_add_co_ci_u32_e64 v199, null, 0, v1, vcc_lo
	s_wait_loadcnt 0x1
	v_add_co_u32 v0, vcc_lo, s56, v0
	s_wait_alu 0xfffd
	v_add_co_ci_u32_e64 v1, null, s57, v28, vcc_lo
	s_wait_loadcnt 0x0
	v_add_co_u32 v200, vcc_lo, s56, v5
	s_wait_alu 0xfffd
	v_add_co_ci_u32_e64 v201, null, s57, v7, vcc_lo
	v_add_co_u32 v202, vcc_lo, v0, 2
	s_clause 0x1
	scratch_load_b32 v0, off, off offset:152 th:TH_LOAD_LU
	scratch_load_b32 v5, off, off offset:140 th:TH_LOAD_LU
	s_wait_alu 0xfffd
	v_add_co_ci_u32_e64 v203, null, 0, v1, vcc_lo
	s_wait_loadcnt 0x1
	v_add_co_u32 v0, vcc_lo, s56, v0
	s_wait_alu 0xfffd
	v_add_co_ci_u32_e64 v1, null, s57, v10, vcc_lo
	s_wait_loadcnt 0x0
	v_add_co_u32 v204, vcc_lo, s56, v5
	s_wait_alu 0xfffd
	v_add_co_ci_u32_e64 v205, null, s57, v214, vcc_lo
	v_add_co_u32 v206, vcc_lo, v0, 2
	scratch_load_b32 v0, off, off offset:144 th:TH_LOAD_LU ; 4-byte Folded Reload
	s_wait_alu 0xfffd
	v_add_co_ci_u32_e64 v207, null, 0, v1, vcc_lo
	scratch_load_b32 v1, off, off offset:132 th:TH_LOAD_LU ; 4-byte Folded Reload
	s_wait_loadcnt 0x1
	v_add_co_u32 v0, vcc_lo, s56, v0
	s_wait_alu 0xfffd
	v_add_co_ci_u32_e64 v5, null, s57, v118, vcc_lo
	s_wait_loadcnt 0x0
	v_add_co_u32 v208, vcc_lo, s56, v1
	s_wait_alu 0xfffd
	v_add_co_ci_u32_e64 v225, null, s57, v11, vcc_lo
	v_add_co_u32 v0, vcc_lo, v0, 2
	s_wait_alu 0xfffd
	v_add_co_ci_u32_e64 v1, null, 0, v5, vcc_lo
	scratch_load_b32 v5, off, off offset:136 th:TH_LOAD_LU ; 4-byte Folded Reload
	s_wait_loadcnt 0x0
	v_add_co_u32 v8, vcc_lo, s56, v5
	scratch_load_b32 v5, off, off offset:124 th:TH_LOAD_LU ; 4-byte Folded Reload
	s_wait_alu 0xfffd
	v_add_co_ci_u32_e64 v9, null, s57, v14, vcc_lo
	s_wait_loadcnt 0x0
	v_add_co_u32 v210, vcc_lo, s56, v5
	scratch_load_b32 v5, off, off offset:128 th:TH_LOAD_LU ; 4-byte Folded Reload
	s_wait_alu 0xfffd
	v_add_co_ci_u32_e64 v218, null, s57, v43, vcc_lo
	v_add_co_u32 v219, vcc_lo, v8, 2
	s_wait_alu 0xfffd
	v_add_co_ci_u32_e64 v215, null, 0, v9, vcc_lo
	scratch_load_b32 v9, off, off offset:96 th:TH_LOAD_LU ; 4-byte Folded Reload
	s_wait_loadcnt 0x1
	v_add_co_u32 v12, vcc_lo, s56, v5
	scratch_load_b32 v5, off, off offset:116 th:TH_LOAD_LU ; 4-byte Folded Reload
	s_wait_alu 0xfffd
	v_add_co_ci_u32_e64 v13, null, s57, v50, vcc_lo
	s_wait_loadcnt 0x0
	v_add_co_u32 v235, vcc_lo, s56, v5
	scratch_load_b32 v5, off, off offset:120 th:TH_LOAD_LU ; 4-byte Folded Reload
	;; [unrolled: 14-line block ×3, first 2 shown]
	s_wait_alu 0xfffd
	v_add_co_ci_u32_e64 v227, null, s57, v47, vcc_lo
	v_add_co_u32 v228, vcc_lo, v16, 2
	s_wait_alu 0xfffd
	v_add_co_ci_u32_e64 v17, null, 0, v17, vcc_lo
	s_wait_loadcnt 0x0
	v_add_co_u32 v20, vcc_lo, s56, v5
	scratch_load_b32 v5, off, off offset:100 th:TH_LOAD_LU ; 4-byte Folded Reload
	s_wait_alu 0xfffd
	v_add_co_ci_u32_e64 v21, null, s57, v175, vcc_lo
	s_wait_loadcnt 0x0
	v_add_co_u32 v214, vcc_lo, s56, v5
	scratch_load_b32 v5, off, off offset:104 th:TH_LOAD_LU ; 4-byte Folded Reload
	s_wait_alu 0xfffd
	v_add_co_ci_u32_e64 v213, null, s57, v213, vcc_lo
	v_add_co_u32 v20, vcc_lo, v20, 2
	s_wait_alu 0xfffd
	v_add_co_ci_u32_e64 v21, null, 0, v21, vcc_lo
	s_wait_loadcnt 0x0
	v_add_co_u32 v25, vcc_lo, s56, v5
	scratch_load_b32 v5, off, off offset:92 th:TH_LOAD_LU ; 4-byte Folded Reload
	s_wait_alu 0xfffd
	v_add_co_ci_u32_e64 v28, null, s57, v51, vcc_lo
	s_wait_loadcnt 0x0
	v_add_co_u32 v5, vcc_lo, s56, v5
	s_wait_alu 0xfffd
	v_add_co_ci_u32_e64 v6, null, s57, v48, vcc_lo
	v_add_co_u32 v7, vcc_lo, v25, 2
	s_wait_alu 0xfffd
	v_add_co_ci_u32_e64 v8, null, 0, v28, vcc_lo
	v_add_co_u32 v28, vcc_lo, s56, v9
	scratch_load_b32 v9, off, off offset:84 th:TH_LOAD_LU ; 4-byte Folded Reload
	s_wait_alu 0xfffd
	v_add_co_ci_u32_e64 v29, null, s57, v32, vcc_lo
	scratch_load_b32 v25, off, off offset:80 th:TH_LOAD_LU ; 4-byte Folded Reload
	s_wait_loadcnt 0x1
	v_add_co_u32 v9, vcc_lo, s56, v9
	s_wait_alu 0xfffd
	v_add_co_ci_u32_e64 v10, null, s57, v33, vcc_lo
	v_add_co_u32 v11, vcc_lo, v28, 2
	s_wait_alu 0xfffd
	v_add_co_ci_u32_e64 v12, null, 0, v29, vcc_lo
	v_add_co_u32 v48, vcc_lo, s56, v13
	scratch_load_b32 v13, off, off offset:76 th:TH_LOAD_LU ; 4-byte Folded Reload
	s_wait_alu 0xfffd
	v_add_co_ci_u32_e64 v50, null, s57, v34, vcc_lo
	s_wait_loadcnt 0x0
	v_add_co_u32 v13, vcc_lo, s56, v13
	s_wait_alu 0xfffd
	v_add_co_ci_u32_e64 v14, null, s57, v35, vcc_lo
	v_add_co_u32 v16, vcc_lo, v48, 2
	s_wait_alu 0xfffd
	v_add_co_ci_u32_e64 v29, null, 0, v50, vcc_lo
	v_add_co_u32 v48, vcc_lo, s56, v25
	s_clause 0x1
	scratch_load_b32 v25, off, off offset:68 th:TH_LOAD_LU
	scratch_load_b32 v35, off, off offset:60 th:TH_LOAD_LU
	s_wait_alu 0xfffd
	v_add_co_ci_u32_e64 v32, null, s57, v36, vcc_lo
	scratch_load_b32 v36, off, off offset:180 th:TH_LOAD_LU ; 4-byte Folded Reload
	s_wait_loadcnt 0x2
	v_add_co_u32 v25, vcc_lo, s56, v25
	s_wait_alu 0xfffd
	v_add_co_ci_u32_e64 v28, null, s57, v37, vcc_lo
	v_add_co_u32 v34, vcc_lo, v48, 2
	s_wait_alu 0xfffd
	v_add_co_ci_u32_e64 v37, null, 0, v32, vcc_lo
	scratch_load_b32 v32, off, off offset:72 th:TH_LOAD_LU ; 4-byte Folded Reload
	s_wait_loadcnt 0x0
	v_add_co_u32 v32, vcc_lo, s56, v32
	s_wait_alu 0xfffd
	v_add_co_ci_u32_e64 v33, null, s57, v38, vcc_lo
	v_add_co_u32 v38, vcc_lo, s56, v35
	s_wait_alu 0xfffd
	v_add_co_ci_u32_e64 v39, null, s57, v39, vcc_lo
	v_add_co_u32 v48, vcc_lo, v32, 2
	s_clause 0x1
	scratch_load_b32 v32, off, off offset:64 th:TH_LOAD_LU
	scratch_load_b32 v35, off, off offset:52 th:TH_LOAD_LU
	s_wait_alu 0xfffd
	v_add_co_ci_u32_e64 v50, null, 0, v33, vcc_lo
	s_wait_loadcnt 0x1
	v_add_co_u32 v32, vcc_lo, s56, v32
	s_wait_alu 0xfffd
	v_add_co_ci_u32_e64 v33, null, s57, v40, vcc_lo
	s_wait_loadcnt 0x0
	v_add_co_u32 v40, vcc_lo, s56, v35
	s_wait_alu 0xfffd
	v_add_co_ci_u32_e64 v41, null, s57, v41, vcc_lo
	v_add_co_u32 v51, vcc_lo, v32, 2
	s_clause 0x1
	scratch_load_b32 v32, off, off offset:56 th:TH_LOAD_LU
	scratch_load_b32 v35, off, off offset:44 th:TH_LOAD_LU
	s_wait_alu 0xfffd
	v_add_co_ci_u32_e64 v216, null, 0, v33, vcc_lo
	s_wait_loadcnt 0x1
	v_add_co_u32 v32, vcc_lo, s56, v32
	s_wait_alu 0xfffd
	v_add_co_ci_u32_e64 v33, null, s57, v42, vcc_lo
	s_wait_loadcnt 0x0
	v_add_co_u32 v42, vcc_lo, s56, v35
	s_wait_alu 0xfffd
	v_add_co_ci_u32_e64 v43, null, s57, v44, vcc_lo
	v_add_co_u32 v217, vcc_lo, v32, 2
	s_clause 0x1
	scratch_load_b32 v32, off, off offset:48 th:TH_LOAD_LU
	scratch_load_b32 v35, off, off offset:188 th:TH_LOAD_LU
	s_wait_alu 0xfffd
	v_add_co_ci_u32_e64 v118, null, 0, v33, vcc_lo
	s_wait_loadcnt 0x1
	v_add_co_u32 v32, vcc_lo, s56, v32
	s_wait_alu 0xfffd
	v_add_co_ci_u32_e64 v33, null, s57, v46, vcc_lo
	v_add_co_u32 v44, vcc_lo, s56, v232
	s_wait_loadcnt 0x0
	s_wait_alu 0xfffd
	v_add_co_ci_u32_e64 v46, null, s57, v35, vcc_lo
	v_add_co_u32 v35, vcc_lo, v32, 2
	scratch_load_b32 v32, off, off offset:36 th:TH_LOAD_LU ; 4-byte Folded Reload
	s_wait_alu 0xfffd
	v_add_co_ci_u32_e64 v232, null, 0, v33, vcc_lo
	s_wait_loadcnt 0x0
	v_add_co_u32 v32, vcc_lo, s56, v32
	s_wait_alu 0xfffd
	v_add_co_ci_u32_e64 v33, null, s57, v45, vcc_lo
	v_add_co_u32 v45, vcc_lo, s56, v212
	s_wait_alu 0xfffd
	v_add_co_ci_u32_e64 v47, null, s57, v36, vcc_lo
	;; [unrolled: 3-line block ×3, first 2 shown]
	s_clause 0x1
	scratch_load_b32 v33, off, off offset:176 th:TH_LOAD_LU
	scratch_load_b32 v36, off, off offset:184 th:TH_LOAD_LU
	v_add_co_u32 v32, vcc_lo, s56, v244
	s_wait_loadcnt 0x1
	s_wait_alu 0xfffd
	v_add_co_ci_u32_e64 v33, null, s57, v33, vcc_lo
	v_add_co_u32 v243, vcc_lo, s56, v243
	s_wait_loadcnt 0x0
	s_wait_alu 0xfffd
	v_add_co_ci_u32_e64 v93, null, s57, v36, vcc_lo
	v_add_co_u32 v244, vcc_lo, v32, 2
	s_clause 0x1
	scratch_load_b32 v32, off, off offset:40 th:TH_LOAD_LU
	scratch_load_b32 v36, off, off offset:164 th:TH_LOAD_LU
	s_wait_alu 0xfffd
	v_add_co_ci_u32_e64 v175, null, 0, v33, vcc_lo
	s_wait_loadcnt 0x1
	v_add_co_u32 v32, vcc_lo, s56, v32
	s_wait_alu 0xfffd
	v_add_co_ci_u32_e64 v33, null, s57, v49, vcc_lo
	v_add_co_u32 v49, vcc_lo, s56, v245
	s_wait_loadcnt 0x0
	s_wait_alu 0xfffd
	v_add_co_ci_u32_e64 v191, null, s57, v36, vcc_lo
	scratch_load_b32 v36, off, off offset:168 th:TH_LOAD_LU ; 4-byte Folded Reload
	v_add_co_u32 v32, vcc_lo, v32, 2
	s_wait_alu 0xfffd
	v_add_co_ci_u32_e64 v33, null, 0, v33, vcc_lo
	v_add_co_u32 v245, vcc_lo, s56, v246
	s_wait_loadcnt 0x0
	s_wait_alu 0xfffd
	v_add_co_ci_u32_e64 v246, null, s57, v36, vcc_lo
	v_dual_mov_b32 v119, v35 :: v_dual_and_b32 v36, 4, v119
	scratch_store_b32 off, v36, off offset:1168 ; 4-byte Folded Spill
	v_dual_mov_b32 v35, s82 :: v_dual_mov_b32 v36, s83
	scratch_store_b64 off, v[35:36], off offset:644 ; 8-byte Folded Spill
	v_dual_mov_b32 v35, s80 :: v_dual_mov_b32 v36, s81
	s_branch .LBB28_22
.LBB28_21:                              ;   in Loop: Header=BB28_22 Depth=1
	v_dual_mov_b32 v135, v252 :: v_dual_mov_b32 v64, v68
	v_dual_mov_b32 v65, v69 :: v_dual_mov_b32 v66, v70
	;; [unrolled: 1-line block ×25, first 2 shown]
	v_dual_mov_b32 v114, v167 :: v_dual_add_f32 v33, 0x40051340, v37
	v_mov_b32_e32 v250, v164
	s_clause 0x1f
	scratch_load_b32 v164, off, off offset:940
	scratch_load_b32 v165, off, off offset:936
	scratch_load_b32 v166, off, off offset:932
	scratch_load_b32 v167, off, off offset:928
	scratch_load_b32 v168, off, off offset:924
	scratch_load_b32 v169, off, off offset:920
	scratch_load_b32 v170, off, off offset:916
	scratch_load_b32 v171, off, off offset:912
	scratch_load_b32 v172, off, off offset:908
	scratch_load_b32 v173, off, off offset:884
	scratch_load_b32 v174, off, off offset:876
	scratch_load_b32 v136, off, off offset:868
	scratch_load_b32 v3, off, off offset:688
	scratch_load_b32 v22, off, off offset:692
	scratch_load_b32 v31, off, off offset:696
	scratch_load_b32 v220, off, off offset:700
	scratch_load_b32 v139, off, off offset:704
	scratch_load_b32 v15, off, off offset:708
	scratch_load_b32 v2, off, off offset:36
	scratch_load_b32 v194, off, off offset:712
	scratch_load_b32 v201, off, off offset:716
	scratch_load_b32 v193, off, off offset:720
	scratch_load_b32 v195, off, off offset:724
	scratch_load_b32 v196, off, off offset:728
	scratch_load_b32 v197, off, off offset:732
	scratch_load_b32 v138, off, off offset:40
	scratch_load_b32 v57, off, off offset:44
	scratch_load_b32 v56, off, off offset:48
	scratch_load_b32 v16, off, off offset:52
	scratch_load_b32 v6, off, off offset:56
	scratch_load_b32 v192, off, off offset:60
	scratch_load_b32 v29, off, off offset:64
	s_clause 0x1f
	scratch_load_b32 v55, off, off offset:736
	scratch_load_b32 v93, off, off offset:740
	scratch_load_b32 v198, off, off offset:744
	scratch_load_b32 v199, off, off offset:748
	scratch_load_b32 v200, off, off offset:752
	scratch_load_b32 v60, off, off offset:756
	scratch_load_b32 v226, off, off offset:760
	scratch_load_b32 v227, off, off offset:764
	scratch_load_b32 v228, off, off offset:768
	scratch_load_b32 v17, off, off offset:772
	scratch_load_b32 v214, off, off offset:776
	scratch_load_b32 v213, off, off offset:780
	scratch_load_b32 v20, off, off offset:784
	scratch_load_b32 v221, off, off offset:788
	scratch_load_b32 v61, off, off offset:792
	scratch_load_b32 v62, off, off offset:796
	scratch_load_b32 v21, off, off offset:800
	scratch_load_b32 v216, off, off offset:804
	scratch_load_b32 v217, off, off offset:808
	scratch_load_b32 v118, off, off offset:812
	scratch_load_b32 v63, off, off offset:816
	scratch_load_b32 v137, off, off offset:820
	scratch_load_b32 v222, off, off offset:824
	scratch_load_b32 v232, off, off offset:828
	scratch_load_b32 v234, off, off offset:68
	scratch_load_b32 v52, off, off offset:832
	scratch_load_b32 v241, off, off offset:72
	scratch_load_b32 v238, off, off offset:76
	scratch_load_b32 v236, off, off offset:80
	scratch_load_b32 v251, off, off offset:84
	scratch_load_b32 v240, off, off offset:88
	scratch_load_b32 v85, off, off offset:92
	;; [unrolled: 33-line block ×3, first 2 shown]
	s_clause 0x11
	scratch_load_b32 v1, off, off offset:220
	scratch_load_b32 v210, off, off offset:224
	;; [unrolled: 1-line block ×18, first 2 shown]
	v_add_f32_e32 v32, 0x40051340, v39
	v_cndmask_b32_e64 v37, v37, v39, s1
	s_add_co_i32 s63, s63, s78
	s_delay_alu instid0(SALU_CYCLE_1) | instskip(NEXT) | instid1(VALU_DEP_2)
	s_cmp_ge_i32 s63, s53
	v_max3_num_f32 v32, v35, v32, v33
	s_wait_loadcnt 0xe
	v_mov_b32_e32 v242, v237
	s_wait_loadcnt 0xb
	v_mov_b32_e32 v244, v109
	;; [unrolled: 2-line block ×3, first 2 shown]
	s_wait_loadcnt 0x3
	ds_bpermute_b32 v33, v47, v32
	s_wait_dscnt 0x0
	v_max_num_f32_e32 v33, v33, v33
	s_delay_alu instid0(VALU_DEP_1) | instskip(SKIP_4) | instid1(VALU_DEP_1)
	v_max_num_f32_e32 v32, v32, v33
	s_wait_loadcnt 0x2
	ds_bpermute_b32 v33, v48, v32
	s_wait_dscnt 0x0
	v_dual_mov_b32 v26, v247 :: v_dual_max_num_f32 v33, v33, v33
	v_max_num_f32_e32 v32, v32, v33
	s_wait_loadcnt 0x1
	ds_bpermute_b32 v33, v49, v32
	s_wait_dscnt 0x0
	v_max_num_f32_e32 v33, v33, v33
	s_delay_alu instid0(VALU_DEP_1)
	v_max_num_f32_e32 v32, v32, v33
	s_wait_loadcnt 0x0
	ds_bpermute_b32 v33, v50, v32
	s_wait_dscnt 0x0
	v_max_num_f32_e32 v33, v33, v33
	v_dual_mov_b32 v24, v245 :: v_dual_mov_b32 v245, v117
	s_delay_alu instid0(VALU_DEP_2) | instskip(SKIP_1) | instid1(VALU_DEP_2)
	v_dual_max_num_f32 v23, v32, v33 :: v_dual_add_f32 v46, 0x40051340, v38
	v_cndmask_b32_e64 v38, v38, v40, s1
	v_sub_f32_e32 v32, v35, v23
	v_dual_mov_b32 v54, v249 :: v_dual_mov_b32 v249, v142
	s_delay_alu instid0(VALU_DEP_2) | instskip(SKIP_1) | instid1(VALU_DEP_2)
	v_mul_f32_e32 v33, 0x3fb8aa3b, v32
	v_cmp_ngt_f32_e32 vcc_lo, 0xc2ce8ed0, v32
	v_fma_f32 v34, 0x3fb8aa3b, v32, -v33
	v_rndne_f32_e32 v35, v33
	s_delay_alu instid0(VALU_DEP_1) | instskip(NEXT) | instid1(VALU_DEP_1)
	v_dual_fmac_f32 v34, 0x32a5705f, v32 :: v_dual_sub_f32 v33, v33, v35
	v_add_f32_e32 v33, v33, v34
	v_cvt_i32_f32_e32 v34, v35
	s_delay_alu instid0(VALU_DEP_2) | instskip(NEXT) | instid1(TRANS32_DEP_1)
	v_exp_f32_e32 v33, v33
	v_ldexp_f32 v33, v33, v34
	s_wait_alu 0xfffd
	s_delay_alu instid0(VALU_DEP_1) | instskip(SKIP_2) | instid1(VALU_DEP_2)
	v_cndmask_b32_e32 v33, 0, v33, vcc_lo
	v_cmp_nlt_f32_e32 vcc_lo, 0x42b17218, v32
	s_wait_alu 0xfffd
	v_cndmask_b32_e32 v18, 0x7f800000, v33, vcc_lo
	s_delay_alu instid0(VALU_DEP_1) | instskip(SKIP_2) | instid1(VALU_DEP_1)
	v_cvt_f16_f32_e32 v32, v18
	scratch_store_b32 off, v18, off offset:656 ; 4-byte Folded Spill
	v_and_b32_e32 v32, 0xffff, v32
	v_mul_u32_u24_e32 v41, 0x10001, v32
	ds_load_b128 v[32:35], v127
	ds_load_b128 v[42:45], v127 offset:16
	s_wait_dscnt 0x1
	v_pk_mul_f16 v32, v32, v41
	v_pk_mul_f16 v33, v33, v41
	;; [unrolled: 1-line block ×4, first 2 shown]
	v_add_f32_e32 v41, 0x40051340, v40
	s_delay_alu instid0(VALU_DEP_1) | instskip(SKIP_4) | instid1(VALU_DEP_1)
	v_max3_num_f32 v41, v36, v41, v46
	ds_bpermute_b32 v46, v47, v41
	v_mov_b32_e32 v47, v23
	s_wait_dscnt 0x0
	v_dual_mov_b32 v23, v60 :: v_dual_max_num_f32 v46, v46, v46
	v_max_num_f32_e32 v41, v41, v46
	ds_bpermute_b32 v46, v48, v41
	s_wait_dscnt 0x0
	v_max_num_f32_e32 v46, v46, v46
	s_delay_alu instid0(VALU_DEP_1) | instskip(SKIP_3) | instid1(VALU_DEP_1)
	v_max_num_f32_e32 v41, v41, v46
	ds_bpermute_b32 v46, v49, v41
	s_wait_dscnt 0x0
	v_max_num_f32_e32 v46, v46, v46
	v_max_num_f32_e32 v41, v41, v46
	ds_bpermute_b32 v46, v50, v41
	s_wait_dscnt 0x0
	v_max_num_f32_e32 v46, v46, v46
	s_delay_alu instid0(VALU_DEP_1) | instskip(NEXT) | instid1(VALU_DEP_1)
	v_max_num_f32_e32 v48, v41, v46
	v_sub_f32_e32 v36, v36, v48
	s_delay_alu instid0(VALU_DEP_1) | instskip(SKIP_1) | instid1(VALU_DEP_2)
	v_mul_f32_e32 v41, 0x3fb8aa3b, v36
	v_cmp_ngt_f32_e32 vcc_lo, 0xc2ce8ed0, v36
	v_fma_f32 v46, 0x3fb8aa3b, v36, -v41
	s_delay_alu instid0(VALU_DEP_1) | instskip(SKIP_2) | instid1(VALU_DEP_2)
	v_fmac_f32_e32 v46, 0x32a5705f, v36
	v_dual_mov_b32 v50, v48 :: v_dual_mov_b32 v49, v47
	v_rndne_f32_e32 v47, v41
	v_sub_f32_e32 v37, v37, v49
	s_delay_alu instid0(VALU_DEP_2) | instskip(NEXT) | instid1(VALU_DEP_2)
	v_sub_f32_e32 v41, v41, v47
	v_cmp_ngt_f32_e64 s4, 0xc2ce8ed0, v37
	s_delay_alu instid0(VALU_DEP_2)
	v_add_f32_e32 v41, v41, v46
	v_cvt_i32_f32_e32 v46, v47
	v_sub_f32_e32 v38, v38, v50
	scratch_store_b64 off, v[49:50], off offset:1132 ; 8-byte Folded Spill
	v_exp_f32_e32 v41, v41
	v_mul_f32_e32 v39, 0x3fb8aa3b, v38
	s_delay_alu instid0(VALU_DEP_1) | instskip(NEXT) | instid1(TRANS32_DEP_1)
	v_fma_f32 v40, 0x3fb8aa3b, v38, -v39
	v_ldexp_f32 v41, v41, v46
	s_wait_alu 0xfffd
	s_delay_alu instid0(VALU_DEP_1) | instskip(SKIP_2) | instid1(VALU_DEP_2)
	v_dual_fmac_f32 v40, 0x32a5705f, v38 :: v_dual_cndmask_b32 v41, 0, v41
	v_cmp_nlt_f32_e32 vcc_lo, 0x42b17218, v36
	s_wait_alu 0xfffd
	v_cndmask_b32_e32 v18, 0x7f800000, v41, vcc_lo
	s_delay_alu instid0(VALU_DEP_1) | instskip(NEXT) | instid1(VALU_DEP_1)
	v_cvt_f16_f32_e32 v36, v18
	v_and_b32_e32 v36, 0xffff, v36
	s_delay_alu instid0(VALU_DEP_1) | instskip(NEXT) | instid1(VALU_DEP_1)
	v_mul_u32_u24_e32 v36, 0x10001, v36
	v_pk_mul_f16 v48, v44, v36
	v_add_co_u32 v44, vcc_lo, v191, s8
	v_pk_mul_f16 v41, v43, v36
	v_pk_mul_f16 v43, v45, v36
	s_wait_alu 0xfffd
	v_add_co_ci_u32_e64 v45, null, 0, v26, vcc_lo
	v_pk_mul_f16 v42, v42, v36
	global_load_b32 v36, v[44:45], off
	v_add_co_u32 v44, vcc_lo, v135, s8
	s_wait_alu 0xfffd
	v_add_co_ci_u32_e64 v45, null, 0, v253, vcc_lo
	global_load_b32 v46, v[44:45], off
	v_add_co_u32 v44, vcc_lo, v27, s8
	s_wait_alu 0xfffd
	v_add_co_ci_u32_e64 v45, null, 0, v24, vcc_lo
	global_load_u16 v47, v[44:45], off
	v_add_co_u32 v44, vcc_lo, v248, s8
	s_wait_alu 0xfffd
	v_add_co_ci_u32_e64 v45, null, 0, v54, vcc_lo
	global_load_u16 v44, v[44:45], off
	v_rndne_f32_e32 v45, v39
	s_delay_alu instid0(VALU_DEP_1) | instskip(SKIP_1) | instid1(VALU_DEP_2)
	v_sub_f32_e32 v39, v39, v45
	v_cvt_i32_f32_e32 v45, v45
	v_dual_add_f32 v39, v39, v40 :: v_dual_mul_f32 v40, 0x3fb8aa3b, v37
	scratch_store_b32 off, v18, off offset:660 ; 4-byte Folded Spill
	v_exp_f32_e32 v39, v39
	v_fma_f32 v49, 0x3fb8aa3b, v37, -v40
	v_rndne_f32_e32 v50, v40
	s_delay_alu instid0(VALU_DEP_1) | instskip(SKIP_1) | instid1(TRANS32_DEP_1)
	v_dual_fmac_f32 v49, 0x32a5705f, v37 :: v_dual_sub_f32 v40, v40, v50
	v_cmp_ngt_f32_e32 vcc_lo, 0xc2ce8ed0, v38
	v_ldexp_f32 v39, v39, v45
	v_cvt_i32_f32_e32 v45, v50
	s_wait_alu 0xfffd
	s_delay_alu instid0(VALU_DEP_2) | instskip(SKIP_1) | instid1(VALU_DEP_2)
	v_dual_add_f32 v40, v40, v49 :: v_dual_cndmask_b32 v39, 0, v39
	v_cmp_nlt_f32_e32 vcc_lo, 0x42b17218, v38
	v_exp_f32_e32 v40, v40
	s_delay_alu instid0(TRANS32_DEP_1) | instskip(SKIP_1) | instid1(VALU_DEP_1)
	v_ldexp_f32 v40, v40, v45
	s_wait_alu 0xf1ff
	v_cndmask_b32_e64 v38, 0, v40, s4
	v_cmp_nlt_f32_e64 s4, 0x42b17218, v37
	s_wait_alu 0xf1ff
	s_delay_alu instid0(VALU_DEP_1)
	v_cndmask_b32_e64 v18, 0x7f800000, v38, s4
	s_wait_alu 0xfffd
	v_cndmask_b32_e32 v38, 0x7f800000, v39, vcc_lo
	scratch_load_b32 v39, off, off offset:1140 ; 4-byte Folded Reload
	v_cvt_f16_f32_e32 v37, v18
	s_clause 0x1
	scratch_store_b32 off, v18, off offset:668
	scratch_store_b32 off, v38, off offset:664
	v_cvt_f16_f32_e32 v38, v38
	s_wait_loadcnt 0x0
	ds_store_b16 v39, v37
	ds_store_b16 v39, v38 offset:256
	s_clause 0x1
	scratch_load_b32 v175, off, off offset:1168
	scratch_load_b32 v18, off, off offset:1160
	s_wait_loadcnt 0x1
	v_ashrrev_i32_e32 v36, v175, v36
	s_delay_alu instid0(VALU_DEP_1) | instskip(NEXT) | instid1(VALU_DEP_1)
	v_and_b32_e32 v36, 0xf0f0f0f, v36
	v_lshlrev_b16 v37, 8, v36
	v_and_b32_e32 v38, 0xf00, v36
	v_lshrrev_b32_e32 v36, 16, v36
	s_delay_alu instid0(VALU_DEP_3) | instskip(NEXT) | instid1(VALU_DEP_1)
	v_add_nc_u16 v37, 0xf800, v37
	v_lshrrev_b16 v37, 8, v37
	s_delay_alu instid0(VALU_DEP_1) | instskip(SKIP_1) | instid1(VALU_DEP_2)
	v_or_b32_e32 v37, v38, v37
	v_ashrrev_i32_e32 v38, v175, v46
	v_add_nc_u16 v37, 0xf800, v37
	s_delay_alu instid0(VALU_DEP_2) | instskip(NEXT) | instid1(VALU_DEP_1)
	v_and_b32_e32 v38, 0xf0f0f0f, v38
	v_lshlrev_b16 v39, 8, v38
	v_and_b32_e32 v40, 0xf00, v38
	v_lshrrev_b32_e32 v38, 16, v38
	s_delay_alu instid0(VALU_DEP_3) | instskip(NEXT) | instid1(VALU_DEP_1)
	v_add_nc_u16 v39, 0xf800, v39
	v_lshrrev_b16 v39, 8, v39
	s_delay_alu instid0(VALU_DEP_1) | instskip(SKIP_2) | instid1(VALU_DEP_3)
	v_or_b32_e32 v39, v40, v39
	v_lshlrev_b16 v40, 8, v36
	v_and_b32_e32 v36, 0xf00, v36
	v_add_nc_u16 v39, 0xf800, v39
	s_delay_alu instid0(VALU_DEP_3) | instskip(NEXT) | instid1(VALU_DEP_1)
	v_add_nc_u16 v40, 0xf800, v40
	v_lshrrev_b16 v40, 8, v40
	s_delay_alu instid0(VALU_DEP_1) | instskip(SKIP_2) | instid1(VALU_DEP_3)
	v_or_b32_e32 v36, v36, v40
	v_lshlrev_b16 v40, 8, v38
	v_and_b32_e32 v38, 0xf00, v38
	v_add_nc_u16 v36, 0xf800, v36
	s_delay_alu instid0(VALU_DEP_3) | instskip(NEXT) | instid1(VALU_DEP_1)
	v_add_nc_u16 v40, 0xf800, v40
	v_lshrrev_b16 v40, 8, v40
	s_delay_alu instid0(VALU_DEP_1) | instskip(SKIP_2) | instid1(VALU_DEP_3)
	v_or_b32_e32 v38, v38, v40
	v_lshrrev_b32_e32 v40, 8, v37
	v_bfe_i32 v37, v37, 0, 8
	v_add_nc_u16 v38, 0xf800, v38
	s_delay_alu instid0(VALU_DEP_3) | instskip(NEXT) | instid1(VALU_DEP_3)
	v_bfe_i32 v40, v40, 0, 8
	v_cvt_f16_i16_e32 v37, v37
	s_delay_alu instid0(VALU_DEP_2) | instskip(NEXT) | instid1(VALU_DEP_1)
	v_cvt_f16_i16_e32 v40, v40
	v_pack_b32_f16 v37, v37, v40
	v_lshrrev_b32_e32 v40, 8, v39
	v_bfe_i32 v39, v39, 0, 8
	s_delay_alu instid0(VALU_DEP_2) | instskip(NEXT) | instid1(VALU_DEP_2)
	v_bfe_i32 v40, v40, 0, 8
	v_cvt_f16_i16_e32 v39, v39
	s_delay_alu instid0(VALU_DEP_2) | instskip(NEXT) | instid1(VALU_DEP_1)
	v_cvt_f16_i16_e32 v40, v40
	v_pack_b32_f16 v39, v39, v40
	v_lshrrev_b32_e32 v40, 8, v36
	v_bfe_i32 v36, v36, 0, 8
	s_delay_alu instid0(VALU_DEP_2) | instskip(NEXT) | instid1(VALU_DEP_2)
	;; [unrolled: 8-line block ×3, first 2 shown]
	v_bfe_i32 v40, v40, 0, 8
	v_cvt_f16_i16_e32 v38, v38
	s_delay_alu instid0(VALU_DEP_2) | instskip(NEXT) | instid1(VALU_DEP_1)
	v_cvt_f16_i16_e32 v40, v40
	v_pack_b32_f16 v38, v38, v40
	v_mul_u32_u24_e32 v40, 0x10001, v47
	s_delay_alu instid0(VALU_DEP_1) | instskip(SKIP_2) | instid1(VALU_DEP_2)
	v_pk_mul_f16 v178, v36, v40
	v_mul_u32_u24_e32 v36, 0x10001, v44
	v_pk_mul_f16 v179, v37, v40
	v_pk_mul_f16 v176, v39, v36
	;; [unrolled: 1-line block ×3, first 2 shown]
	s_wait_loadcnt 0x0
	ds_load_b128 v[44:47], v18 offset:256
	ds_load_b128 v[36:39], v18 offset:272
	s_wait_dscnt 0x1
	v_and_b32_e32 v40, 0xffff, v44
	s_delay_alu instid0(VALU_DEP_1) | instskip(NEXT) | instid1(VALU_DEP_1)
	v_mul_u32_u24_e32 v40, 0x10001, v40
	v_pk_fma_f16 v180, v179, v40, v42
	v_pk_fma_f16 v182, v176, v40, v48
	;; [unrolled: 1-line block ×4, first 2 shown]
	ds_load_b128 v[48:51], v18
	ds_load_b128 v[40:43], v18 offset:16
	ds_store_b128 v127, v[32:35]
	scratch_store_b32 off, v132, off offset:1112 ; 4-byte Folded Spill
	ds_store_b128 v127, v[180:183] offset:16
	s_wait_dscnt 0x3
	v_and_b32_e32 v184, 0xffff, v48
	v_lshrrev_b32_e32 v48, 16, v48
	s_delay_alu instid0(VALU_DEP_2) | instskip(NEXT) | instid1(VALU_DEP_2)
	v_mul_u32_u24_e32 v184, 0x10001, v184
	v_mul_u32_u24_e32 v48, 0x10001, v48
	s_delay_alu instid0(VALU_DEP_2)
	v_pk_fma_f16 v185, v179, v184, v32
	v_add_co_u32 v32, vcc_lo, v123, s8
	v_pk_fma_f16 v186, v178, v184, v33
	s_wait_alu 0xfffd
	v_add_co_ci_u32_e64 v33, null, 0, v122, vcc_lo
	global_load_b32 v34, v[32:33], off
	v_add_co_u32 v32, vcc_lo, v121, s8
	s_wait_alu 0xfffd
	v_add_co_ci_u32_e64 v33, null, 0, v120, vcc_lo
	global_load_b32 v35, v[32:33], off
	v_add_co_u32 v32, vcc_lo, v254, s8
	s_wait_alu 0xfffd
	v_add_co_ci_u32_e64 v33, null, 0, v255, vcc_lo
	global_load_u16 v178, v[32:33], off
	v_add_co_u32 v32, vcc_lo, v124, s8
	s_wait_alu 0xfffd
	v_add_co_ci_u32_e64 v33, null, 0, v128, vcc_lo
	global_load_u16 v32, v[32:33], off
	s_wait_loadcnt 0x3
	v_ashrrev_i32_e32 v33, v175, v34
	s_delay_alu instid0(VALU_DEP_1) | instskip(SKIP_2) | instid1(VALU_DEP_2)
	v_and_b32_e32 v33, 0xf0f0f0f, v33
	s_wait_loadcnt 0x2
	v_ashrrev_i32_e32 v35, v175, v35
	v_lshlrev_b16 v34, 8, v33
	v_and_b32_e32 v179, 0xf00, v33
	v_lshrrev_b32_e32 v33, 16, v33
	s_delay_alu instid0(VALU_DEP_4) | instskip(NEXT) | instid1(VALU_DEP_4)
	v_and_b32_e32 v35, 0xf0f0f0f, v35
	v_add_nc_u16 v34, 0xf800, v34
	s_wait_loadcnt 0x1
	v_mul_u32_u24_e32 v178, 0x10001, v178
	s_delay_alu instid0(VALU_DEP_3) | instskip(NEXT) | instid1(VALU_DEP_3)
	v_and_b32_e32 v187, 0xf00, v35
	v_lshrrev_b16 v34, 8, v34
	s_wait_loadcnt 0x0
	v_mul_u32_u24_e32 v32, 0x10001, v32
	s_delay_alu instid0(VALU_DEP_2) | instskip(SKIP_2) | instid1(VALU_DEP_3)
	v_or_b32_e32 v34, v179, v34
	v_lshlrev_b16 v179, 8, v35
	v_lshrrev_b32_e32 v35, 16, v35
	v_add_nc_u16 v34, 0xf800, v34
	s_delay_alu instid0(VALU_DEP_3) | instskip(NEXT) | instid1(VALU_DEP_1)
	v_add_nc_u16 v179, 0xf800, v179
	v_lshrrev_b16 v179, 8, v179
	s_delay_alu instid0(VALU_DEP_1) | instskip(SKIP_2) | instid1(VALU_DEP_3)
	v_or_b32_e32 v179, v187, v179
	v_lshlrev_b16 v187, 8, v33
	v_and_b32_e32 v33, 0xf00, v33
	v_add_nc_u16 v179, 0xf800, v179
	s_delay_alu instid0(VALU_DEP_3) | instskip(NEXT) | instid1(VALU_DEP_1)
	v_add_nc_u16 v187, 0xf800, v187
	v_lshrrev_b16 v187, 8, v187
	s_delay_alu instid0(VALU_DEP_1) | instskip(SKIP_2) | instid1(VALU_DEP_3)
	v_or_b32_e32 v33, v33, v187
	v_lshlrev_b16 v187, 8, v35
	v_and_b32_e32 v35, 0xf00, v35
	v_add_nc_u16 v33, 0xf800, v33
	s_delay_alu instid0(VALU_DEP_3) | instskip(NEXT) | instid1(VALU_DEP_1)
	v_add_nc_u16 v187, 0xf800, v187
	v_lshrrev_b16 v187, 8, v187
	s_delay_alu instid0(VALU_DEP_1) | instskip(SKIP_2) | instid1(VALU_DEP_3)
	v_or_b32_e32 v35, v35, v187
	v_lshrrev_b32_e32 v187, 8, v34
	v_bfe_i32 v34, v34, 0, 8
	v_add_nc_u16 v35, 0xf800, v35
	s_delay_alu instid0(VALU_DEP_3) | instskip(NEXT) | instid1(VALU_DEP_3)
	v_bfe_i32 v187, v187, 0, 8
	v_cvt_f16_i16_e32 v34, v34
	s_delay_alu instid0(VALU_DEP_2) | instskip(NEXT) | instid1(VALU_DEP_1)
	v_cvt_f16_i16_e64 v187, v187
	v_pack_b32_f16 v34, v34, v187
	v_lshrrev_b32_e32 v187, 8, v179
	v_bfe_i32 v179, v179, 0, 8
	s_delay_alu instid0(VALU_DEP_2) | instskip(NEXT) | instid1(VALU_DEP_2)
	v_bfe_i32 v187, v187, 0, 8
	v_cvt_f16_i16_e64 v179, v179
	s_delay_alu instid0(VALU_DEP_2) | instskip(NEXT) | instid1(VALU_DEP_1)
	v_cvt_f16_i16_e64 v187, v187
	v_pack_b32_f16 v179, v179, v187
	v_lshrrev_b32_e32 v187, 8, v33
	v_bfe_i32 v33, v33, 0, 8
	s_delay_alu instid0(VALU_DEP_3) | instskip(NEXT) | instid1(VALU_DEP_3)
	v_pk_mul_f16 v189, v179, v32
	v_bfe_i32 v187, v187, 0, 8
	s_delay_alu instid0(VALU_DEP_3) | instskip(NEXT) | instid1(VALU_DEP_2)
	v_cvt_f16_i16_e32 v33, v33
	v_cvt_f16_i16_e64 v187, v187
	s_delay_alu instid0(VALU_DEP_1) | instskip(SKIP_2) | instid1(VALU_DEP_3)
	v_pack_b32_f16 v33, v33, v187
	v_lshrrev_b32_e32 v187, 8, v35
	v_bfe_i32 v35, v35, 0, 8
	v_pk_mul_f16 v188, v33, v178
	s_delay_alu instid0(VALU_DEP_3) | instskip(NEXT) | instid1(VALU_DEP_3)
	v_bfe_i32 v187, v187, 0, 8
	v_cvt_f16_i16_e32 v35, v35
	s_delay_alu instid0(VALU_DEP_2) | instskip(NEXT) | instid1(VALU_DEP_1)
	v_cvt_f16_i16_e64 v187, v187
	v_pack_b32_f16 v35, v35, v187
	v_pk_mul_f16 v187, v34, v178
	ds_load_b64 v[178:179], v127 offset:8
	v_pk_mul_f16 v190, v35, v32
	v_lshrrev_b32_e32 v32, 16, v44
	s_delay_alu instid0(VALU_DEP_1) | instskip(NEXT) | instid1(VALU_DEP_1)
	v_mul_u32_u24_e32 v35, 0x10001, v32
	v_pk_fma_f16 v32, v187, v35, v180
	v_add_co_u32 v180, vcc_lo, v132, s8
	v_pk_fma_f16 v33, v188, v35, v181
	s_wait_alu 0xfffd
	v_add_co_ci_u32_e64 v181, null, 0, v133, vcc_lo
	s_wait_dscnt 0x0
	v_pk_fma_f16 v44, v176, v184, v178
	v_pk_fma_f16 v179, v177, v184, v179
	;; [unrolled: 1-line block ×6, first 2 shown]
	global_load_b32 v44, v[180:181], off
	v_add_co_u32 v180, vcc_lo, v219, s8
	s_wait_alu 0xfffd
	v_add_co_ci_u32_e64 v181, null, 0, v215, vcc_lo
	v_pk_fma_f16 v179, v190, v48, v179
	v_pk_fma_f16 v35, v190, v35, v183
	v_mov_b32_e32 v188, v194
	global_load_b32 v48, v[180:181], off
	v_add_co_u32 v180, vcc_lo, v126, s8
	s_wait_alu 0xfffd
	v_add_co_ci_u32_e64 v181, null, 0, v125, vcc_lo
	ds_store_b128 v127, v[176:179]
	ds_store_b128 v127, v[32:35] offset:16
	v_mov_b32_e32 v189, v222
	global_load_u16 v182, v[180:181], off
	v_add_co_u32 v180, vcc_lo, v245, s8
	s_wait_alu 0xfffd
	v_add_co_ci_u32_e64 v181, null, 0, v246, vcc_lo
	v_mov_b32_e32 v190, v232
	v_dual_mov_b32 v222, v52 :: v_dual_mov_b32 v219, v217
	global_load_u16 v180, v[180:181], off
	v_mov_b32_e32 v215, v118
	s_wait_loadcnt 0x3
	v_ashrrev_i32_e32 v44, v175, v44
	s_delay_alu instid0(VALU_DEP_1) | instskip(SKIP_2) | instid1(VALU_DEP_2)
	v_and_b32_e32 v44, 0xf0f0f0f, v44
	s_wait_loadcnt 0x2
	v_ashrrev_i32_e32 v48, v175, v48
	v_lshlrev_b16 v181, 8, v44
	v_and_b32_e32 v183, 0xf00, v44
	v_lshrrev_b32_e32 v44, 16, v44
	s_delay_alu instid0(VALU_DEP_4) | instskip(NEXT) | instid1(VALU_DEP_4)
	v_and_b32_e32 v48, 0xf0f0f0f, v48
	v_add_nc_u16 v181, 0xf800, v181
	s_wait_loadcnt 0x1
	v_mul_u32_u24_e32 v182, 0x10001, v182
	s_delay_alu instid0(VALU_DEP_3) | instskip(NEXT) | instid1(VALU_DEP_3)
	v_and_b32_e32 v184, 0xf00, v48
	v_lshrrev_b16 v181, 8, v181
	s_wait_loadcnt 0x0
	v_mul_u32_u24_e32 v180, 0x10001, v180
	s_delay_alu instid0(VALU_DEP_2) | instskip(SKIP_2) | instid1(VALU_DEP_3)
	v_or_b32_e32 v181, v183, v181
	v_lshlrev_b16 v183, 8, v48
	v_lshrrev_b32_e32 v48, 16, v48
	v_add_nc_u16 v181, 0xf800, v181
	s_delay_alu instid0(VALU_DEP_3) | instskip(NEXT) | instid1(VALU_DEP_1)
	v_add_nc_u16 v183, 0xf800, v183
	v_lshrrev_b16 v183, 8, v183
	s_delay_alu instid0(VALU_DEP_1) | instskip(SKIP_2) | instid1(VALU_DEP_3)
	v_or_b32_e32 v183, v184, v183
	v_lshlrev_b16 v184, 8, v44
	v_and_b32_e32 v44, 0xf00, v44
	v_add_nc_u16 v183, 0xf800, v183
	s_delay_alu instid0(VALU_DEP_3) | instskip(NEXT) | instid1(VALU_DEP_1)
	v_add_nc_u16 v184, 0xf800, v184
	v_lshrrev_b16 v184, 8, v184
	s_delay_alu instid0(VALU_DEP_1) | instskip(SKIP_2) | instid1(VALU_DEP_3)
	v_or_b32_e32 v44, v44, v184
	v_lshlrev_b16 v184, 8, v48
	v_and_b32_e32 v48, 0xf00, v48
	v_add_nc_u16 v44, 0xf800, v44
	s_delay_alu instid0(VALU_DEP_3) | instskip(NEXT) | instid1(VALU_DEP_1)
	v_add_nc_u16 v184, 0xf800, v184
	v_lshrrev_b16 v184, 8, v184
	s_delay_alu instid0(VALU_DEP_1) | instskip(SKIP_2) | instid1(VALU_DEP_3)
	v_or_b32_e32 v48, v48, v184
	v_lshrrev_b32_e32 v184, 8, v181
	v_bfe_i32 v181, v181, 0, 8
	v_add_nc_u16 v48, 0xf800, v48
	s_delay_alu instid0(VALU_DEP_3) | instskip(NEXT) | instid1(VALU_DEP_3)
	v_bfe_i32 v184, v184, 0, 8
	v_cvt_f16_i16_e64 v181, v181
	s_delay_alu instid0(VALU_DEP_2) | instskip(NEXT) | instid1(VALU_DEP_1)
	v_cvt_f16_i16_e64 v184, v184
	v_pack_b32_f16 v181, v181, v184
	v_lshrrev_b32_e32 v184, 8, v183
	v_bfe_i32 v183, v183, 0, 8
	s_delay_alu instid0(VALU_DEP_2) | instskip(NEXT) | instid1(VALU_DEP_2)
	v_bfe_i32 v184, v184, 0, 8
	v_cvt_f16_i16_e64 v183, v183
	s_delay_alu instid0(VALU_DEP_2) | instskip(NEXT) | instid1(VALU_DEP_1)
	v_cvt_f16_i16_e64 v184, v184
	v_pack_b32_f16 v183, v183, v184
	v_lshrrev_b32_e32 v184, 8, v44
	v_bfe_i32 v44, v44, 0, 8
	s_delay_alu instid0(VALU_DEP_3) | instskip(NEXT) | instid1(VALU_DEP_3)
	v_pk_mul_f16 v185, v183, v180
	v_bfe_i32 v184, v184, 0, 8
	s_delay_alu instid0(VALU_DEP_3) | instskip(NEXT) | instid1(VALU_DEP_2)
	v_cvt_f16_i16_e32 v44, v44
	v_cvt_f16_i16_e64 v184, v184
	s_delay_alu instid0(VALU_DEP_1) | instskip(SKIP_2) | instid1(VALU_DEP_3)
	v_pack_b32_f16 v44, v44, v184
	v_lshrrev_b32_e32 v184, 8, v48
	v_bfe_i32 v48, v48, 0, 8
	v_pk_mul_f16 v44, v44, v182
	s_delay_alu instid0(VALU_DEP_3) | instskip(NEXT) | instid1(VALU_DEP_3)
	v_bfe_i32 v184, v184, 0, 8
	v_cvt_f16_i16_e32 v48, v48
	s_delay_alu instid0(VALU_DEP_2) | instskip(NEXT) | instid1(VALU_DEP_1)
	v_cvt_f16_i16_e64 v184, v184
	v_pack_b32_f16 v48, v48, v184
	v_pk_mul_f16 v184, v181, v182
	s_delay_alu instid0(VALU_DEP_2) | instskip(SKIP_1) | instid1(VALU_DEP_1)
	v_pk_mul_f16 v48, v48, v180
	v_and_b32_e32 v180, 0xffff, v49
	v_mul_u32_u24_e32 v183, 0x10001, v180
	s_delay_alu instid0(VALU_DEP_1)
	v_pk_fma_f16 v180, v184, v183, v176
	v_and_b32_e32 v176, 0xffff, v45
	v_pk_fma_f16 v181, v44, v183, v177
	v_pk_fma_f16 v182, v185, v183, v178
	;; [unrolled: 1-line block ×3, first 2 shown]
	v_lshrrev_b32_e32 v45, 16, v45
	v_mul_u32_u24_e32 v179, 0x10001, v176
	s_delay_alu instid0(VALU_DEP_2) | instskip(NEXT) | instid1(VALU_DEP_2)
	v_mul_u32_u24_e32 v45, 0x10001, v45
	v_pk_fma_f16 v176, v184, v179, v32
	v_add_co_u32 v32, vcc_lo, v244, s8
	v_pk_fma_f16 v177, v44, v179, v33
	s_wait_alu 0xfffd
	v_add_co_ci_u32_e64 v33, null, 0, v134, vcc_lo
	v_pk_fma_f16 v178, v185, v179, v34
	v_pk_fma_f16 v179, v48, v179, v35
	ds_store_b128 v127, v[180:183]
	global_load_b32 v34, v[32:33], off
	v_add_co_u32 v32, vcc_lo, v218, s8
	s_wait_alu 0xfffd
	v_add_co_ci_u32_e64 v33, null, 0, v209, vcc_lo
	v_mov_b32_e32 v218, v216
	ds_store_b128 v127, v[176:179] offset:16
	global_load_u16 v35, v[32:33], off
	v_add_co_u32 v32, vcc_lo, v212, s8
	s_wait_alu 0xfffd
	v_add_co_ci_u32_e64 v33, null, 0, v237, vcc_lo
	global_load_b32 v44, v[32:33], off
	v_add_co_u32 v32, vcc_lo, v141, s8
	s_wait_alu 0xfffd
	v_add_co_ci_u32_e64 v33, null, 0, v239, vcc_lo
	global_load_u16 v32, v[32:33], off
	s_wait_loadcnt 0x3
	v_ashrrev_i32_e32 v33, v175, v34
	s_delay_alu instid0(VALU_DEP_1) | instskip(SKIP_2) | instid1(VALU_DEP_2)
	v_and_b32_e32 v33, 0xf0f0f0f, v33
	s_wait_loadcnt 0x2
	v_mul_u32_u24_e32 v35, 0x10001, v35
	v_lshlrev_b16 v34, 8, v33
	v_and_b32_e32 v48, 0xf00, v33
	v_lshrrev_b32_e32 v33, 16, v33
	s_delay_alu instid0(VALU_DEP_3) | instskip(NEXT) | instid1(VALU_DEP_1)
	v_add_nc_u16 v34, 0xf800, v34
	v_lshrrev_b16 v34, 8, v34
	s_wait_loadcnt 0x0
	v_mul_u32_u24_e32 v32, 0x10001, v32
	s_delay_alu instid0(VALU_DEP_2) | instskip(SKIP_2) | instid1(VALU_DEP_3)
	v_or_b32_e32 v34, v48, v34
	v_lshlrev_b16 v48, 8, v33
	v_and_b32_e32 v33, 0xf00, v33
	v_add_nc_u16 v34, 0xf800, v34
	s_delay_alu instid0(VALU_DEP_3) | instskip(NEXT) | instid1(VALU_DEP_1)
	v_add_nc_u16 v48, 0xf800, v48
	v_lshrrev_b16 v48, 8, v48
	s_delay_alu instid0(VALU_DEP_1) | instskip(NEXT) | instid1(VALU_DEP_4)
	v_or_b32_e32 v33, v33, v48
	v_lshrrev_b32_e32 v48, 8, v34
	v_bfe_i32 v34, v34, 0, 8
	s_delay_alu instid0(VALU_DEP_3) | instskip(NEXT) | instid1(VALU_DEP_3)
	v_add_nc_u16 v33, 0xf800, v33
	v_bfe_i32 v48, v48, 0, 8
	s_delay_alu instid0(VALU_DEP_3) | instskip(NEXT) | instid1(VALU_DEP_2)
	v_cvt_f16_i16_e32 v34, v34
	v_cvt_f16_i16_e32 v48, v48
	s_delay_alu instid0(VALU_DEP_1) | instskip(SKIP_2) | instid1(VALU_DEP_2)
	v_pack_b32_f16 v34, v34, v48
	v_lshrrev_b32_e32 v48, 8, v33
	v_bfe_i32 v33, v33, 0, 8
	v_bfe_i32 v48, v48, 0, 8
	s_delay_alu instid0(VALU_DEP_2) | instskip(NEXT) | instid1(VALU_DEP_2)
	v_cvt_f16_i16_e32 v33, v33
	v_cvt_f16_i16_e32 v48, v48
	s_delay_alu instid0(VALU_DEP_1) | instskip(SKIP_1) | instid1(VALU_DEP_2)
	v_pack_b32_f16 v33, v33, v48
	v_pk_mul_f16 v48, v34, v35
	v_pk_mul_f16 v184, v33, v35
	v_ashrrev_i32_e32 v33, v175, v44
	s_delay_alu instid0(VALU_DEP_1) | instskip(NEXT) | instid1(VALU_DEP_1)
	v_and_b32_e32 v33, 0xf0f0f0f, v33
	v_lshlrev_b16 v34, 8, v33
	v_and_b32_e32 v35, 0xf00, v33
	v_lshrrev_b32_e32 v33, 16, v33
	s_delay_alu instid0(VALU_DEP_3) | instskip(NEXT) | instid1(VALU_DEP_1)
	v_add_nc_u16 v34, 0xf800, v34
	v_lshrrev_b16 v34, 8, v34
	s_delay_alu instid0(VALU_DEP_1) | instskip(NEXT) | instid1(VALU_DEP_4)
	v_or_b32_e32 v34, v35, v34
	v_lshlrev_b16 v35, 8, v33
	v_and_b32_e32 v33, 0xf00, v33
	s_delay_alu instid0(VALU_DEP_3) | instskip(NEXT) | instid1(VALU_DEP_3)
	v_add_nc_u16 v34, 0xf800, v34
	v_add_nc_u16 v35, 0xf800, v35
	s_delay_alu instid0(VALU_DEP_1) | instskip(NEXT) | instid1(VALU_DEP_1)
	v_lshrrev_b16 v35, 8, v35
	v_or_b32_e32 v33, v33, v35
	s_delay_alu instid0(VALU_DEP_4) | instskip(SKIP_1) | instid1(VALU_DEP_3)
	v_lshrrev_b32_e32 v35, 8, v34
	v_bfe_i32 v34, v34, 0, 8
	v_add_nc_u16 v33, 0xf800, v33
	s_delay_alu instid0(VALU_DEP_3) | instskip(NEXT) | instid1(VALU_DEP_3)
	v_bfe_i32 v35, v35, 0, 8
	v_cvt_f16_i16_e32 v34, v34
	s_delay_alu instid0(VALU_DEP_2) | instskip(NEXT) | instid1(VALU_DEP_1)
	v_cvt_f16_i16_e32 v35, v35
	v_pack_b32_f16 v34, v34, v35
	v_lshrrev_b32_e32 v35, 8, v33
	v_bfe_i32 v33, v33, 0, 8
	s_delay_alu instid0(VALU_DEP_3) | instskip(NEXT) | instid1(VALU_DEP_3)
	v_pk_mul_f16 v44, v34, v32
	v_bfe_i32 v35, v35, 0, 8
	s_delay_alu instid0(VALU_DEP_3) | instskip(NEXT) | instid1(VALU_DEP_2)
	v_cvt_f16_i16_e32 v33, v33
	v_cvt_f16_i16_e32 v35, v35
	s_delay_alu instid0(VALU_DEP_1) | instskip(NEXT) | instid1(VALU_DEP_1)
	v_pack_b32_f16 v33, v33, v35
	v_pk_mul_f16 v185, v33, v32
	v_lshrrev_b32_e32 v32, 16, v49
	s_delay_alu instid0(VALU_DEP_1) | instskip(NEXT) | instid1(VALU_DEP_1)
	v_mul_u32_u24_e32 v35, 0x10001, v32
	v_pk_fma_f16 v34, v44, v35, v182
	v_pk_fma_f16 v182, v44, v45, v178
	v_add_co_u32 v44, vcc_lo, v119, s8
	v_pk_fma_f16 v32, v48, v35, v180
	v_pk_fma_f16 v33, v184, v35, v181
	;; [unrolled: 1-line block ×6, first 2 shown]
	s_wait_alu 0xfffd
	v_add_co_ci_u32_e64 v45, null, 0, v130, vcc_lo
	ds_store_b128 v127, v[32:35]
	ds_store_b128 v127, v[180:183] offset:16
	global_load_b32 v48, v[44:45], off
	v_add_co_u32 v44, vcc_lo, v1, s8
	s_wait_alu 0xfffd
	v_add_co_ci_u32_e64 v45, null, 0, v210, vcc_lo
	v_mov_b32_e32 v210, v21
	global_load_u16 v49, v[44:45], off
	v_add_co_u32 v44, vcc_lo, v233, s8
	s_wait_alu 0xfffd
	v_add_co_ci_u32_e64 v45, null, 0, v129, vcc_lo
	global_load_b32 v176, v[44:45], off
	v_add_co_u32 v44, vcc_lo, v225, s8
	s_wait_alu 0xfffd
	v_add_co_ci_u32_e64 v45, null, 0, v0, vcc_lo
	v_mov_b32_e32 v225, v221
	v_mov_b32_e32 v221, v189
	global_load_u16 v44, v[44:45], off
	s_wait_loadcnt 0x3
	v_ashrrev_i32_e32 v45, v175, v48
	s_delay_alu instid0(VALU_DEP_1) | instskip(SKIP_2) | instid1(VALU_DEP_2)
	v_and_b32_e32 v45, 0xf0f0f0f, v45
	s_wait_loadcnt 0x2
	v_mul_u32_u24_e32 v49, 0x10001, v49
	v_lshlrev_b16 v48, 8, v45
	v_and_b32_e32 v177, 0xf00, v45
	v_lshrrev_b32_e32 v45, 16, v45
	s_delay_alu instid0(VALU_DEP_3) | instskip(NEXT) | instid1(VALU_DEP_1)
	v_add_nc_u16 v48, 0xf800, v48
	v_lshrrev_b16 v48, 8, v48
	s_wait_loadcnt 0x0
	v_mul_u32_u24_e32 v44, 0x10001, v44
	s_delay_alu instid0(VALU_DEP_2) | instskip(SKIP_2) | instid1(VALU_DEP_3)
	v_or_b32_e32 v48, v177, v48
	v_lshlrev_b16 v177, 8, v45
	v_and_b32_e32 v45, 0xf00, v45
	v_add_nc_u16 v48, 0xf800, v48
	s_delay_alu instid0(VALU_DEP_3) | instskip(NEXT) | instid1(VALU_DEP_1)
	v_add_nc_u16 v177, 0xf800, v177
	v_lshrrev_b16 v177, 8, v177
	s_delay_alu instid0(VALU_DEP_1) | instskip(NEXT) | instid1(VALU_DEP_4)
	v_or_b32_e32 v45, v45, v177
	v_lshrrev_b32_e32 v177, 8, v48
	v_bfe_i32 v48, v48, 0, 8
	s_delay_alu instid0(VALU_DEP_3) | instskip(NEXT) | instid1(VALU_DEP_3)
	v_add_nc_u16 v45, 0xf800, v45
	v_bfe_i32 v177, v177, 0, 8
	s_delay_alu instid0(VALU_DEP_3) | instskip(NEXT) | instid1(VALU_DEP_2)
	v_cvt_f16_i16_e32 v48, v48
	v_cvt_f16_i16_e64 v177, v177
	s_delay_alu instid0(VALU_DEP_1) | instskip(SKIP_2) | instid1(VALU_DEP_3)
	v_pack_b32_f16 v48, v48, v177
	v_lshrrev_b32_e32 v177, 8, v45
	v_bfe_i32 v45, v45, 0, 8
	v_pk_mul_f16 v48, v48, v49
	s_delay_alu instid0(VALU_DEP_3) | instskip(NEXT) | instid1(VALU_DEP_3)
	v_bfe_i32 v177, v177, 0, 8
	v_cvt_f16_i16_e32 v45, v45
	s_delay_alu instid0(VALU_DEP_2) | instskip(NEXT) | instid1(VALU_DEP_1)
	v_cvt_f16_i16_e64 v177, v177
	v_pack_b32_f16 v45, v45, v177
	s_delay_alu instid0(VALU_DEP_1) | instskip(SKIP_1) | instid1(VALU_DEP_1)
	v_pk_mul_f16 v45, v45, v49
	v_ashrrev_i32_e32 v49, v175, v176
	v_and_b32_e32 v49, 0xf0f0f0f, v49
	s_delay_alu instid0(VALU_DEP_1) | instskip(SKIP_2) | instid1(VALU_DEP_3)
	v_lshlrev_b16 v176, 8, v49
	v_and_b32_e32 v177, 0xf00, v49
	v_lshrrev_b32_e32 v49, 16, v49
	v_add_nc_u16 v176, 0xf800, v176
	s_delay_alu instid0(VALU_DEP_1) | instskip(NEXT) | instid1(VALU_DEP_1)
	v_lshrrev_b16 v176, 8, v176
	v_or_b32_e32 v176, v177, v176
	s_delay_alu instid0(VALU_DEP_4) | instskip(SKIP_1) | instid1(VALU_DEP_3)
	v_lshlrev_b16 v177, 8, v49
	v_and_b32_e32 v49, 0xf00, v49
	v_add_nc_u16 v176, 0xf800, v176
	s_delay_alu instid0(VALU_DEP_3) | instskip(NEXT) | instid1(VALU_DEP_1)
	v_add_nc_u16 v177, 0xf800, v177
	v_lshrrev_b16 v177, 8, v177
	s_delay_alu instid0(VALU_DEP_1) | instskip(NEXT) | instid1(VALU_DEP_4)
	v_or_b32_e32 v49, v49, v177
	v_lshrrev_b32_e32 v177, 8, v176
	v_bfe_i32 v176, v176, 0, 8
	s_delay_alu instid0(VALU_DEP_3) | instskip(NEXT) | instid1(VALU_DEP_3)
	v_add_nc_u16 v49, 0xf800, v49
	v_bfe_i32 v177, v177, 0, 8
	s_delay_alu instid0(VALU_DEP_3) | instskip(NEXT) | instid1(VALU_DEP_2)
	v_cvt_f16_i16_e64 v176, v176
	v_cvt_f16_i16_e64 v177, v177
	s_delay_alu instid0(VALU_DEP_1) | instskip(SKIP_2) | instid1(VALU_DEP_3)
	v_pack_b32_f16 v176, v176, v177
	v_lshrrev_b32_e32 v177, 8, v49
	v_bfe_i32 v49, v49, 0, 8
	v_pk_mul_f16 v184, v176, v44
	s_delay_alu instid0(VALU_DEP_3) | instskip(NEXT) | instid1(VALU_DEP_3)
	v_bfe_i32 v177, v177, 0, 8
	v_cvt_f16_i16_e32 v49, v49
	s_delay_alu instid0(VALU_DEP_2) | instskip(NEXT) | instid1(VALU_DEP_1)
	v_cvt_f16_i16_e64 v177, v177
	v_pack_b32_f16 v49, v49, v177
	s_delay_alu instid0(VALU_DEP_1) | instskip(SKIP_1) | instid1(VALU_DEP_1)
	v_pk_mul_f16 v44, v49, v44
	v_and_b32_e32 v49, 0xffff, v50
	v_mul_u32_u24_e32 v49, 0x10001, v49
	s_delay_alu instid0(VALU_DEP_1)
	v_pk_fma_f16 v176, v48, v49, v32
	v_and_b32_e32 v32, 0xffff, v46
	v_pk_fma_f16 v179, v44, v49, v35
	v_pk_fma_f16 v177, v45, v49, v33
	v_pk_fma_f16 v178, v184, v49, v34
	v_lshrrev_b32_e32 v46, 16, v46
	v_mul_u32_u24_e32 v35, 0x10001, v32
	s_delay_alu instid0(VALU_DEP_2) | instskip(NEXT) | instid1(VALU_DEP_2)
	v_mul_u32_u24_e32 v46, 0x10001, v46
	v_pk_fma_f16 v32, v48, v35, v180
	v_pk_fma_f16 v33, v45, v35, v181
	;; [unrolled: 1-line block ×4, first 2 shown]
	v_add_co_u32 v44, vcc_lo, v231, s8
	s_wait_alu 0xfffd
	v_add_co_ci_u32_e64 v45, null, 0, v230, vcc_lo
	ds_store_b128 v127, v[176:179]
	ds_store_b128 v127, v[32:35] offset:16
	global_load_b32 v48, v[44:45], off
	v_add_co_u32 v44, vcc_lo, v207, s8
	s_wait_alu 0xfffd
	v_add_co_ci_u32_e64 v45, null, 0, v208, vcc_lo
	v_dual_mov_b32 v207, v213 :: v_dual_mov_b32 v208, v20
	global_load_u16 v49, v[44:45], off
	v_add_co_u32 v44, vcc_lo, v206, s8
	s_wait_alu 0xfffd
	v_add_co_ci_u32_e64 v45, null, 0, v101, vcc_lo
	v_mov_b32_e32 v206, v214
	global_load_b32 v180, v[44:45], off
	v_add_co_u32 v44, vcc_lo, v223, s8
	s_wait_alu 0xfffd
	v_add_co_ci_u32_e64 v45, null, 0, v224, vcc_lo
	global_load_u16 v44, v[44:45], off
	s_wait_loadcnt 0x3
	v_ashrrev_i32_e32 v45, v175, v48
	s_delay_alu instid0(VALU_DEP_1) | instskip(SKIP_2) | instid1(VALU_DEP_2)
	v_and_b32_e32 v45, 0xf0f0f0f, v45
	s_wait_loadcnt 0x2
	v_mul_u32_u24_e32 v49, 0x10001, v49
	v_lshlrev_b16 v48, 8, v45
	v_and_b32_e32 v181, 0xf00, v45
	v_lshrrev_b32_e32 v45, 16, v45
	s_delay_alu instid0(VALU_DEP_3) | instskip(NEXT) | instid1(VALU_DEP_1)
	v_add_nc_u16 v48, 0xf800, v48
	v_lshrrev_b16 v48, 8, v48
	s_wait_loadcnt 0x0
	v_mul_u32_u24_e32 v44, 0x10001, v44
	s_delay_alu instid0(VALU_DEP_2) | instskip(SKIP_2) | instid1(VALU_DEP_3)
	v_or_b32_e32 v48, v181, v48
	v_lshlrev_b16 v181, 8, v45
	v_and_b32_e32 v45, 0xf00, v45
	v_add_nc_u16 v48, 0xf800, v48
	s_delay_alu instid0(VALU_DEP_3) | instskip(NEXT) | instid1(VALU_DEP_1)
	v_add_nc_u16 v181, 0xf800, v181
	v_lshrrev_b16 v181, 8, v181
	s_delay_alu instid0(VALU_DEP_1) | instskip(NEXT) | instid1(VALU_DEP_4)
	v_or_b32_e32 v45, v45, v181
	v_lshrrev_b32_e32 v181, 8, v48
	v_bfe_i32 v48, v48, 0, 8
	s_delay_alu instid0(VALU_DEP_3) | instskip(NEXT) | instid1(VALU_DEP_3)
	v_add_nc_u16 v45, 0xf800, v45
	v_bfe_i32 v181, v181, 0, 8
	s_delay_alu instid0(VALU_DEP_3) | instskip(NEXT) | instid1(VALU_DEP_2)
	v_cvt_f16_i16_e32 v48, v48
	v_cvt_f16_i16_e64 v181, v181
	s_delay_alu instid0(VALU_DEP_1) | instskip(SKIP_2) | instid1(VALU_DEP_3)
	v_pack_b32_f16 v48, v48, v181
	v_lshrrev_b32_e32 v181, 8, v45
	v_bfe_i32 v45, v45, 0, 8
	v_pk_mul_f16 v48, v48, v49
	s_delay_alu instid0(VALU_DEP_3) | instskip(NEXT) | instid1(VALU_DEP_3)
	v_bfe_i32 v181, v181, 0, 8
	v_cvt_f16_i16_e32 v45, v45
	s_delay_alu instid0(VALU_DEP_2) | instskip(NEXT) | instid1(VALU_DEP_1)
	v_cvt_f16_i16_e64 v181, v181
	v_pack_b32_f16 v45, v45, v181
	s_delay_alu instid0(VALU_DEP_1) | instskip(SKIP_1) | instid1(VALU_DEP_1)
	v_pk_mul_f16 v45, v45, v49
	v_ashrrev_i32_e32 v49, v175, v180
	v_and_b32_e32 v49, 0xf0f0f0f, v49
	s_delay_alu instid0(VALU_DEP_1) | instskip(SKIP_2) | instid1(VALU_DEP_3)
	v_lshlrev_b16 v180, 8, v49
	v_and_b32_e32 v181, 0xf00, v49
	v_lshrrev_b32_e32 v49, 16, v49
	v_add_nc_u16 v180, 0xf800, v180
	s_delay_alu instid0(VALU_DEP_1) | instskip(NEXT) | instid1(VALU_DEP_1)
	v_lshrrev_b16 v180, 8, v180
	v_or_b32_e32 v180, v181, v180
	s_delay_alu instid0(VALU_DEP_4) | instskip(SKIP_1) | instid1(VALU_DEP_3)
	v_lshlrev_b16 v181, 8, v49
	v_and_b32_e32 v49, 0xf00, v49
	v_add_nc_u16 v180, 0xf800, v180
	s_delay_alu instid0(VALU_DEP_3) | instskip(NEXT) | instid1(VALU_DEP_1)
	v_add_nc_u16 v181, 0xf800, v181
	v_lshrrev_b16 v181, 8, v181
	s_delay_alu instid0(VALU_DEP_1) | instskip(NEXT) | instid1(VALU_DEP_4)
	v_or_b32_e32 v49, v49, v181
	v_lshrrev_b32_e32 v181, 8, v180
	v_bfe_i32 v180, v180, 0, 8
	s_delay_alu instid0(VALU_DEP_3) | instskip(NEXT) | instid1(VALU_DEP_3)
	v_add_nc_u16 v49, 0xf800, v49
	v_bfe_i32 v181, v181, 0, 8
	s_delay_alu instid0(VALU_DEP_3) | instskip(NEXT) | instid1(VALU_DEP_2)
	v_cvt_f16_i16_e64 v180, v180
	v_cvt_f16_i16_e64 v181, v181
	s_delay_alu instid0(VALU_DEP_1) | instskip(SKIP_2) | instid1(VALU_DEP_3)
	v_pack_b32_f16 v180, v180, v181
	v_lshrrev_b32_e32 v181, 8, v49
	v_bfe_i32 v49, v49, 0, 8
	v_pk_mul_f16 v184, v180, v44
	s_delay_alu instid0(VALU_DEP_3) | instskip(NEXT) | instid1(VALU_DEP_3)
	v_bfe_i32 v181, v181, 0, 8
	v_cvt_f16_i16_e32 v49, v49
	s_delay_alu instid0(VALU_DEP_2) | instskip(NEXT) | instid1(VALU_DEP_1)
	v_cvt_f16_i16_e64 v181, v181
	v_pack_b32_f16 v49, v49, v181
	s_delay_alu instid0(VALU_DEP_1) | instskip(SKIP_1) | instid1(VALU_DEP_1)
	v_pk_mul_f16 v44, v49, v44
	v_lshrrev_b32_e32 v49, 16, v50
	v_mul_u32_u24_e32 v49, 0x10001, v49
	s_delay_alu instid0(VALU_DEP_1)
	v_pk_fma_f16 v180, v48, v49, v176
	v_pk_fma_f16 v176, v48, v46, v32
	v_add_co_u32 v32, vcc_lo, v202, s8
	v_pk_fma_f16 v181, v45, v49, v177
	v_pk_fma_f16 v177, v45, v46, v33
	s_wait_alu 0xfffd
	v_add_co_ci_u32_e64 v33, null, 0, v205, vcc_lo
	v_pk_fma_f16 v182, v184, v49, v178
	v_pk_fma_f16 v178, v184, v46, v34
	;; [unrolled: 1-line block ×3, first 2 shown]
	global_load_b32 v34, v[32:33], off
	v_add_co_u32 v32, vcc_lo, v53, s8
	s_wait_alu 0xfffd
	v_add_co_ci_u32_e64 v33, null, 0, v87, vcc_lo
	v_pk_fma_f16 v179, v44, v46, v35
	v_and_b32_e32 v49, 0xffff, v47
	ds_store_b128 v127, v[180:183]
	global_load_u16 v35, v[32:33], off
	v_add_co_u32 v32, vcc_lo, v25, s8
	s_wait_alu 0xfffd
	v_add_co_ci_u32_e64 v33, null, 0, v203, vcc_lo
	v_mul_u32_u24_e32 v49, 0x10001, v49
	ds_store_b128 v127, v[176:179] offset:16
	v_mov_b32_e32 v202, v226
	global_load_b32 v44, v[32:33], off
	v_add_co_u32 v32, vcc_lo, v204, s8
	s_wait_alu 0xfffd
	v_add_co_ci_u32_e64 v33, null, 0, v211, vcc_lo
	v_dual_mov_b32 v203, v227 :: v_dual_mov_b32 v204, v228
	v_mov_b32_e32 v205, v17
	global_load_u16 v32, v[32:33], off
	v_mov_b32_e32 v227, v222
	v_mov_b32_e32 v25, v195
	s_wait_loadcnt 0x3
	v_ashrrev_i32_e32 v33, v175, v34
	s_delay_alu instid0(VALU_DEP_1) | instskip(SKIP_2) | instid1(VALU_DEP_2)
	v_and_b32_e32 v33, 0xf0f0f0f, v33
	s_wait_loadcnt 0x2
	v_mul_u32_u24_e32 v35, 0x10001, v35
	v_lshlrev_b16 v34, 8, v33
	v_and_b32_e32 v45, 0xf00, v33
	v_lshrrev_b32_e32 v33, 16, v33
	s_delay_alu instid0(VALU_DEP_3) | instskip(NEXT) | instid1(VALU_DEP_1)
	v_add_nc_u16 v34, 0xf800, v34
	v_lshrrev_b16 v34, 8, v34
	s_wait_loadcnt 0x0
	v_mul_u32_u24_e32 v32, 0x10001, v32
	s_delay_alu instid0(VALU_DEP_2) | instskip(SKIP_2) | instid1(VALU_DEP_3)
	v_or_b32_e32 v34, v45, v34
	v_lshlrev_b16 v45, 8, v33
	v_and_b32_e32 v33, 0xf00, v33
	v_add_nc_u16 v34, 0xf800, v34
	s_delay_alu instid0(VALU_DEP_3) | instskip(NEXT) | instid1(VALU_DEP_1)
	v_add_nc_u16 v45, 0xf800, v45
	v_lshrrev_b16 v45, 8, v45
	s_delay_alu instid0(VALU_DEP_1) | instskip(NEXT) | instid1(VALU_DEP_4)
	v_or_b32_e32 v33, v33, v45
	v_lshrrev_b32_e32 v45, 8, v34
	v_bfe_i32 v34, v34, 0, 8
	s_delay_alu instid0(VALU_DEP_3) | instskip(NEXT) | instid1(VALU_DEP_3)
	v_add_nc_u16 v33, 0xf800, v33
	v_bfe_i32 v45, v45, 0, 8
	s_delay_alu instid0(VALU_DEP_3) | instskip(NEXT) | instid1(VALU_DEP_2)
	v_cvt_f16_i16_e32 v34, v34
	v_cvt_f16_i16_e32 v45, v45
	s_delay_alu instid0(VALU_DEP_1) | instskip(SKIP_2) | instid1(VALU_DEP_2)
	v_pack_b32_f16 v34, v34, v45
	v_lshrrev_b32_e32 v45, 8, v33
	v_bfe_i32 v33, v33, 0, 8
	v_bfe_i32 v45, v45, 0, 8
	s_delay_alu instid0(VALU_DEP_2) | instskip(NEXT) | instid1(VALU_DEP_2)
	v_cvt_f16_i16_e32 v33, v33
	v_cvt_f16_i16_e32 v45, v45
	s_delay_alu instid0(VALU_DEP_1) | instskip(SKIP_1) | instid1(VALU_DEP_2)
	v_pack_b32_f16 v33, v33, v45
	v_pk_mul_f16 v45, v34, v35
	v_pk_mul_f16 v46, v33, v35
	v_ashrrev_i32_e32 v33, v175, v44
	s_delay_alu instid0(VALU_DEP_1) | instskip(NEXT) | instid1(VALU_DEP_1)
	v_and_b32_e32 v33, 0xf0f0f0f, v33
	v_lshlrev_b16 v34, 8, v33
	v_and_b32_e32 v35, 0xf00, v33
	v_lshrrev_b32_e32 v33, 16, v33
	s_delay_alu instid0(VALU_DEP_3) | instskip(NEXT) | instid1(VALU_DEP_1)
	v_add_nc_u16 v34, 0xf800, v34
	v_lshrrev_b16 v34, 8, v34
	s_delay_alu instid0(VALU_DEP_1) | instskip(NEXT) | instid1(VALU_DEP_4)
	v_or_b32_e32 v34, v35, v34
	v_lshlrev_b16 v35, 8, v33
	v_and_b32_e32 v33, 0xf00, v33
	s_delay_alu instid0(VALU_DEP_3) | instskip(NEXT) | instid1(VALU_DEP_3)
	v_add_nc_u16 v34, 0xf800, v34
	v_add_nc_u16 v35, 0xf800, v35
	s_delay_alu instid0(VALU_DEP_1) | instskip(NEXT) | instid1(VALU_DEP_1)
	v_lshrrev_b16 v35, 8, v35
	v_or_b32_e32 v33, v33, v35
	s_delay_alu instid0(VALU_DEP_4) | instskip(SKIP_1) | instid1(VALU_DEP_3)
	v_lshrrev_b32_e32 v35, 8, v34
	v_bfe_i32 v34, v34, 0, 8
	v_add_nc_u16 v33, 0xf800, v33
	s_delay_alu instid0(VALU_DEP_3) | instskip(NEXT) | instid1(VALU_DEP_3)
	v_bfe_i32 v35, v35, 0, 8
	v_cvt_f16_i16_e32 v34, v34
	s_delay_alu instid0(VALU_DEP_2) | instskip(NEXT) | instid1(VALU_DEP_1)
	v_cvt_f16_i16_e32 v35, v35
	v_pack_b32_f16 v34, v34, v35
	v_lshrrev_b32_e32 v35, 8, v33
	v_bfe_i32 v33, v33, 0, 8
	s_delay_alu instid0(VALU_DEP_3) | instskip(NEXT) | instid1(VALU_DEP_3)
	v_pk_mul_f16 v44, v34, v32
	v_bfe_i32 v35, v35, 0, 8
	s_delay_alu instid0(VALU_DEP_3) | instskip(NEXT) | instid1(VALU_DEP_2)
	v_cvt_f16_i16_e32 v33, v33
	v_cvt_f16_i16_e32 v35, v35
	s_delay_alu instid0(VALU_DEP_1) | instskip(NEXT) | instid1(VALU_DEP_1)
	v_pack_b32_f16 v33, v33, v35
	v_pk_mul_f16 v48, v33, v32
	v_and_b32_e32 v32, 0xffff, v51
	s_delay_alu instid0(VALU_DEP_1) | instskip(NEXT) | instid1(VALU_DEP_1)
	v_mul_u32_u24_e32 v35, 0x10001, v32
	v_pk_fma_f16 v34, v44, v35, v182
	v_pk_fma_f16 v182, v44, v49, v178
	v_add_co_u32 v44, vcc_lo, v11, s8
	v_pk_fma_f16 v32, v45, v35, v180
	v_pk_fma_f16 v180, v45, v49, v176
	s_wait_alu 0xfffd
	v_add_co_ci_u32_e64 v45, null, 0, v12, vcc_lo
	v_pk_fma_f16 v33, v46, v35, v181
	v_pk_fma_f16 v35, v48, v35, v183
	;; [unrolled: 1-line block ×3, first 2 shown]
	global_load_b32 v48, v[44:45], off
	v_add_co_u32 v44, vcc_lo, v13, s8
	s_wait_alu 0xfffd
	v_add_co_ci_u32_e64 v45, null, 0, v14, vcc_lo
	v_pk_fma_f16 v181, v46, v49, v177
	v_lshrrev_b32_e32 v46, 16, v51
	ds_store_b128 v127, v[32:35]
	global_load_u16 v49, v[44:45], off
	v_add_co_u32 v44, vcc_lo, v7, s8
	s_wait_alu 0xfffd
	v_add_co_ci_u32_e64 v45, null, 0, v8, vcc_lo
	v_mul_u32_u24_e32 v46, 0x10001, v46
	ds_store_b128 v127, v[180:183] offset:16
	v_mov_b32_e32 v11, v63
	global_load_b32 v50, v[44:45], off
	v_add_co_u32 v44, vcc_lo, v9, s8
	s_wait_alu 0xfffd
	v_add_co_ci_u32_e64 v45, null, 0, v10, vcc_lo
	v_dual_mov_b32 v10, v61 :: v_dual_mov_b32 v9, v62
	v_mov_b32_e32 v13, v31
	global_load_u16 v44, v[44:45], off
	v_mov_b32_e32 v14, v201
	s_wait_loadcnt 0x3
	v_ashrrev_i32_e32 v45, v175, v48
	s_delay_alu instid0(VALU_DEP_1) | instskip(SKIP_2) | instid1(VALU_DEP_2)
	v_and_b32_e32 v45, 0xf0f0f0f, v45
	s_wait_loadcnt 0x2
	v_mul_u32_u24_e32 v49, 0x10001, v49
	v_lshlrev_b16 v48, 8, v45
	v_and_b32_e32 v51, 0xf00, v45
	v_lshrrev_b32_e32 v45, 16, v45
	s_delay_alu instid0(VALU_DEP_3) | instskip(NEXT) | instid1(VALU_DEP_1)
	v_add_nc_u16 v48, 0xf800, v48
	v_lshrrev_b16 v48, 8, v48
	s_wait_loadcnt 0x0
	v_mul_u32_u24_e32 v44, 0x10001, v44
	s_delay_alu instid0(VALU_DEP_2) | instskip(SKIP_2) | instid1(VALU_DEP_3)
	v_or_b32_e32 v48, v51, v48
	v_lshlrev_b16 v51, 8, v45
	v_and_b32_e32 v45, 0xf00, v45
	v_add_nc_u16 v48, 0xf800, v48
	s_delay_alu instid0(VALU_DEP_3) | instskip(NEXT) | instid1(VALU_DEP_1)
	v_add_nc_u16 v51, 0xf800, v51
	v_lshrrev_b16 v51, 8, v51
	s_delay_alu instid0(VALU_DEP_1) | instskip(NEXT) | instid1(VALU_DEP_4)
	v_or_b32_e32 v45, v45, v51
	v_lshrrev_b32_e32 v51, 8, v48
	v_bfe_i32 v48, v48, 0, 8
	s_delay_alu instid0(VALU_DEP_3) | instskip(NEXT) | instid1(VALU_DEP_3)
	v_add_nc_u16 v45, 0xf800, v45
	v_bfe_i32 v51, v51, 0, 8
	s_delay_alu instid0(VALU_DEP_3) | instskip(NEXT) | instid1(VALU_DEP_2)
	v_cvt_f16_i16_e32 v48, v48
	v_cvt_f16_i16_e32 v51, v51
	s_delay_alu instid0(VALU_DEP_1) | instskip(SKIP_2) | instid1(VALU_DEP_3)
	v_pack_b32_f16 v48, v48, v51
	v_lshrrev_b32_e32 v51, 8, v45
	v_bfe_i32 v45, v45, 0, 8
	v_pk_mul_f16 v176, v48, v49
	s_delay_alu instid0(VALU_DEP_3) | instskip(NEXT) | instid1(VALU_DEP_3)
	v_bfe_i32 v51, v51, 0, 8
	v_cvt_f16_i16_e32 v45, v45
	v_ashrrev_i32_e32 v48, v175, v50
	s_delay_alu instid0(VALU_DEP_3) | instskip(NEXT) | instid1(VALU_DEP_2)
	v_cvt_f16_i16_e32 v51, v51
	v_and_b32_e32 v48, 0xf0f0f0f, v48
	s_delay_alu instid0(VALU_DEP_2) | instskip(NEXT) | instid1(VALU_DEP_2)
	v_pack_b32_f16 v45, v45, v51
	v_and_b32_e32 v50, 0xf00, v48
	s_delay_alu instid0(VALU_DEP_2) | instskip(SKIP_2) | instid1(VALU_DEP_2)
	v_pk_mul_f16 v45, v45, v49
	v_lshlrev_b16 v49, 8, v48
	v_lshrrev_b32_e32 v48, 16, v48
	v_add_nc_u16 v49, 0xf800, v49
	s_delay_alu instid0(VALU_DEP_1) | instskip(NEXT) | instid1(VALU_DEP_1)
	v_lshrrev_b16 v49, 8, v49
	v_or_b32_e32 v49, v50, v49
	s_delay_alu instid0(VALU_DEP_4) | instskip(SKIP_1) | instid1(VALU_DEP_3)
	v_lshlrev_b16 v50, 8, v48
	v_and_b32_e32 v48, 0xf00, v48
	v_add_nc_u16 v49, 0xf800, v49
	s_delay_alu instid0(VALU_DEP_3) | instskip(NEXT) | instid1(VALU_DEP_1)
	v_add_nc_u16 v50, 0xf800, v50
	v_lshrrev_b16 v50, 8, v50
	s_delay_alu instid0(VALU_DEP_1) | instskip(NEXT) | instid1(VALU_DEP_4)
	v_or_b32_e32 v48, v48, v50
	v_lshrrev_b32_e32 v50, 8, v49
	v_bfe_i32 v49, v49, 0, 8
	s_delay_alu instid0(VALU_DEP_3) | instskip(NEXT) | instid1(VALU_DEP_3)
	v_add_nc_u16 v48, 0xf800, v48
	v_bfe_i32 v50, v50, 0, 8
	s_delay_alu instid0(VALU_DEP_3) | instskip(NEXT) | instid1(VALU_DEP_2)
	v_cvt_f16_i16_e32 v49, v49
	v_cvt_f16_i16_e32 v50, v50
	s_delay_alu instid0(VALU_DEP_1) | instskip(SKIP_2) | instid1(VALU_DEP_3)
	v_pack_b32_f16 v49, v49, v50
	v_lshrrev_b32_e32 v50, 8, v48
	v_bfe_i32 v48, v48, 0, 8
	v_pk_mul_f16 v177, v49, v44
	s_delay_alu instid0(VALU_DEP_3) | instskip(NEXT) | instid1(VALU_DEP_3)
	v_bfe_i32 v50, v50, 0, 8
	v_cvt_f16_i16_e32 v48, v48
	v_pk_fma_f16 v49, v45, v46, v33
	s_delay_alu instid0(VALU_DEP_3) | instskip(NEXT) | instid1(VALU_DEP_1)
	v_cvt_f16_i16_e32 v50, v50
	v_pack_b32_f16 v48, v48, v50
	v_pk_fma_f16 v50, v177, v46, v34
	s_delay_alu instid0(VALU_DEP_2) | instskip(SKIP_2) | instid1(VALU_DEP_3)
	v_pk_mul_f16 v44, v48, v44
	v_pk_fma_f16 v48, v176, v46, v32
	v_lshrrev_b32_e32 v32, 16, v47
	v_pk_fma_f16 v51, v44, v46, v35
	s_delay_alu instid0(VALU_DEP_2) | instskip(NEXT) | instid1(VALU_DEP_1)
	v_mul_u32_u24_e32 v35, 0x10001, v32
	v_pk_fma_f16 v32, v176, v35, v180
	v_pk_fma_f16 v33, v45, v35, v181
	;; [unrolled: 1-line block ×4, first 2 shown]
	v_add_co_u32 v44, vcc_lo, v240, s8
	s_wait_alu 0xfffd
	v_add_co_ci_u32_e64 v45, null, 0, v85, vcc_lo
	ds_store_b128 v127, v[48:51]
	ds_store_b128 v127, v[32:35] offset:16
	global_load_b32 v46, v[44:45], off
	v_add_co_u32 v44, vcc_lo, v5, s8
	s_wait_alu 0xfffd
	v_add_co_ci_u32_e64 v45, null, 0, v28, vcc_lo
	v_mov_b32_e32 v5, v93
	v_dual_mov_b32 v93, v239 :: v_dual_mov_b32 v28, v196
	global_load_u16 v47, v[44:45], off
	v_add_co_u32 v44, vcc_lo, v241, s8
	s_wait_alu 0xfffd
	v_add_co_ci_u32_e64 v45, null, 0, v238, vcc_lo
	v_mov_b32_e32 v238, v137
	global_load_b32 v176, v[44:45], off
	v_add_co_u32 v44, vcc_lo, v236, s8
	s_wait_alu 0xfffd
	v_add_co_ci_u32_e64 v45, null, 0, v251, vcc_lo
	global_load_u16 v44, v[44:45], off
	s_wait_loadcnt 0x3
	v_ashrrev_i32_e32 v45, v175, v46
	s_delay_alu instid0(VALU_DEP_1) | instskip(SKIP_2) | instid1(VALU_DEP_2)
	v_and_b32_e32 v45, 0xf0f0f0f, v45
	s_wait_loadcnt 0x2
	v_mul_u32_u24_e32 v47, 0x10001, v47
	v_lshlrev_b16 v46, 8, v45
	v_and_b32_e32 v177, 0xf00, v45
	v_lshrrev_b32_e32 v45, 16, v45
	s_delay_alu instid0(VALU_DEP_3) | instskip(NEXT) | instid1(VALU_DEP_1)
	v_add_nc_u16 v46, 0xf800, v46
	v_lshrrev_b16 v46, 8, v46
	s_wait_loadcnt 0x0
	v_mul_u32_u24_e32 v44, 0x10001, v44
	s_delay_alu instid0(VALU_DEP_2) | instskip(SKIP_2) | instid1(VALU_DEP_3)
	v_or_b32_e32 v46, v177, v46
	v_lshlrev_b16 v177, 8, v45
	v_and_b32_e32 v45, 0xf00, v45
	v_add_nc_u16 v46, 0xf800, v46
	s_delay_alu instid0(VALU_DEP_3) | instskip(NEXT) | instid1(VALU_DEP_1)
	v_add_nc_u16 v177, 0xf800, v177
	v_lshrrev_b16 v177, 8, v177
	s_delay_alu instid0(VALU_DEP_1) | instskip(NEXT) | instid1(VALU_DEP_4)
	v_or_b32_e32 v45, v45, v177
	v_lshrrev_b32_e32 v177, 8, v46
	v_bfe_i32 v46, v46, 0, 8
	s_delay_alu instid0(VALU_DEP_3) | instskip(NEXT) | instid1(VALU_DEP_3)
	v_add_nc_u16 v45, 0xf800, v45
	v_bfe_i32 v177, v177, 0, 8
	s_delay_alu instid0(VALU_DEP_3) | instskip(NEXT) | instid1(VALU_DEP_2)
	v_cvt_f16_i16_e32 v46, v46
	v_cvt_f16_i16_e64 v177, v177
	s_delay_alu instid0(VALU_DEP_1) | instskip(SKIP_2) | instid1(VALU_DEP_2)
	v_pack_b32_f16 v46, v46, v177
	v_lshrrev_b32_e32 v177, 8, v45
	v_bfe_i32 v45, v45, 0, 8
	v_bfe_i32 v177, v177, 0, 8
	s_delay_alu instid0(VALU_DEP_2) | instskip(NEXT) | instid1(VALU_DEP_2)
	v_cvt_f16_i16_e32 v45, v45
	v_cvt_f16_i16_e64 v177, v177
	s_delay_alu instid0(VALU_DEP_1) | instskip(SKIP_1) | instid1(VALU_DEP_2)
	v_pack_b32_f16 v45, v45, v177
	v_pk_mul_f16 v177, v46, v47
	v_pk_mul_f16 v178, v45, v47
	v_ashrrev_i32_e32 v45, v175, v176
	s_delay_alu instid0(VALU_DEP_1) | instskip(NEXT) | instid1(VALU_DEP_1)
	v_and_b32_e32 v45, 0xf0f0f0f, v45
	v_lshlrev_b16 v46, 8, v45
	v_and_b32_e32 v47, 0xf00, v45
	v_lshrrev_b32_e32 v45, 16, v45
	s_delay_alu instid0(VALU_DEP_3) | instskip(NEXT) | instid1(VALU_DEP_1)
	v_add_nc_u16 v46, 0xf800, v46
	v_lshrrev_b16 v46, 8, v46
	s_delay_alu instid0(VALU_DEP_1) | instskip(NEXT) | instid1(VALU_DEP_4)
	v_or_b32_e32 v46, v47, v46
	v_lshlrev_b16 v47, 8, v45
	v_and_b32_e32 v45, 0xf00, v45
	s_delay_alu instid0(VALU_DEP_3) | instskip(NEXT) | instid1(VALU_DEP_3)
	v_add_nc_u16 v46, 0xf800, v46
	v_add_nc_u16 v47, 0xf800, v47
	s_delay_alu instid0(VALU_DEP_1) | instskip(NEXT) | instid1(VALU_DEP_1)
	v_lshrrev_b16 v47, 8, v47
	v_or_b32_e32 v45, v45, v47
	s_delay_alu instid0(VALU_DEP_4) | instskip(SKIP_1) | instid1(VALU_DEP_3)
	v_lshrrev_b32_e32 v47, 8, v46
	v_bfe_i32 v46, v46, 0, 8
	v_add_nc_u16 v45, 0xf800, v45
	s_delay_alu instid0(VALU_DEP_3) | instskip(NEXT) | instid1(VALU_DEP_3)
	v_bfe_i32 v47, v47, 0, 8
	v_cvt_f16_i16_e32 v46, v46
	s_delay_alu instid0(VALU_DEP_2) | instskip(NEXT) | instid1(VALU_DEP_1)
	v_cvt_f16_i16_e32 v47, v47
	v_pack_b32_f16 v46, v46, v47
	v_lshrrev_b32_e32 v47, 8, v45
	v_bfe_i32 v45, v45, 0, 8
	s_delay_alu instid0(VALU_DEP_3) | instskip(NEXT) | instid1(VALU_DEP_3)
	v_pk_mul_f16 v176, v46, v44
	v_bfe_i32 v47, v47, 0, 8
	s_delay_alu instid0(VALU_DEP_3) | instskip(NEXT) | instid1(VALU_DEP_2)
	v_cvt_f16_i16_e32 v45, v45
	v_cvt_f16_i16_e32 v47, v47
	s_delay_alu instid0(VALU_DEP_1) | instskip(NEXT) | instid1(VALU_DEP_1)
	v_pack_b32_f16 v45, v45, v47
	v_pk_mul_f16 v179, v45, v44
	v_and_b32_e32 v44, 0xffff, v40
	s_delay_alu instid0(VALU_DEP_1) | instskip(NEXT) | instid1(VALU_DEP_1)
	v_mul_u32_u24_e32 v47, 0x10001, v44
	v_pk_fma_f16 v44, v177, v47, v48
	v_and_b32_e32 v48, 0xffff, v36
	v_pk_fma_f16 v45, v178, v47, v49
	v_pk_fma_f16 v46, v176, v47, v50
	;; [unrolled: 1-line block ×3, first 2 shown]
	v_lshrrev_b32_e32 v36, 16, v36
	v_mul_u32_u24_e32 v51, 0x10001, v48
	s_delay_alu instid0(VALU_DEP_2) | instskip(NEXT) | instid1(VALU_DEP_2)
	v_mul_u32_u24_e32 v36, 0x10001, v36
	v_pk_fma_f16 v48, v177, v51, v32
	v_add_co_u32 v32, vcc_lo, v189, s8
	v_pk_fma_f16 v49, v178, v51, v33
	s_wait_alu 0xfffd
	v_add_co_ci_u32_e64 v33, null, 0, v190, vcc_lo
	v_pk_fma_f16 v50, v176, v51, v34
	v_pk_fma_f16 v51, v179, v51, v35
	ds_store_b128 v127, v[44:47]
	global_load_b32 v34, v[32:33], off
	v_add_co_u32 v32, vcc_lo, v234, s8
	s_wait_alu 0xfffd
	v_add_co_ci_u32_e64 v33, null, 0, v222, vcc_lo
	ds_store_b128 v127, v[48:51] offset:16
	v_mov_b32_e32 v222, v190
	global_load_u16 v35, v[32:33], off
	v_add_co_u32 v32, vcc_lo, v219, s8
	s_wait_alu 0xfffd
	v_add_co_ci_u32_e64 v33, null, 0, v215, vcc_lo
	global_load_b32 v176, v[32:33], off
	v_add_co_u32 v32, vcc_lo, v11, s8
	s_wait_alu 0xfffd
	v_add_co_ci_u32_e64 v33, null, 0, v238, vcc_lo
	global_load_u16 v32, v[32:33], off
	s_wait_loadcnt 0x3
	v_ashrrev_i32_e32 v33, v175, v34
	s_delay_alu instid0(VALU_DEP_1) | instskip(SKIP_2) | instid1(VALU_DEP_2)
	v_and_b32_e32 v33, 0xf0f0f0f, v33
	s_wait_loadcnt 0x2
	v_mul_u32_u24_e32 v35, 0x10001, v35
	v_lshlrev_b16 v34, 8, v33
	v_and_b32_e32 v177, 0xf00, v33
	v_lshrrev_b32_e32 v33, 16, v33
	s_delay_alu instid0(VALU_DEP_3) | instskip(NEXT) | instid1(VALU_DEP_1)
	v_add_nc_u16 v34, 0xf800, v34
	v_lshrrev_b16 v34, 8, v34
	s_wait_loadcnt 0x0
	v_mul_u32_u24_e32 v32, 0x10001, v32
	s_delay_alu instid0(VALU_DEP_2) | instskip(SKIP_2) | instid1(VALU_DEP_3)
	v_or_b32_e32 v34, v177, v34
	v_lshlrev_b16 v177, 8, v33
	v_and_b32_e32 v33, 0xf00, v33
	v_add_nc_u16 v34, 0xf800, v34
	s_delay_alu instid0(VALU_DEP_3) | instskip(NEXT) | instid1(VALU_DEP_1)
	v_add_nc_u16 v177, 0xf800, v177
	v_lshrrev_b16 v177, 8, v177
	s_delay_alu instid0(VALU_DEP_1) | instskip(NEXT) | instid1(VALU_DEP_4)
	v_or_b32_e32 v33, v33, v177
	v_lshrrev_b32_e32 v177, 8, v34
	v_bfe_i32 v34, v34, 0, 8
	s_delay_alu instid0(VALU_DEP_3) | instskip(NEXT) | instid1(VALU_DEP_3)
	v_add_nc_u16 v33, 0xf800, v33
	v_bfe_i32 v177, v177, 0, 8
	s_delay_alu instid0(VALU_DEP_3) | instskip(NEXT) | instid1(VALU_DEP_2)
	v_cvt_f16_i16_e32 v34, v34
	v_cvt_f16_i16_e64 v177, v177
	s_delay_alu instid0(VALU_DEP_1) | instskip(SKIP_2) | instid1(VALU_DEP_2)
	v_pack_b32_f16 v34, v34, v177
	v_lshrrev_b32_e32 v177, 8, v33
	v_bfe_i32 v33, v33, 0, 8
	v_bfe_i32 v177, v177, 0, 8
	s_delay_alu instid0(VALU_DEP_2) | instskip(NEXT) | instid1(VALU_DEP_2)
	v_cvt_f16_i16_e32 v33, v33
	v_cvt_f16_i16_e64 v177, v177
	s_delay_alu instid0(VALU_DEP_1) | instskip(SKIP_1) | instid1(VALU_DEP_2)
	v_pack_b32_f16 v33, v33, v177
	v_pk_mul_f16 v177, v34, v35
	v_pk_mul_f16 v178, v33, v35
	v_ashrrev_i32_e32 v33, v175, v176
	s_delay_alu instid0(VALU_DEP_1) | instskip(NEXT) | instid1(VALU_DEP_1)
	v_and_b32_e32 v33, 0xf0f0f0f, v33
	v_lshlrev_b16 v34, 8, v33
	v_and_b32_e32 v35, 0xf00, v33
	v_lshrrev_b32_e32 v33, 16, v33
	s_delay_alu instid0(VALU_DEP_3) | instskip(NEXT) | instid1(VALU_DEP_1)
	v_add_nc_u16 v34, 0xf800, v34
	v_lshrrev_b16 v34, 8, v34
	s_delay_alu instid0(VALU_DEP_1) | instskip(NEXT) | instid1(VALU_DEP_4)
	v_or_b32_e32 v34, v35, v34
	v_lshlrev_b16 v35, 8, v33
	v_and_b32_e32 v33, 0xf00, v33
	s_delay_alu instid0(VALU_DEP_3) | instskip(NEXT) | instid1(VALU_DEP_3)
	v_add_nc_u16 v34, 0xf800, v34
	v_add_nc_u16 v35, 0xf800, v35
	s_delay_alu instid0(VALU_DEP_1) | instskip(NEXT) | instid1(VALU_DEP_1)
	v_lshrrev_b16 v35, 8, v35
	v_or_b32_e32 v33, v33, v35
	s_delay_alu instid0(VALU_DEP_4) | instskip(SKIP_1) | instid1(VALU_DEP_3)
	v_lshrrev_b32_e32 v35, 8, v34
	v_bfe_i32 v34, v34, 0, 8
	v_add_nc_u16 v33, 0xf800, v33
	s_delay_alu instid0(VALU_DEP_3) | instskip(NEXT) | instid1(VALU_DEP_3)
	v_bfe_i32 v35, v35, 0, 8
	v_cvt_f16_i16_e32 v34, v34
	s_delay_alu instid0(VALU_DEP_2) | instskip(NEXT) | instid1(VALU_DEP_1)
	v_cvt_f16_i16_e32 v35, v35
	v_pack_b32_f16 v34, v34, v35
	v_lshrrev_b32_e32 v35, 8, v33
	v_bfe_i32 v33, v33, 0, 8
	s_delay_alu instid0(VALU_DEP_3) | instskip(NEXT) | instid1(VALU_DEP_3)
	v_pk_mul_f16 v176, v34, v32
	v_bfe_i32 v35, v35, 0, 8
	s_delay_alu instid0(VALU_DEP_3) | instskip(NEXT) | instid1(VALU_DEP_2)
	v_cvt_f16_i16_e32 v33, v33
	v_cvt_f16_i16_e32 v35, v35
	s_delay_alu instid0(VALU_DEP_1) | instskip(NEXT) | instid1(VALU_DEP_1)
	v_pack_b32_f16 v33, v33, v35
	v_pk_mul_f16 v179, v33, v32
	v_lshrrev_b32_e32 v32, 16, v40
	s_delay_alu instid0(VALU_DEP_1) | instskip(NEXT) | instid1(VALU_DEP_1)
	v_mul_u32_u24_e32 v35, 0x10001, v32
	v_pk_fma_f16 v32, v177, v35, v44
	v_pk_fma_f16 v44, v177, v36, v48
	v_add_co_u32 v48, vcc_lo, v10, s8
	v_pk_fma_f16 v33, v178, v35, v45
	v_pk_fma_f16 v45, v178, v36, v49
	s_wait_alu 0xfffd
	v_add_co_ci_u32_e64 v49, null, 0, v9, vcc_lo
	v_pk_fma_f16 v34, v176, v35, v46
	v_pk_fma_f16 v35, v179, v35, v47
	;; [unrolled: 1-line block ×4, first 2 shown]
	global_load_b32 v36, v[48:49], off
	v_add_co_u32 v48, vcc_lo, v210, s8
	s_wait_alu 0xfffd
	v_add_co_ci_u32_e64 v49, null, 0, v218, vcc_lo
	ds_store_b128 v127, v[32:35]
	ds_store_b128 v127, v[44:47] offset:16
	global_load_u16 v40, v[48:49], off
	v_add_co_u32 v48, vcc_lo, v206, s8
	s_wait_alu 0xfffd
	v_add_co_ci_u32_e64 v49, null, 0, v207, vcc_lo
	global_load_b32 v50, v[48:49], off
	v_add_co_u32 v48, vcc_lo, v208, s8
	s_wait_alu 0xfffd
	v_add_co_ci_u32_e64 v49, null, 0, v225, vcc_lo
	global_load_u16 v48, v[48:49], off
	s_wait_loadcnt 0x3
	v_ashrrev_i32_e32 v36, v175, v36
	s_delay_alu instid0(VALU_DEP_1) | instskip(SKIP_2) | instid1(VALU_DEP_2)
	v_and_b32_e32 v36, 0xf0f0f0f, v36
	s_wait_loadcnt 0x2
	v_mul_u32_u24_e32 v40, 0x10001, v40
	v_lshlrev_b16 v49, 8, v36
	v_and_b32_e32 v51, 0xf00, v36
	v_lshrrev_b32_e32 v36, 16, v36
	s_delay_alu instid0(VALU_DEP_3) | instskip(NEXT) | instid1(VALU_DEP_1)
	v_add_nc_u16 v49, 0xf800, v49
	v_lshrrev_b16 v49, 8, v49
	s_wait_loadcnt 0x0
	v_mul_u32_u24_e32 v48, 0x10001, v48
	s_delay_alu instid0(VALU_DEP_2) | instskip(SKIP_2) | instid1(VALU_DEP_3)
	v_or_b32_e32 v49, v51, v49
	v_lshlrev_b16 v51, 8, v36
	v_and_b32_e32 v36, 0xf00, v36
	v_add_nc_u16 v49, 0xf800, v49
	s_delay_alu instid0(VALU_DEP_3) | instskip(NEXT) | instid1(VALU_DEP_1)
	v_add_nc_u16 v51, 0xf800, v51
	v_lshrrev_b16 v51, 8, v51
	s_delay_alu instid0(VALU_DEP_1) | instskip(NEXT) | instid1(VALU_DEP_4)
	v_or_b32_e32 v36, v36, v51
	v_lshrrev_b32_e32 v51, 8, v49
	v_bfe_i32 v49, v49, 0, 8
	s_delay_alu instid0(VALU_DEP_3) | instskip(NEXT) | instid1(VALU_DEP_3)
	v_add_nc_u16 v36, 0xf800, v36
	v_bfe_i32 v51, v51, 0, 8
	s_delay_alu instid0(VALU_DEP_3) | instskip(NEXT) | instid1(VALU_DEP_2)
	v_cvt_f16_i16_e32 v49, v49
	v_cvt_f16_i16_e32 v51, v51
	s_delay_alu instid0(VALU_DEP_1) | instskip(SKIP_2) | instid1(VALU_DEP_3)
	v_pack_b32_f16 v49, v49, v51
	v_lshrrev_b32_e32 v51, 8, v36
	v_bfe_i32 v36, v36, 0, 8
	v_pk_mul_f16 v176, v49, v40
	s_delay_alu instid0(VALU_DEP_3) | instskip(NEXT) | instid1(VALU_DEP_3)
	v_bfe_i32 v51, v51, 0, 8
	v_cvt_f16_i16_e32 v36, v36
	s_delay_alu instid0(VALU_DEP_2) | instskip(NEXT) | instid1(VALU_DEP_1)
	v_cvt_f16_i16_e32 v51, v51
	v_pack_b32_f16 v36, v36, v51
	s_delay_alu instid0(VALU_DEP_1) | instskip(SKIP_1) | instid1(VALU_DEP_1)
	v_pk_mul_f16 v36, v36, v40
	v_ashrrev_i32_e32 v40, v175, v50
	v_and_b32_e32 v40, 0xf0f0f0f, v40
	s_delay_alu instid0(VALU_DEP_1) | instskip(SKIP_2) | instid1(VALU_DEP_3)
	v_lshlrev_b16 v49, 8, v40
	v_and_b32_e32 v50, 0xf00, v40
	v_lshrrev_b32_e32 v40, 16, v40
	v_add_nc_u16 v49, 0xf800, v49
	s_delay_alu instid0(VALU_DEP_1) | instskip(NEXT) | instid1(VALU_DEP_1)
	v_lshrrev_b16 v49, 8, v49
	v_or_b32_e32 v49, v50, v49
	s_delay_alu instid0(VALU_DEP_4) | instskip(SKIP_1) | instid1(VALU_DEP_3)
	v_lshlrev_b16 v50, 8, v40
	v_and_b32_e32 v40, 0xf00, v40
	v_add_nc_u16 v49, 0xf800, v49
	s_delay_alu instid0(VALU_DEP_3) | instskip(NEXT) | instid1(VALU_DEP_1)
	v_add_nc_u16 v50, 0xf800, v50
	v_lshrrev_b16 v50, 8, v50
	s_delay_alu instid0(VALU_DEP_1) | instskip(NEXT) | instid1(VALU_DEP_4)
	v_or_b32_e32 v40, v40, v50
	v_lshrrev_b32_e32 v50, 8, v49
	v_bfe_i32 v49, v49, 0, 8
	s_delay_alu instid0(VALU_DEP_3) | instskip(NEXT) | instid1(VALU_DEP_3)
	v_add_nc_u16 v40, 0xf800, v40
	v_bfe_i32 v50, v50, 0, 8
	s_delay_alu instid0(VALU_DEP_3) | instskip(NEXT) | instid1(VALU_DEP_2)
	v_cvt_f16_i16_e32 v49, v49
	v_cvt_f16_i16_e32 v50, v50
	s_delay_alu instid0(VALU_DEP_1) | instskip(SKIP_2) | instid1(VALU_DEP_3)
	v_pack_b32_f16 v49, v49, v50
	v_lshrrev_b32_e32 v50, 8, v40
	v_bfe_i32 v40, v40, 0, 8
	v_pk_mul_f16 v177, v49, v48
	s_delay_alu instid0(VALU_DEP_3) | instskip(NEXT) | instid1(VALU_DEP_3)
	v_bfe_i32 v50, v50, 0, 8
	v_cvt_f16_i16_e32 v40, v40
	s_delay_alu instid0(VALU_DEP_2) | instskip(NEXT) | instid1(VALU_DEP_1)
	v_cvt_f16_i16_e32 v50, v50
	v_pack_b32_f16 v40, v40, v50
	s_delay_alu instid0(VALU_DEP_1) | instskip(SKIP_2) | instid1(VALU_DEP_2)
	v_pk_mul_f16 v40, v40, v48
	v_and_b32_e32 v48, 0xffff, v41
	v_lshrrev_b32_e32 v41, 16, v41
	v_mul_u32_u24_e32 v51, 0x10001, v48
	s_delay_alu instid0(VALU_DEP_2) | instskip(NEXT) | instid1(VALU_DEP_2)
	v_mul_u32_u24_e32 v41, 0x10001, v41
	v_pk_fma_f16 v48, v176, v51, v32
	v_and_b32_e32 v32, 0xffff, v37
	v_pk_fma_f16 v49, v36, v51, v33
	v_pk_fma_f16 v50, v177, v51, v34
	;; [unrolled: 1-line block ×3, first 2 shown]
	v_lshrrev_b32_e32 v37, 16, v37
	v_mul_u32_u24_e32 v35, 0x10001, v32
	s_delay_alu instid0(VALU_DEP_2) | instskip(NEXT) | instid1(VALU_DEP_2)
	v_mul_u32_u24_e32 v37, 0x10001, v37
	v_pk_fma_f16 v32, v176, v35, v44
	v_add_co_u32 v44, vcc_lo, v202, s8
	v_pk_fma_f16 v33, v36, v35, v45
	s_wait_alu 0xfffd
	v_add_co_ci_u32_e64 v45, null, 0, v203, vcc_lo
	v_pk_fma_f16 v34, v177, v35, v46
	v_pk_fma_f16 v35, v40, v35, v47
	ds_store_b128 v127, v[48:51]
	global_load_b32 v36, v[44:45], off
	v_add_co_u32 v44, vcc_lo, v204, s8
	s_wait_alu 0xfffd
	v_add_co_ci_u32_e64 v45, null, 0, v205, vcc_lo
	ds_store_b128 v127, v[32:35] offset:16
	global_load_u16 v40, v[44:45], off
	v_add_co_u32 v44, vcc_lo, v198, s8
	s_wait_alu 0xfffd
	v_add_co_ci_u32_e64 v45, null, 0, v199, vcc_lo
	global_load_b32 v46, v[44:45], off
	v_add_co_u32 v44, vcc_lo, v200, s8
	s_wait_alu 0xfffd
	v_add_co_ci_u32_e64 v45, null, 0, v23, vcc_lo
	global_load_u16 v44, v[44:45], off
	s_wait_loadcnt 0x3
	v_ashrrev_i32_e32 v36, v175, v36
	s_delay_alu instid0(VALU_DEP_1) | instskip(SKIP_2) | instid1(VALU_DEP_2)
	v_and_b32_e32 v36, 0xf0f0f0f, v36
	s_wait_loadcnt 0x2
	v_mul_u32_u24_e32 v40, 0x10001, v40
	v_lshlrev_b16 v45, 8, v36
	v_and_b32_e32 v47, 0xf00, v36
	v_lshrrev_b32_e32 v36, 16, v36
	s_delay_alu instid0(VALU_DEP_3) | instskip(NEXT) | instid1(VALU_DEP_1)
	v_add_nc_u16 v45, 0xf800, v45
	v_lshrrev_b16 v45, 8, v45
	s_wait_loadcnt 0x0
	v_mul_u32_u24_e32 v44, 0x10001, v44
	s_delay_alu instid0(VALU_DEP_2) | instskip(SKIP_2) | instid1(VALU_DEP_3)
	v_or_b32_e32 v45, v47, v45
	v_lshlrev_b16 v47, 8, v36
	v_and_b32_e32 v36, 0xf00, v36
	v_add_nc_u16 v45, 0xf800, v45
	s_delay_alu instid0(VALU_DEP_3) | instskip(NEXT) | instid1(VALU_DEP_1)
	v_add_nc_u16 v47, 0xf800, v47
	v_lshrrev_b16 v47, 8, v47
	s_delay_alu instid0(VALU_DEP_1) | instskip(NEXT) | instid1(VALU_DEP_4)
	v_or_b32_e32 v36, v36, v47
	v_lshrrev_b32_e32 v47, 8, v45
	v_bfe_i32 v45, v45, 0, 8
	s_delay_alu instid0(VALU_DEP_3) | instskip(NEXT) | instid1(VALU_DEP_3)
	v_add_nc_u16 v36, 0xf800, v36
	v_bfe_i32 v47, v47, 0, 8
	s_delay_alu instid0(VALU_DEP_3) | instskip(NEXT) | instid1(VALU_DEP_2)
	v_cvt_f16_i16_e32 v45, v45
	v_cvt_f16_i16_e32 v47, v47
	s_delay_alu instid0(VALU_DEP_1) | instskip(SKIP_2) | instid1(VALU_DEP_3)
	v_pack_b32_f16 v45, v45, v47
	v_lshrrev_b32_e32 v47, 8, v36
	v_bfe_i32 v36, v36, 0, 8
	v_pk_mul_f16 v176, v45, v40
	s_delay_alu instid0(VALU_DEP_3) | instskip(NEXT) | instid1(VALU_DEP_3)
	v_bfe_i32 v47, v47, 0, 8
	v_cvt_f16_i16_e32 v36, v36
	s_delay_alu instid0(VALU_DEP_2) | instskip(NEXT) | instid1(VALU_DEP_1)
	v_cvt_f16_i16_e32 v47, v47
	v_pack_b32_f16 v36, v36, v47
	s_delay_alu instid0(VALU_DEP_1) | instskip(SKIP_1) | instid1(VALU_DEP_1)
	v_pk_mul_f16 v36, v36, v40
	v_ashrrev_i32_e32 v40, v175, v46
	v_and_b32_e32 v40, 0xf0f0f0f, v40
	s_delay_alu instid0(VALU_DEP_1) | instskip(SKIP_2) | instid1(VALU_DEP_3)
	v_lshlrev_b16 v45, 8, v40
	v_and_b32_e32 v46, 0xf00, v40
	v_lshrrev_b32_e32 v40, 16, v40
	v_add_nc_u16 v45, 0xf800, v45
	s_delay_alu instid0(VALU_DEP_1) | instskip(NEXT) | instid1(VALU_DEP_1)
	v_lshrrev_b16 v45, 8, v45
	v_or_b32_e32 v45, v46, v45
	s_delay_alu instid0(VALU_DEP_4) | instskip(SKIP_1) | instid1(VALU_DEP_3)
	v_lshlrev_b16 v46, 8, v40
	v_and_b32_e32 v40, 0xf00, v40
	v_add_nc_u16 v45, 0xf800, v45
	s_delay_alu instid0(VALU_DEP_3) | instskip(NEXT) | instid1(VALU_DEP_1)
	v_add_nc_u16 v46, 0xf800, v46
	v_lshrrev_b16 v46, 8, v46
	s_delay_alu instid0(VALU_DEP_1) | instskip(NEXT) | instid1(VALU_DEP_4)
	v_or_b32_e32 v40, v40, v46
	v_lshrrev_b32_e32 v46, 8, v45
	v_bfe_i32 v45, v45, 0, 8
	s_delay_alu instid0(VALU_DEP_3) | instskip(NEXT) | instid1(VALU_DEP_3)
	v_add_nc_u16 v40, 0xf800, v40
	v_bfe_i32 v46, v46, 0, 8
	s_delay_alu instid0(VALU_DEP_3) | instskip(NEXT) | instid1(VALU_DEP_2)
	v_cvt_f16_i16_e32 v45, v45
	v_cvt_f16_i16_e32 v46, v46
	s_delay_alu instid0(VALU_DEP_1) | instskip(SKIP_2) | instid1(VALU_DEP_3)
	v_pack_b32_f16 v45, v45, v46
	v_lshrrev_b32_e32 v46, 8, v40
	v_bfe_i32 v40, v40, 0, 8
	v_pk_mul_f16 v177, v45, v44
	s_delay_alu instid0(VALU_DEP_3) | instskip(NEXT) | instid1(VALU_DEP_3)
	v_bfe_i32 v46, v46, 0, 8
	v_cvt_f16_i16_e32 v40, v40
	v_pk_fma_f16 v45, v36, v41, v49
	v_pk_fma_f16 v49, v36, v37, v33
	s_delay_alu instid0(VALU_DEP_4) | instskip(NEXT) | instid1(VALU_DEP_1)
	v_cvt_f16_i16_e32 v46, v46
	v_pack_b32_f16 v40, v40, v46
	v_pk_fma_f16 v46, v177, v41, v50
	v_pk_fma_f16 v50, v177, v37, v34
	s_delay_alu instid0(VALU_DEP_3)
	v_pk_mul_f16 v40, v40, v44
	v_pk_fma_f16 v44, v176, v41, v48
	v_pk_fma_f16 v48, v176, v37, v32
	v_add_co_u32 v32, vcc_lo, v192, s8
	s_wait_alu 0xfffd
	v_add_co_ci_u32_e64 v33, null, 0, v29, vcc_lo
	v_pk_fma_f16 v47, v40, v41, v51
	v_pk_fma_f16 v51, v40, v37, v35
	global_load_b32 v34, v[32:33], off
	v_add_co_u32 v32, vcc_lo, v55, s8
	s_wait_alu 0xfffd
	v_add_co_ci_u32_e64 v33, null, 0, v5, vcc_lo
	ds_store_b128 v127, v[44:47]
	ds_store_b128 v127, v[48:51] offset:16
	global_load_u16 v35, v[32:33], off
	v_add_co_u32 v32, vcc_lo, v57, s8
	s_wait_alu 0xfffd
	v_add_co_ci_u32_e64 v33, null, 0, v56, vcc_lo
	global_load_b32 v36, v[32:33], off
	v_add_co_u32 v32, vcc_lo, v16, s8
	s_wait_alu 0xfffd
	v_add_co_ci_u32_e64 v33, null, 0, v6, vcc_lo
	v_dual_mov_b32 v6, v15 :: v_dual_mov_b32 v15, v163
	v_mov_b32_e32 v16, v193
	global_load_u16 v32, v[32:33], off
	s_wait_loadcnt 0x3
	v_ashrrev_i32_e32 v33, v175, v34
	s_delay_alu instid0(VALU_DEP_1) | instskip(SKIP_2) | instid1(VALU_DEP_2)
	v_and_b32_e32 v33, 0xf0f0f0f, v33
	s_wait_loadcnt 0x2
	v_mul_u32_u24_e32 v35, 0x10001, v35
	v_lshlrev_b16 v34, 8, v33
	v_and_b32_e32 v37, 0xf00, v33
	v_lshrrev_b32_e32 v33, 16, v33
	s_delay_alu instid0(VALU_DEP_3) | instskip(NEXT) | instid1(VALU_DEP_1)
	v_add_nc_u16 v34, 0xf800, v34
	v_lshrrev_b16 v34, 8, v34
	s_wait_loadcnt 0x0
	v_mul_u32_u24_e32 v32, 0x10001, v32
	s_delay_alu instid0(VALU_DEP_2) | instskip(SKIP_2) | instid1(VALU_DEP_3)
	v_or_b32_e32 v34, v37, v34
	v_lshlrev_b16 v37, 8, v33
	v_and_b32_e32 v33, 0xf00, v33
	v_add_nc_u16 v34, 0xf800, v34
	s_delay_alu instid0(VALU_DEP_3) | instskip(NEXT) | instid1(VALU_DEP_1)
	v_add_nc_u16 v37, 0xf800, v37
	v_lshrrev_b16 v37, 8, v37
	s_delay_alu instid0(VALU_DEP_1) | instskip(NEXT) | instid1(VALU_DEP_4)
	v_or_b32_e32 v33, v33, v37
	v_lshrrev_b32_e32 v37, 8, v34
	v_bfe_i32 v34, v34, 0, 8
	s_delay_alu instid0(VALU_DEP_3) | instskip(NEXT) | instid1(VALU_DEP_3)
	v_add_nc_u16 v33, 0xf800, v33
	v_bfe_i32 v37, v37, 0, 8
	s_delay_alu instid0(VALU_DEP_3) | instskip(NEXT) | instid1(VALU_DEP_2)
	v_cvt_f16_i16_e32 v34, v34
	v_cvt_f16_i16_e32 v37, v37
	s_delay_alu instid0(VALU_DEP_1) | instskip(SKIP_2) | instid1(VALU_DEP_2)
	v_pack_b32_f16 v34, v34, v37
	v_lshrrev_b32_e32 v37, 8, v33
	v_bfe_i32 v33, v33, 0, 8
	v_bfe_i32 v37, v37, 0, 8
	s_delay_alu instid0(VALU_DEP_2) | instskip(NEXT) | instid1(VALU_DEP_2)
	v_cvt_f16_i16_e32 v33, v33
	v_cvt_f16_i16_e32 v37, v37
	s_delay_alu instid0(VALU_DEP_1) | instskip(SKIP_1) | instid1(VALU_DEP_2)
	v_pack_b32_f16 v33, v33, v37
	v_pk_mul_f16 v37, v34, v35
	v_pk_mul_f16 v40, v33, v35
	v_ashrrev_i32_e32 v33, v175, v36
	s_delay_alu instid0(VALU_DEP_1) | instskip(NEXT) | instid1(VALU_DEP_1)
	v_and_b32_e32 v33, 0xf0f0f0f, v33
	v_lshlrev_b16 v34, 8, v33
	v_and_b32_e32 v35, 0xf00, v33
	v_lshrrev_b32_e32 v33, 16, v33
	s_delay_alu instid0(VALU_DEP_3) | instskip(NEXT) | instid1(VALU_DEP_1)
	v_add_nc_u16 v34, 0xf800, v34
	v_lshrrev_b16 v34, 8, v34
	s_delay_alu instid0(VALU_DEP_1) | instskip(NEXT) | instid1(VALU_DEP_4)
	v_or_b32_e32 v34, v35, v34
	v_lshlrev_b16 v35, 8, v33
	v_and_b32_e32 v33, 0xf00, v33
	s_delay_alu instid0(VALU_DEP_3) | instskip(NEXT) | instid1(VALU_DEP_3)
	v_add_nc_u16 v34, 0xf800, v34
	v_add_nc_u16 v35, 0xf800, v35
	s_delay_alu instid0(VALU_DEP_1) | instskip(NEXT) | instid1(VALU_DEP_1)
	v_lshrrev_b16 v35, 8, v35
	v_or_b32_e32 v33, v33, v35
	s_delay_alu instid0(VALU_DEP_4) | instskip(SKIP_1) | instid1(VALU_DEP_3)
	v_lshrrev_b32_e32 v35, 8, v34
	v_bfe_i32 v34, v34, 0, 8
	v_add_nc_u16 v33, 0xf800, v33
	s_delay_alu instid0(VALU_DEP_3) | instskip(NEXT) | instid1(VALU_DEP_3)
	v_bfe_i32 v35, v35, 0, 8
	v_cvt_f16_i16_e32 v34, v34
	s_delay_alu instid0(VALU_DEP_2) | instskip(NEXT) | instid1(VALU_DEP_1)
	v_cvt_f16_i16_e32 v35, v35
	v_pack_b32_f16 v34, v34, v35
	v_lshrrev_b32_e32 v35, 8, v33
	v_bfe_i32 v33, v33, 0, 8
	s_delay_alu instid0(VALU_DEP_3) | instskip(NEXT) | instid1(VALU_DEP_3)
	v_pk_mul_f16 v36, v34, v32
	v_bfe_i32 v35, v35, 0, 8
	s_delay_alu instid0(VALU_DEP_3) | instskip(NEXT) | instid1(VALU_DEP_2)
	v_cvt_f16_i16_e32 v33, v33
	v_cvt_f16_i16_e32 v35, v35
	s_delay_alu instid0(VALU_DEP_1) | instskip(NEXT) | instid1(VALU_DEP_1)
	v_pack_b32_f16 v33, v33, v35
	v_pk_mul_f16 v41, v33, v32
	v_and_b32_e32 v32, 0xffff, v42
	s_delay_alu instid0(VALU_DEP_1) | instskip(NEXT) | instid1(VALU_DEP_1)
	v_mul_u32_u24_e32 v35, 0x10001, v32
	v_pk_fma_f16 v32, v37, v35, v44
	v_and_b32_e32 v44, 0xffff, v38
	v_pk_fma_f16 v33, v40, v35, v45
	v_pk_fma_f16 v34, v36, v35, v46
	v_pk_fma_f16 v35, v41, v35, v47
	s_delay_alu instid0(VALU_DEP_4) | instskip(NEXT) | instid1(VALU_DEP_1)
	v_mul_u32_u24_e32 v47, 0x10001, v44
	v_pk_fma_f16 v46, v36, v47, v50
	v_add_co_u32 v36, vcc_lo, v195, s8
	v_pk_fma_f16 v44, v37, v47, v48
	s_wait_alu 0xfffd
	v_add_co_ci_u32_e64 v37, null, 0, v196, vcc_lo
	v_pk_fma_f16 v45, v40, v47, v49
	v_pk_fma_f16 v47, v41, v47, v51
	ds_store_b128 v127, v[32:35]
	global_load_b32 v40, v[36:37], off
	v_add_co_u32 v36, vcc_lo, v197, s8
	s_wait_alu 0xfffd
	v_add_co_ci_u32_e64 v37, null, 0, v138, vcc_lo
	ds_store_b128 v127, v[44:47] offset:16
	v_mov_b32_e32 v138, v250
	global_load_u16 v41, v[36:37], off
	v_add_co_u32 v36, vcc_lo, v2, s8
	s_wait_alu 0xfffd
	v_add_co_ci_u32_e64 v37, null, 0, v194, vcc_lo
	v_mov_b32_e32 v2, v220
	v_mov_b32_e32 v220, v139
	global_load_b32 v48, v[36:37], off
	v_add_co_u32 v36, vcc_lo, v201, s8
	s_wait_alu 0xfffd
	v_add_co_ci_u32_e64 v37, null, 0, v193, vcc_lo
	v_mov_b32_e32 v201, v23
	global_load_u16 v36, v[36:37], off
	s_wait_loadcnt 0x3
	v_ashrrev_i32_e32 v37, v175, v40
	s_delay_alu instid0(VALU_DEP_1) | instskip(SKIP_2) | instid1(VALU_DEP_2)
	v_and_b32_e32 v37, 0xf0f0f0f, v37
	s_wait_loadcnt 0x2
	v_mul_u32_u24_e32 v41, 0x10001, v41
	v_lshlrev_b16 v40, 8, v37
	v_and_b32_e32 v49, 0xf00, v37
	v_lshrrev_b32_e32 v37, 16, v37
	s_delay_alu instid0(VALU_DEP_3) | instskip(NEXT) | instid1(VALU_DEP_1)
	v_add_nc_u16 v40, 0xf800, v40
	v_lshrrev_b16 v40, 8, v40
	s_wait_loadcnt 0x0
	v_mul_u32_u24_e32 v36, 0x10001, v36
	s_delay_alu instid0(VALU_DEP_2) | instskip(SKIP_2) | instid1(VALU_DEP_3)
	v_or_b32_e32 v40, v49, v40
	v_lshlrev_b16 v49, 8, v37
	v_and_b32_e32 v37, 0xf00, v37
	v_add_nc_u16 v40, 0xf800, v40
	s_delay_alu instid0(VALU_DEP_3) | instskip(NEXT) | instid1(VALU_DEP_1)
	v_add_nc_u16 v49, 0xf800, v49
	v_lshrrev_b16 v49, 8, v49
	s_delay_alu instid0(VALU_DEP_1) | instskip(NEXT) | instid1(VALU_DEP_4)
	v_or_b32_e32 v37, v37, v49
	v_lshrrev_b32_e32 v49, 8, v40
	v_bfe_i32 v40, v40, 0, 8
	s_delay_alu instid0(VALU_DEP_3) | instskip(NEXT) | instid1(VALU_DEP_3)
	v_add_nc_u16 v37, 0xf800, v37
	v_bfe_i32 v49, v49, 0, 8
	s_delay_alu instid0(VALU_DEP_3) | instskip(NEXT) | instid1(VALU_DEP_2)
	v_cvt_f16_i16_e32 v40, v40
	v_cvt_f16_i16_e32 v49, v49
	s_delay_alu instid0(VALU_DEP_1) | instskip(SKIP_2) | instid1(VALU_DEP_3)
	v_pack_b32_f16 v40, v40, v49
	v_lshrrev_b32_e32 v49, 8, v37
	v_bfe_i32 v37, v37, 0, 8
	v_pk_mul_f16 v40, v40, v41
	s_delay_alu instid0(VALU_DEP_3) | instskip(NEXT) | instid1(VALU_DEP_3)
	v_bfe_i32 v49, v49, 0, 8
	v_cvt_f16_i16_e32 v37, v37
	s_delay_alu instid0(VALU_DEP_2) | instskip(NEXT) | instid1(VALU_DEP_1)
	v_cvt_f16_i16_e32 v49, v49
	v_pack_b32_f16 v37, v37, v49
	s_delay_alu instid0(VALU_DEP_1) | instskip(SKIP_1) | instid1(VALU_DEP_1)
	v_pk_mul_f16 v37, v37, v41
	v_ashrrev_i32_e32 v41, v175, v48
	v_and_b32_e32 v41, 0xf0f0f0f, v41
	s_delay_alu instid0(VALU_DEP_1) | instskip(SKIP_2) | instid1(VALU_DEP_3)
	v_lshlrev_b16 v48, 8, v41
	v_and_b32_e32 v49, 0xf00, v41
	v_lshrrev_b32_e32 v41, 16, v41
	v_add_nc_u16 v48, 0xf800, v48
	s_delay_alu instid0(VALU_DEP_1) | instskip(NEXT) | instid1(VALU_DEP_1)
	v_lshrrev_b16 v48, 8, v48
	v_or_b32_e32 v48, v49, v48
	s_delay_alu instid0(VALU_DEP_4) | instskip(SKIP_1) | instid1(VALU_DEP_3)
	v_lshlrev_b16 v49, 8, v41
	v_and_b32_e32 v41, 0xf00, v41
	v_add_nc_u16 v48, 0xf800, v48
	s_delay_alu instid0(VALU_DEP_3) | instskip(NEXT) | instid1(VALU_DEP_1)
	v_add_nc_u16 v49, 0xf800, v49
	v_lshrrev_b16 v49, 8, v49
	s_delay_alu instid0(VALU_DEP_1) | instskip(NEXT) | instid1(VALU_DEP_4)
	v_or_b32_e32 v41, v41, v49
	v_lshrrev_b32_e32 v49, 8, v48
	v_bfe_i32 v48, v48, 0, 8
	s_delay_alu instid0(VALU_DEP_3) | instskip(NEXT) | instid1(VALU_DEP_3)
	v_add_nc_u16 v41, 0xf800, v41
	v_bfe_i32 v49, v49, 0, 8
	s_delay_alu instid0(VALU_DEP_3) | instskip(NEXT) | instid1(VALU_DEP_2)
	v_cvt_f16_i16_e32 v48, v48
	v_cvt_f16_i16_e32 v49, v49
	s_delay_alu instid0(VALU_DEP_1) | instskip(SKIP_2) | instid1(VALU_DEP_3)
	v_pack_b32_f16 v48, v48, v49
	v_lshrrev_b32_e32 v49, 8, v41
	v_bfe_i32 v41, v41, 0, 8
	v_pk_mul_f16 v176, v48, v36
	s_delay_alu instid0(VALU_DEP_3) | instskip(NEXT) | instid1(VALU_DEP_3)
	v_bfe_i32 v49, v49, 0, 8
	v_cvt_f16_i16_e32 v41, v41
	s_delay_alu instid0(VALU_DEP_2) | instskip(NEXT) | instid1(VALU_DEP_1)
	v_cvt_f16_i16_e32 v49, v49
	v_pack_b32_f16 v41, v41, v49
	s_delay_alu instid0(VALU_DEP_1) | instskip(SKIP_1) | instid1(VALU_DEP_1)
	v_pk_mul_f16 v36, v41, v36
	v_lshrrev_b32_e32 v41, 16, v42
	v_mul_u32_u24_e32 v41, 0x10001, v41
	s_delay_alu instid0(VALU_DEP_1) | instskip(SKIP_4) | instid1(VALU_DEP_4)
	v_pk_fma_f16 v48, v40, v41, v32
	v_lshrrev_b32_e32 v32, 16, v38
	v_pk_fma_f16 v51, v36, v41, v35
	v_pk_fma_f16 v49, v37, v41, v33
	;; [unrolled: 1-line block ×3, first 2 shown]
	v_mul_u32_u24_e32 v35, 0x10001, v32
	s_delay_alu instid0(VALU_DEP_1)
	v_pk_fma_f16 v32, v40, v35, v44
	v_pk_fma_f16 v33, v37, v35, v45
	v_pk_fma_f16 v34, v176, v35, v46
	v_pk_fma_f16 v35, v36, v35, v47
	v_add_co_u32 v36, vcc_lo, v13, s8
	s_wait_alu 0xfffd
	v_add_co_ci_u32_e64 v37, null, 0, v2, vcc_lo
	ds_store_b128 v127, v[48:51]
	ds_store_b128 v127, v[32:35] offset:16
	global_load_b32 v38, v[36:37], off
	v_add_co_u32 v36, vcc_lo, v220, s8
	s_wait_alu 0xfffd
	v_add_co_ci_u32_e64 v37, null, 0, v6, vcc_lo
	global_load_u16 v40, v[36:37], off
	v_add_co_u32 v36, vcc_lo, v174, s8
	s_wait_alu 0xfffd
	v_add_co_ci_u32_e64 v37, null, 0, v136, vcc_lo
	global_load_b32 v41, v[36:37], off
	v_add_co_u32 v36, vcc_lo, v3, s8
	s_wait_alu 0xfffd
	v_add_co_ci_u32_e64 v37, null, 0, v22, vcc_lo
	global_load_u16 v36, v[36:37], off
	s_wait_loadcnt 0x3
	v_ashrrev_i32_e32 v37, v175, v38
	s_delay_alu instid0(VALU_DEP_1) | instskip(SKIP_2) | instid1(VALU_DEP_2)
	v_and_b32_e32 v37, 0xf0f0f0f, v37
	s_wait_loadcnt 0x2
	v_mul_u32_u24_e32 v40, 0x10001, v40
	v_lshlrev_b16 v38, 8, v37
	v_and_b32_e32 v42, 0xf00, v37
	v_lshrrev_b32_e32 v37, 16, v37
	s_delay_alu instid0(VALU_DEP_3) | instskip(NEXT) | instid1(VALU_DEP_1)
	v_add_nc_u16 v38, 0xf800, v38
	v_lshrrev_b16 v38, 8, v38
	s_wait_loadcnt 0x0
	v_mul_u32_u24_e32 v36, 0x10001, v36
	s_delay_alu instid0(VALU_DEP_2) | instskip(SKIP_2) | instid1(VALU_DEP_3)
	v_or_b32_e32 v38, v42, v38
	v_lshlrev_b16 v42, 8, v37
	v_and_b32_e32 v37, 0xf00, v37
	v_add_nc_u16 v38, 0xf800, v38
	s_delay_alu instid0(VALU_DEP_3) | instskip(NEXT) | instid1(VALU_DEP_1)
	v_add_nc_u16 v42, 0xf800, v42
	v_lshrrev_b16 v42, 8, v42
	s_delay_alu instid0(VALU_DEP_1) | instskip(NEXT) | instid1(VALU_DEP_4)
	v_or_b32_e32 v37, v37, v42
	v_lshrrev_b32_e32 v42, 8, v38
	v_bfe_i32 v38, v38, 0, 8
	s_delay_alu instid0(VALU_DEP_3) | instskip(NEXT) | instid1(VALU_DEP_3)
	v_add_nc_u16 v37, 0xf800, v37
	v_bfe_i32 v42, v42, 0, 8
	s_delay_alu instid0(VALU_DEP_3) | instskip(NEXT) | instid1(VALU_DEP_2)
	v_cvt_f16_i16_e32 v38, v38
	v_cvt_f16_i16_e32 v42, v42
	s_delay_alu instid0(VALU_DEP_1) | instskip(SKIP_2) | instid1(VALU_DEP_3)
	v_pack_b32_f16 v38, v38, v42
	v_lshrrev_b32_e32 v42, 8, v37
	v_bfe_i32 v37, v37, 0, 8
	v_pk_mul_f16 v38, v38, v40
	s_delay_alu instid0(VALU_DEP_3) | instskip(NEXT) | instid1(VALU_DEP_3)
	v_bfe_i32 v42, v42, 0, 8
	v_cvt_f16_i16_e32 v37, v37
	s_delay_alu instid0(VALU_DEP_2) | instskip(NEXT) | instid1(VALU_DEP_1)
	v_cvt_f16_i16_e32 v42, v42
	v_pack_b32_f16 v37, v37, v42
	s_delay_alu instid0(VALU_DEP_1) | instskip(SKIP_1) | instid1(VALU_DEP_1)
	v_pk_mul_f16 v37, v37, v40
	v_ashrrev_i32_e32 v40, v175, v41
	v_and_b32_e32 v40, 0xf0f0f0f, v40
	s_delay_alu instid0(VALU_DEP_1) | instskip(SKIP_2) | instid1(VALU_DEP_3)
	v_lshlrev_b16 v41, 8, v40
	v_and_b32_e32 v42, 0xf00, v40
	v_lshrrev_b32_e32 v40, 16, v40
	v_add_nc_u16 v41, 0xf800, v41
	s_delay_alu instid0(VALU_DEP_1) | instskip(NEXT) | instid1(VALU_DEP_1)
	v_lshrrev_b16 v41, 8, v41
	v_or_b32_e32 v41, v42, v41
	s_delay_alu instid0(VALU_DEP_4) | instskip(SKIP_1) | instid1(VALU_DEP_3)
	v_lshlrev_b16 v42, 8, v40
	v_and_b32_e32 v40, 0xf00, v40
	v_add_nc_u16 v41, 0xf800, v41
	s_delay_alu instid0(VALU_DEP_3) | instskip(NEXT) | instid1(VALU_DEP_1)
	v_add_nc_u16 v42, 0xf800, v42
	v_lshrrev_b16 v42, 8, v42
	s_delay_alu instid0(VALU_DEP_1) | instskip(NEXT) | instid1(VALU_DEP_4)
	v_or_b32_e32 v40, v40, v42
	v_lshrrev_b32_e32 v42, 8, v41
	v_bfe_i32 v41, v41, 0, 8
	s_delay_alu instid0(VALU_DEP_3) | instskip(NEXT) | instid1(VALU_DEP_3)
	v_add_nc_u16 v40, 0xf800, v40
	v_bfe_i32 v42, v42, 0, 8
	s_delay_alu instid0(VALU_DEP_3) | instskip(NEXT) | instid1(VALU_DEP_2)
	v_cvt_f16_i16_e32 v41, v41
	v_cvt_f16_i16_e32 v42, v42
	s_delay_alu instid0(VALU_DEP_1) | instskip(SKIP_2) | instid1(VALU_DEP_3)
	v_pack_b32_f16 v41, v41, v42
	v_lshrrev_b32_e32 v42, 8, v40
	v_bfe_i32 v40, v40, 0, 8
	v_pk_mul_f16 v41, v41, v36
	s_delay_alu instid0(VALU_DEP_3) | instskip(NEXT) | instid1(VALU_DEP_3)
	v_bfe_i32 v42, v42, 0, 8
	v_cvt_f16_i16_e32 v40, v40
	s_delay_alu instid0(VALU_DEP_2) | instskip(NEXT) | instid1(VALU_DEP_1)
	v_cvt_f16_i16_e32 v42, v42
	v_pack_b32_f16 v40, v40, v42
	s_delay_alu instid0(VALU_DEP_1) | instskip(SKIP_1) | instid1(VALU_DEP_1)
	v_pk_mul_f16 v36, v40, v36
	v_and_b32_e32 v40, 0xffff, v43
	v_mul_u32_u24_e32 v40, 0x10001, v40
	s_delay_alu instid0(VALU_DEP_1) | instskip(SKIP_4) | instid1(VALU_DEP_1)
	v_pk_fma_f16 v44, v38, v40, v48
	v_pk_fma_f16 v45, v37, v40, v49
	;; [unrolled: 1-line block ×4, first 2 shown]
	v_and_b32_e32 v40, 0xffff, v39
	v_mul_u32_u24_e32 v40, 0x10001, v40
	s_delay_alu instid0(VALU_DEP_1)
	v_pk_fma_f16 v176, v38, v40, v32
	v_add_co_u32 v32, vcc_lo, v170, s8
	v_pk_fma_f16 v177, v37, v40, v33
	s_wait_alu 0xfffd
	v_add_co_ci_u32_e64 v33, null, 0, v171, vcc_lo
	v_pk_fma_f16 v179, v36, v40, v35
	v_pk_fma_f16 v178, v41, v40, v34
	v_lshrrev_b32_e32 v34, 16, v43
	global_load_b32 v35, v[32:33], off
	v_add_co_u32 v32, vcc_lo, v172, s8
	s_wait_alu 0xfffd
	v_add_co_ci_u32_e64 v33, null, 0, v173, vcc_lo
	v_mul_u32_u24_e32 v34, 0x10001, v34
	ds_store_b128 v127, v[44:47]
	ds_store_b128 v127, v[176:179] offset:16
	global_load_u16 v36, v[32:33], off
	v_add_co_u32 v32, vcc_lo, v166, s8
	s_wait_alu 0xfffd
	v_add_co_ci_u32_e64 v33, null, 0, v167, vcc_lo
	global_load_b32 v37, v[32:33], off
	v_add_co_u32 v32, vcc_lo, v168, s8
	s_wait_alu 0xfffd
	v_add_co_ci_u32_e64 v33, null, 0, v169, vcc_lo
	global_load_u16 v32, v[32:33], off
	s_wait_loadcnt 0x3
	v_ashrrev_i32_e32 v33, v175, v35
	s_delay_alu instid0(VALU_DEP_1) | instskip(SKIP_2) | instid1(VALU_DEP_2)
	v_and_b32_e32 v33, 0xf0f0f0f, v33
	s_wait_loadcnt 0x2
	v_mul_u32_u24_e32 v36, 0x10001, v36
	v_lshlrev_b16 v35, 8, v33
	v_and_b32_e32 v38, 0xf00, v33
	v_lshrrev_b32_e32 v33, 16, v33
	s_delay_alu instid0(VALU_DEP_3) | instskip(NEXT) | instid1(VALU_DEP_1)
	v_add_nc_u16 v35, 0xf800, v35
	v_lshrrev_b16 v35, 8, v35
	s_wait_loadcnt 0x0
	v_mul_u32_u24_e32 v32, 0x10001, v32
	s_delay_alu instid0(VALU_DEP_2) | instskip(SKIP_2) | instid1(VALU_DEP_3)
	v_or_b32_e32 v35, v38, v35
	v_lshlrev_b16 v38, 8, v33
	v_and_b32_e32 v33, 0xf00, v33
	v_add_nc_u16 v35, 0xf800, v35
	s_delay_alu instid0(VALU_DEP_3) | instskip(NEXT) | instid1(VALU_DEP_1)
	v_add_nc_u16 v38, 0xf800, v38
	v_lshrrev_b16 v38, 8, v38
	s_delay_alu instid0(VALU_DEP_1) | instskip(NEXT) | instid1(VALU_DEP_4)
	v_or_b32_e32 v33, v33, v38
	v_lshrrev_b32_e32 v38, 8, v35
	v_bfe_i32 v35, v35, 0, 8
	s_delay_alu instid0(VALU_DEP_3) | instskip(NEXT) | instid1(VALU_DEP_3)
	v_add_nc_u16 v33, 0xf800, v33
	v_bfe_i32 v38, v38, 0, 8
	s_delay_alu instid0(VALU_DEP_3) | instskip(NEXT) | instid1(VALU_DEP_2)
	v_cvt_f16_i16_e32 v35, v35
	v_cvt_f16_i16_e32 v38, v38
	s_delay_alu instid0(VALU_DEP_1) | instskip(SKIP_2) | instid1(VALU_DEP_3)
	v_pack_b32_f16 v35, v35, v38
	v_lshrrev_b32_e32 v38, 8, v33
	v_bfe_i32 v33, v33, 0, 8
	v_pk_mul_f16 v35, v35, v36
	s_delay_alu instid0(VALU_DEP_3) | instskip(NEXT) | instid1(VALU_DEP_3)
	v_bfe_i32 v38, v38, 0, 8
	v_cvt_f16_i16_e32 v33, v33
	s_delay_alu instid0(VALU_DEP_3) | instskip(NEXT) | instid1(VALU_DEP_3)
	v_pk_fma_f16 v48, v35, v34, v44
	v_cvt_f16_i16_e32 v38, v38
	s_delay_alu instid0(VALU_DEP_1) | instskip(NEXT) | instid1(VALU_DEP_1)
	v_pack_b32_f16 v33, v33, v38
	v_pk_mul_f16 v33, v33, v36
	v_ashrrev_i32_e32 v36, v175, v37
	s_delay_alu instid0(VALU_DEP_2) | instskip(NEXT) | instid1(VALU_DEP_2)
	v_pk_fma_f16 v49, v33, v34, v45
	v_and_b32_e32 v36, 0xf0f0f0f, v36
	s_delay_alu instid0(VALU_DEP_1) | instskip(SKIP_2) | instid1(VALU_DEP_3)
	v_lshlrev_b16 v37, 8, v36
	v_and_b32_e32 v38, 0xf00, v36
	v_lshrrev_b32_e32 v36, 16, v36
	v_add_nc_u16 v37, 0xf800, v37
	s_delay_alu instid0(VALU_DEP_1) | instskip(NEXT) | instid1(VALU_DEP_1)
	v_lshrrev_b16 v37, 8, v37
	v_or_b32_e32 v37, v38, v37
	s_delay_alu instid0(VALU_DEP_4) | instskip(SKIP_1) | instid1(VALU_DEP_3)
	v_lshlrev_b16 v38, 8, v36
	v_and_b32_e32 v36, 0xf00, v36
	v_add_nc_u16 v37, 0xf800, v37
	s_delay_alu instid0(VALU_DEP_3) | instskip(NEXT) | instid1(VALU_DEP_1)
	v_add_nc_u16 v38, 0xf800, v38
	v_lshrrev_b16 v38, 8, v38
	s_delay_alu instid0(VALU_DEP_1) | instskip(NEXT) | instid1(VALU_DEP_4)
	v_or_b32_e32 v36, v36, v38
	v_lshrrev_b32_e32 v38, 8, v37
	v_bfe_i32 v37, v37, 0, 8
	s_delay_alu instid0(VALU_DEP_3) | instskip(NEXT) | instid1(VALU_DEP_3)
	v_add_nc_u16 v36, 0xf800, v36
	v_bfe_i32 v38, v38, 0, 8
	s_delay_alu instid0(VALU_DEP_3) | instskip(NEXT) | instid1(VALU_DEP_2)
	v_cvt_f16_i16_e32 v37, v37
	v_cvt_f16_i16_e32 v38, v38
	s_delay_alu instid0(VALU_DEP_1) | instskip(SKIP_2) | instid1(VALU_DEP_3)
	v_pack_b32_f16 v37, v37, v38
	v_lshrrev_b32_e32 v38, 8, v36
	v_bfe_i32 v36, v36, 0, 8
	v_pk_mul_f16 v37, v37, v32
	s_delay_alu instid0(VALU_DEP_3) | instskip(NEXT) | instid1(VALU_DEP_3)
	v_bfe_i32 v38, v38, 0, 8
	v_cvt_f16_i16_e32 v36, v36
	s_delay_alu instid0(VALU_DEP_3) | instskip(NEXT) | instid1(VALU_DEP_3)
	v_pk_fma_f16 v50, v37, v34, v46
	v_cvt_f16_i16_e32 v38, v38
	s_delay_alu instid0(VALU_DEP_1) | instskip(NEXT) | instid1(VALU_DEP_1)
	v_pack_b32_f16 v36, v36, v38
	v_pk_mul_f16 v32, v36, v32
	s_delay_alu instid0(VALU_DEP_1) | instskip(SKIP_1) | instid1(VALU_DEP_1)
	v_pk_fma_f16 v51, v32, v34, v47
	v_lshrrev_b32_e32 v34, 16, v39
	v_mul_u32_u24_e32 v34, 0x10001, v34
	s_delay_alu instid0(VALU_DEP_1)
	v_pk_fma_f16 v47, v32, v34, v179
	v_add_co_u32 v32, vcc_lo, v162, s8
	v_pk_fma_f16 v45, v33, v34, v177
	s_wait_alu 0xfffd
	v_add_co_ci_u32_e64 v33, null, 0, v163, vcc_lo
	v_pk_fma_f16 v44, v35, v34, v176
	v_pk_fma_f16 v46, v37, v34, v178
	v_mov_b32_e32 v163, v162
	global_load_b32 v34, v[32:33], off
	v_add_co_u32 v32, vcc_lo, v164, s8
	s_wait_alu 0xfffd
	v_add_co_ci_u32_e64 v33, null, 0, v165, vcc_lo
	v_mov_b32_e32 v162, v161
	global_load_u16 v35, v[32:33], off
	v_add_co_u32 v32, vcc_lo, v158, s8
	s_wait_alu 0xfffd
	v_add_co_ci_u32_e64 v33, null, 0, v159, vcc_lo
	global_load_b32 v36, v[32:33], off
	v_add_co_u32 v32, vcc_lo, v160, s8
	s_wait_alu 0xfffd
	v_add_co_ci_u32_e64 v33, null, 0, v161, vcc_lo
	v_dual_mov_b32 v161, v160 :: v_dual_mov_b32 v160, v159
	v_mov_b32_e32 v159, v158
	global_load_u16 v32, v[32:33], off
	v_mov_b32_e32 v158, v157
	s_wait_loadcnt 0x3
	v_ashrrev_i32_e32 v33, v175, v34
	s_delay_alu instid0(VALU_DEP_1) | instskip(SKIP_2) | instid1(VALU_DEP_2)
	v_and_b32_e32 v33, 0xf0f0f0f, v33
	s_wait_loadcnt 0x2
	v_mul_u32_u24_e32 v35, 0x10001, v35
	v_lshlrev_b16 v34, 8, v33
	v_and_b32_e32 v37, 0xf00, v33
	v_lshrrev_b32_e32 v33, 16, v33
	s_delay_alu instid0(VALU_DEP_3) | instskip(NEXT) | instid1(VALU_DEP_1)
	v_add_nc_u16 v34, 0xf800, v34
	v_lshrrev_b16 v34, 8, v34
	s_wait_loadcnt 0x0
	v_mul_u32_u24_e32 v32, 0x10001, v32
	s_delay_alu instid0(VALU_DEP_2) | instskip(SKIP_2) | instid1(VALU_DEP_3)
	v_or_b32_e32 v34, v37, v34
	v_lshlrev_b16 v37, 8, v33
	v_and_b32_e32 v33, 0xf00, v33
	v_add_nc_u16 v34, 0xf800, v34
	s_delay_alu instid0(VALU_DEP_3) | instskip(NEXT) | instid1(VALU_DEP_1)
	v_add_nc_u16 v37, 0xf800, v37
	v_lshrrev_b16 v37, 8, v37
	s_delay_alu instid0(VALU_DEP_1) | instskip(NEXT) | instid1(VALU_DEP_4)
	v_or_b32_e32 v33, v33, v37
	v_lshrrev_b32_e32 v37, 8, v34
	v_bfe_i32 v34, v34, 0, 8
	s_delay_alu instid0(VALU_DEP_3) | instskip(NEXT) | instid1(VALU_DEP_3)
	v_add_nc_u16 v33, 0xf800, v33
	v_bfe_i32 v37, v37, 0, 8
	s_delay_alu instid0(VALU_DEP_3) | instskip(NEXT) | instid1(VALU_DEP_2)
	v_cvt_f16_i16_e32 v34, v34
	v_cvt_f16_i16_e32 v37, v37
	s_delay_alu instid0(VALU_DEP_1) | instskip(SKIP_2) | instid1(VALU_DEP_3)
	v_pack_b32_f16 v34, v34, v37
	v_lshrrev_b32_e32 v37, 8, v33
	v_bfe_i32 v33, v33, 0, 8
	v_pk_mul_f16 v176, v34, v35
	s_delay_alu instid0(VALU_DEP_3) | instskip(NEXT) | instid1(VALU_DEP_3)
	v_bfe_i32 v37, v37, 0, 8
	v_cvt_f16_i16_e32 v33, v33
	s_delay_alu instid0(VALU_DEP_2) | instskip(NEXT) | instid1(VALU_DEP_1)
	v_cvt_f16_i16_e32 v37, v37
	v_pack_b32_f16 v33, v33, v37
	s_delay_alu instid0(VALU_DEP_1) | instskip(SKIP_1) | instid1(VALU_DEP_1)
	v_pk_mul_f16 v177, v33, v35
	v_ashrrev_i32_e32 v33, v175, v36
	v_and_b32_e32 v33, 0xf0f0f0f, v33
	s_delay_alu instid0(VALU_DEP_1) | instskip(SKIP_2) | instid1(VALU_DEP_3)
	v_lshlrev_b16 v34, 8, v33
	v_and_b32_e32 v35, 0xf00, v33
	v_lshrrev_b32_e32 v33, 16, v33
	v_add_nc_u16 v34, 0xf800, v34
	s_delay_alu instid0(VALU_DEP_1) | instskip(NEXT) | instid1(VALU_DEP_1)
	v_lshrrev_b16 v34, 8, v34
	v_or_b32_e32 v34, v35, v34
	s_delay_alu instid0(VALU_DEP_4) | instskip(SKIP_1) | instid1(VALU_DEP_3)
	v_lshlrev_b16 v35, 8, v33
	v_and_b32_e32 v33, 0xf00, v33
	v_add_nc_u16 v34, 0xf800, v34
	s_delay_alu instid0(VALU_DEP_3) | instskip(NEXT) | instid1(VALU_DEP_1)
	v_add_nc_u16 v35, 0xf800, v35
	v_lshrrev_b16 v35, 8, v35
	s_delay_alu instid0(VALU_DEP_1) | instskip(NEXT) | instid1(VALU_DEP_4)
	v_or_b32_e32 v33, v33, v35
	v_lshrrev_b32_e32 v35, 8, v34
	v_bfe_i32 v34, v34, 0, 8
	s_delay_alu instid0(VALU_DEP_3) | instskip(NEXT) | instid1(VALU_DEP_3)
	v_add_nc_u16 v33, 0xf800, v33
	v_bfe_i32 v35, v35, 0, 8
	s_delay_alu instid0(VALU_DEP_3) | instskip(NEXT) | instid1(VALU_DEP_2)
	v_cvt_f16_i16_e32 v34, v34
	v_cvt_f16_i16_e32 v35, v35
	s_delay_alu instid0(VALU_DEP_1) | instskip(SKIP_2) | instid1(VALU_DEP_3)
	v_pack_b32_f16 v34, v34, v35
	v_lshrrev_b32_e32 v35, 8, v33
	v_bfe_i32 v33, v33, 0, 8
	v_pk_mul_f16 v178, v34, v32
	s_delay_alu instid0(VALU_DEP_3) | instskip(NEXT) | instid1(VALU_DEP_3)
	v_bfe_i32 v35, v35, 0, 8
	v_cvt_f16_i16_e32 v33, v33
	s_delay_alu instid0(VALU_DEP_2) | instskip(NEXT) | instid1(VALU_DEP_1)
	v_cvt_f16_i16_e32 v35, v35
	v_pack_b32_f16 v33, v33, v35
	s_delay_alu instid0(VALU_DEP_1)
	v_pk_mul_f16 v179, v33, v32
	ds_load_b128 v[32:35], v18 offset:32
	ds_load_b128 v[40:43], v18 offset:48
	ds_store_b128 v127, v[48:51]
	s_wait_dscnt 0x2
	v_and_b32_e32 v36, 0xffff, v32
	v_lshrrev_b32_e32 v32, 16, v32
	s_delay_alu instid0(VALU_DEP_2) | instskip(NEXT) | instid1(VALU_DEP_2)
	v_mul_u32_u24_e32 v36, 0x10001, v36
	v_mul_u32_u24_e32 v32, 0x10001, v32
	s_delay_alu instid0(VALU_DEP_2)
	v_pk_fma_f16 v180, v176, v36, v48
	v_pk_fma_f16 v181, v177, v36, v49
	;; [unrolled: 1-line block ×4, first 2 shown]
	ds_load_b128 v[48:51], v18 offset:288
	ds_load_b128 v[36:39], v18 offset:304
	ds_store_b128 v127, v[44:47] offset:16
	s_clause 0x1
	scratch_load_b32 v139, off, off offset:980 th:TH_LOAD_LU
	scratch_load_b32 v196, off, off offset:984 th:TH_LOAD_LU
	ds_store_b128 v127, v[180:183]
	v_dual_mov_b32 v18, v253 :: v_dual_mov_b32 v253, v131
	s_wait_dscnt 0x3
	v_and_b32_e32 v184, 0xffff, v48
	s_delay_alu instid0(VALU_DEP_1) | instskip(NEXT) | instid1(VALU_DEP_1)
	v_mul_u32_u24_e32 v184, 0x10001, v184
	v_pk_fma_f16 v176, v176, v184, v44
	v_add_co_u32 v44, vcc_lo, v154, s8
	v_pk_fma_f16 v177, v177, v184, v45
	s_wait_alu 0xfffd
	v_add_co_ci_u32_e64 v45, null, 0, v155, vcc_lo
	v_pk_fma_f16 v178, v178, v184, v46
	v_pk_fma_f16 v179, v179, v184, v47
	global_load_b32 v46, v[44:45], off
	v_add_co_u32 v44, vcc_lo, v156, s8
	s_wait_alu 0xfffd
	v_add_co_ci_u32_e64 v45, null, 0, v157, vcc_lo
	v_dual_mov_b32 v157, v156 :: v_dual_mov_b32 v156, v155
	v_mov_b32_e32 v155, v154
	global_load_u16 v47, v[44:45], off
	v_add_co_u32 v44, vcc_lo, v150, s8
	s_wait_alu 0xfffd
	v_add_co_ci_u32_e64 v45, null, 0, v151, vcc_lo
	v_mov_b32_e32 v154, v153
	global_load_b32 v184, v[44:45], off
	v_add_co_u32 v44, vcc_lo, v152, s8
	s_wait_alu 0xfffd
	v_add_co_ci_u32_e64 v45, null, 0, v153, vcc_lo
	v_dual_mov_b32 v153, v152 :: v_dual_mov_b32 v152, v151
	v_mov_b32_e32 v151, v150
	global_load_u16 v44, v[44:45], off
	v_mov_b32_e32 v150, v149
	s_wait_loadcnt 0x3
	v_ashrrev_i32_e32 v45, v175, v46
	s_delay_alu instid0(VALU_DEP_1) | instskip(SKIP_2) | instid1(VALU_DEP_2)
	v_and_b32_e32 v45, 0xf0f0f0f, v45
	s_wait_loadcnt 0x2
	v_mul_u32_u24_e32 v47, 0x10001, v47
	v_lshlrev_b16 v46, 8, v45
	v_and_b32_e32 v185, 0xf00, v45
	v_lshrrev_b32_e32 v45, 16, v45
	s_delay_alu instid0(VALU_DEP_3) | instskip(NEXT) | instid1(VALU_DEP_1)
	v_add_nc_u16 v46, 0xf800, v46
	v_lshrrev_b16 v46, 8, v46
	s_wait_loadcnt 0x0
	v_mul_u32_u24_e32 v44, 0x10001, v44
	s_delay_alu instid0(VALU_DEP_2) | instskip(SKIP_2) | instid1(VALU_DEP_3)
	v_or_b32_e32 v46, v185, v46
	v_lshlrev_b16 v185, 8, v45
	v_and_b32_e32 v45, 0xf00, v45
	v_add_nc_u16 v46, 0xf800, v46
	s_delay_alu instid0(VALU_DEP_3) | instskip(NEXT) | instid1(VALU_DEP_1)
	v_add_nc_u16 v185, 0xf800, v185
	v_lshrrev_b16 v185, 8, v185
	s_delay_alu instid0(VALU_DEP_1) | instskip(NEXT) | instid1(VALU_DEP_4)
	v_or_b32_e32 v45, v45, v185
	v_lshrrev_b32_e32 v185, 8, v46
	v_bfe_i32 v46, v46, 0, 8
	s_delay_alu instid0(VALU_DEP_3) | instskip(NEXT) | instid1(VALU_DEP_3)
	v_add_nc_u16 v45, 0xf800, v45
	v_bfe_i32 v185, v185, 0, 8
	s_delay_alu instid0(VALU_DEP_3) | instskip(NEXT) | instid1(VALU_DEP_2)
	v_cvt_f16_i16_e32 v46, v46
	v_cvt_f16_i16_e64 v185, v185
	s_delay_alu instid0(VALU_DEP_1) | instskip(SKIP_2) | instid1(VALU_DEP_2)
	v_pack_b32_f16 v46, v46, v185
	v_lshrrev_b32_e32 v185, 8, v45
	v_bfe_i32 v45, v45, 0, 8
	v_bfe_i32 v185, v185, 0, 8
	s_delay_alu instid0(VALU_DEP_2) | instskip(NEXT) | instid1(VALU_DEP_2)
	v_cvt_f16_i16_e32 v45, v45
	v_cvt_f16_i16_e64 v185, v185
	s_delay_alu instid0(VALU_DEP_1) | instskip(SKIP_1) | instid1(VALU_DEP_2)
	v_pack_b32_f16 v45, v45, v185
	v_pk_mul_f16 v185, v46, v47
	v_pk_mul_f16 v186, v45, v47
	v_ashrrev_i32_e32 v45, v175, v184
	s_delay_alu instid0(VALU_DEP_1) | instskip(NEXT) | instid1(VALU_DEP_1)
	v_and_b32_e32 v45, 0xf0f0f0f, v45
	v_lshlrev_b16 v46, 8, v45
	v_and_b32_e32 v47, 0xf00, v45
	v_lshrrev_b32_e32 v45, 16, v45
	s_delay_alu instid0(VALU_DEP_3) | instskip(NEXT) | instid1(VALU_DEP_1)
	v_add_nc_u16 v46, 0xf800, v46
	v_lshrrev_b16 v46, 8, v46
	s_delay_alu instid0(VALU_DEP_1) | instskip(NEXT) | instid1(VALU_DEP_4)
	v_or_b32_e32 v46, v47, v46
	v_lshlrev_b16 v47, 8, v45
	v_and_b32_e32 v45, 0xf00, v45
	s_delay_alu instid0(VALU_DEP_3) | instskip(NEXT) | instid1(VALU_DEP_3)
	v_add_nc_u16 v46, 0xf800, v46
	v_add_nc_u16 v47, 0xf800, v47
	s_delay_alu instid0(VALU_DEP_1) | instskip(NEXT) | instid1(VALU_DEP_1)
	v_lshrrev_b16 v47, 8, v47
	v_or_b32_e32 v45, v45, v47
	s_delay_alu instid0(VALU_DEP_4) | instskip(SKIP_1) | instid1(VALU_DEP_3)
	v_lshrrev_b32_e32 v47, 8, v46
	v_bfe_i32 v46, v46, 0, 8
	v_add_nc_u16 v45, 0xf800, v45
	s_delay_alu instid0(VALU_DEP_3) | instskip(NEXT) | instid1(VALU_DEP_3)
	v_bfe_i32 v47, v47, 0, 8
	v_cvt_f16_i16_e32 v46, v46
	s_delay_alu instid0(VALU_DEP_2) | instskip(NEXT) | instid1(VALU_DEP_1)
	v_cvt_f16_i16_e32 v47, v47
	v_pack_b32_f16 v46, v46, v47
	v_lshrrev_b32_e32 v47, 8, v45
	v_bfe_i32 v45, v45, 0, 8
	s_delay_alu instid0(VALU_DEP_3) | instskip(NEXT) | instid1(VALU_DEP_3)
	v_pk_mul_f16 v184, v46, v44
	v_bfe_i32 v47, v47, 0, 8
	s_delay_alu instid0(VALU_DEP_3) | instskip(NEXT) | instid1(VALU_DEP_3)
	v_cvt_f16_i16_e32 v45, v45
	v_pk_fma_f16 v46, v184, v32, v182
	s_delay_alu instid0(VALU_DEP_3) | instskip(NEXT) | instid1(VALU_DEP_1)
	v_cvt_f16_i16_e32 v47, v47
	v_pack_b32_f16 v45, v45, v47
	s_delay_alu instid0(VALU_DEP_1) | instskip(SKIP_2) | instid1(VALU_DEP_3)
	v_pk_mul_f16 v187, v45, v44
	v_pk_fma_f16 v44, v185, v32, v180
	v_pk_fma_f16 v45, v186, v32, v181
	;; [unrolled: 1-line block ×3, first 2 shown]
	v_lshrrev_b32_e32 v32, 16, v48
	ds_store_b128 v127, v[176:179] offset:16
	ds_store_b128 v127, v[44:47]
	v_mul_u32_u24_e32 v32, 0x10001, v32
	s_delay_alu instid0(VALU_DEP_1)
	v_pk_fma_f16 v180, v185, v32, v176
	v_add_co_u32 v176, vcc_lo, v146, s8
	v_pk_fma_f16 v181, v186, v32, v177
	s_wait_alu 0xfffd
	v_add_co_ci_u32_e64 v177, null, 0, v147, vcc_lo
	v_pk_fma_f16 v182, v184, v32, v178
	v_pk_fma_f16 v183, v187, v32, v179
	global_load_b32 v32, v[176:177], off
	v_add_co_u32 v176, vcc_lo, v148, s8
	s_wait_alu 0xfffd
	v_add_co_ci_u32_e64 v177, null, 0, v149, vcc_lo
	v_dual_mov_b32 v149, v148 :: v_dual_mov_b32 v148, v147
	v_mov_b32_e32 v147, v146
	global_load_u16 v48, v[176:177], off
	v_add_co_u32 v176, vcc_lo, v140, s8
	s_wait_alu 0xfffd
	v_add_co_ci_u32_e64 v177, null, 0, v143, vcc_lo
	v_mov_b32_e32 v146, v145
	ds_store_b128 v127, v[180:183] offset:16
	global_load_b32 v178, v[176:177], off
	v_add_co_u32 v176, vcc_lo, v144, s8
	s_wait_alu 0xfffd
	v_add_co_ci_u32_e64 v177, null, 0, v145, vcc_lo
	v_dual_mov_b32 v145, v144 :: v_dual_mov_b32 v144, v143
	v_mov_b32_e32 v143, v140
	global_load_u16 v176, v[176:177], off
	s_wait_loadcnt 0x3
	v_ashrrev_i32_e32 v32, v175, v32
	s_delay_alu instid0(VALU_DEP_1) | instskip(SKIP_2) | instid1(VALU_DEP_2)
	v_and_b32_e32 v32, 0xf0f0f0f, v32
	s_wait_loadcnt 0x2
	v_mul_u32_u24_e32 v48, 0x10001, v48
	v_lshlrev_b16 v177, 8, v32
	v_and_b32_e32 v179, 0xf00, v32
	v_lshrrev_b32_e32 v32, 16, v32
	s_delay_alu instid0(VALU_DEP_3) | instskip(NEXT) | instid1(VALU_DEP_1)
	v_add_nc_u16 v177, 0xf800, v177
	v_lshrrev_b16 v177, 8, v177
	s_wait_loadcnt 0x0
	v_mul_u32_u24_e32 v176, 0x10001, v176
	s_delay_alu instid0(VALU_DEP_2) | instskip(SKIP_2) | instid1(VALU_DEP_3)
	v_or_b32_e32 v177, v179, v177
	v_lshlrev_b16 v179, 8, v32
	v_and_b32_e32 v32, 0xf00, v32
	v_add_nc_u16 v177, 0xf800, v177
	s_delay_alu instid0(VALU_DEP_3) | instskip(NEXT) | instid1(VALU_DEP_1)
	v_add_nc_u16 v179, 0xf800, v179
	v_lshrrev_b16 v179, 8, v179
	s_delay_alu instid0(VALU_DEP_1) | instskip(NEXT) | instid1(VALU_DEP_4)
	v_or_b32_e32 v32, v32, v179
	v_lshrrev_b32_e32 v179, 8, v177
	v_bfe_i32 v177, v177, 0, 8
	s_delay_alu instid0(VALU_DEP_3) | instskip(NEXT) | instid1(VALU_DEP_3)
	v_add_nc_u16 v32, 0xf800, v32
	v_bfe_i32 v179, v179, 0, 8
	s_delay_alu instid0(VALU_DEP_3) | instskip(NEXT) | instid1(VALU_DEP_2)
	v_cvt_f16_i16_e64 v177, v177
	v_cvt_f16_i16_e64 v179, v179
	s_delay_alu instid0(VALU_DEP_1) | instskip(SKIP_2) | instid1(VALU_DEP_3)
	v_pack_b32_f16 v177, v177, v179
	v_lshrrev_b32_e32 v179, 8, v32
	v_bfe_i32 v32, v32, 0, 8
	v_pk_mul_f16 v184, v177, v48
	s_delay_alu instid0(VALU_DEP_3) | instskip(NEXT) | instid1(VALU_DEP_3)
	v_bfe_i32 v179, v179, 0, 8
	v_cvt_f16_i16_e32 v32, v32
	s_delay_alu instid0(VALU_DEP_2) | instskip(NEXT) | instid1(VALU_DEP_1)
	v_cvt_f16_i16_e64 v179, v179
	v_pack_b32_f16 v32, v32, v179
	s_delay_alu instid0(VALU_DEP_1) | instskip(SKIP_1) | instid1(VALU_DEP_1)
	v_pk_mul_f16 v32, v32, v48
	v_ashrrev_i32_e32 v48, v175, v178
	v_and_b32_e32 v48, 0xf0f0f0f, v48
	s_delay_alu instid0(VALU_DEP_1) | instskip(SKIP_2) | instid1(VALU_DEP_3)
	v_lshlrev_b16 v177, 8, v48
	v_and_b32_e32 v178, 0xf00, v48
	v_lshrrev_b32_e32 v48, 16, v48
	v_add_nc_u16 v177, 0xf800, v177
	s_delay_alu instid0(VALU_DEP_1) | instskip(NEXT) | instid1(VALU_DEP_1)
	v_lshrrev_b16 v177, 8, v177
	v_or_b32_e32 v177, v178, v177
	s_delay_alu instid0(VALU_DEP_4) | instskip(SKIP_1) | instid1(VALU_DEP_3)
	v_lshlrev_b16 v178, 8, v48
	v_and_b32_e32 v48, 0xf00, v48
	v_add_nc_u16 v177, 0xf800, v177
	s_delay_alu instid0(VALU_DEP_3) | instskip(NEXT) | instid1(VALU_DEP_1)
	v_add_nc_u16 v178, 0xf800, v178
	v_lshrrev_b16 v178, 8, v178
	s_delay_alu instid0(VALU_DEP_1) | instskip(NEXT) | instid1(VALU_DEP_4)
	v_or_b32_e32 v48, v48, v178
	v_lshrrev_b32_e32 v178, 8, v177
	v_bfe_i32 v177, v177, 0, 8
	s_delay_alu instid0(VALU_DEP_3) | instskip(NEXT) | instid1(VALU_DEP_3)
	v_add_nc_u16 v48, 0xf800, v48
	v_bfe_i32 v178, v178, 0, 8
	s_delay_alu instid0(VALU_DEP_3) | instskip(NEXT) | instid1(VALU_DEP_2)
	v_cvt_f16_i16_e64 v177, v177
	v_cvt_f16_i16_e64 v178, v178
	s_delay_alu instid0(VALU_DEP_1) | instskip(SKIP_2) | instid1(VALU_DEP_3)
	v_pack_b32_f16 v177, v177, v178
	v_lshrrev_b32_e32 v178, 8, v48
	v_bfe_i32 v48, v48, 0, 8
	v_pk_mul_f16 v185, v177, v176
	s_delay_alu instid0(VALU_DEP_3) | instskip(NEXT) | instid1(VALU_DEP_3)
	v_bfe_i32 v178, v178, 0, 8
	v_cvt_f16_i16_e32 v48, v48
	s_delay_alu instid0(VALU_DEP_2) | instskip(NEXT) | instid1(VALU_DEP_1)
	v_cvt_f16_i16_e64 v178, v178
	v_pack_b32_f16 v48, v48, v178
	s_delay_alu instid0(VALU_DEP_1) | instskip(SKIP_2) | instid1(VALU_DEP_2)
	v_pk_mul_f16 v48, v48, v176
	v_and_b32_e32 v176, 0xffff, v33
	v_lshrrev_b32_e32 v33, 16, v33
	v_mul_u32_u24_e32 v179, 0x10001, v176
	s_delay_alu instid0(VALU_DEP_2) | instskip(NEXT) | instid1(VALU_DEP_2)
	v_mul_u32_u24_e32 v33, 0x10001, v33
	v_pk_fma_f16 v176, v184, v179, v44
	v_and_b32_e32 v44, 0xffff, v49
	v_pk_fma_f16 v177, v32, v179, v45
	v_pk_fma_f16 v178, v185, v179, v46
	;; [unrolled: 1-line block ×3, first 2 shown]
	s_delay_alu instid0(VALU_DEP_4) | instskip(NEXT) | instid1(VALU_DEP_1)
	v_mul_u32_u24_e32 v47, 0x10001, v44
	v_pk_fma_f16 v44, v184, v47, v180
	v_add_co_u32 v180, vcc_lo, v139, s8
	v_pk_fma_f16 v45, v32, v47, v181
	s_wait_alu 0xfffd
	v_add_co_ci_u32_e64 v181, null, 0, v196, vcc_lo
	global_load_b32 v32, v[180:181], off
	s_clause 0x2
	scratch_load_b32 v195, off, off offset:996 th:TH_LOAD_LU
	scratch_load_b32 v31, off, off offset:976 th:TH_LOAD_LU
	;; [unrolled: 1-line block ×3, first 2 shown]
	v_pk_fma_f16 v46, v185, v47, v182
	v_pk_fma_f16 v47, v48, v47, v183
	ds_store_b128 v127, v[176:179]
	ds_store_b128 v127, v[44:47] offset:16
	s_wait_loadcnt 0x3
	v_ashrrev_i32_e32 v32, v175, v32
	s_wait_loadcnt 0x2
	v_add_co_u32 v180, vcc_lo, v195, s8
	s_wait_alu 0xfffd
	v_add_co_ci_u32_e64 v181, null, 0, v250, vcc_lo
	v_and_b32_e32 v32, 0xf0f0f0f, v32
	v_mov_b32_e32 v250, v114
	global_load_u16 v48, v[180:181], off
	v_add_co_u32 v180, vcc_lo, v114, s8
	s_wait_loadcnt 0x2
	s_wait_alu 0xfffd
	v_add_co_ci_u32_e64 v181, null, 0, v31, vcc_lo
	v_dual_mov_b32 v114, v108 :: v_dual_and_b32 v183, 0xf00, v32
	global_load_b32 v182, v[180:181], off
	v_add_co_u32 v180, vcc_lo, v115, s8
	s_wait_alu 0xfffd
	v_add_co_ci_u32_e64 v181, null, 0, v131, vcc_lo
	v_mov_b32_e32 v131, v110
	global_load_u16 v180, v[180:181], off
	v_lshlrev_b16 v181, 8, v32
	v_lshrrev_b32_e32 v32, 16, v32
	s_delay_alu instid0(VALU_DEP_2) | instskip(NEXT) | instid1(VALU_DEP_1)
	v_add_nc_u16 v181, 0xf800, v181
	v_lshrrev_b16 v181, 8, v181
	s_delay_alu instid0(VALU_DEP_1) | instskip(NEXT) | instid1(VALU_DEP_4)
	v_or_b32_e32 v181, v183, v181
	v_lshlrev_b16 v183, 8, v32
	v_and_b32_e32 v32, 0xf00, v32
	s_delay_alu instid0(VALU_DEP_3) | instskip(NEXT) | instid1(VALU_DEP_3)
	v_add_nc_u16 v181, 0xf800, v181
	v_add_nc_u16 v183, 0xf800, v183
	s_delay_alu instid0(VALU_DEP_1) | instskip(NEXT) | instid1(VALU_DEP_1)
	v_lshrrev_b16 v183, 8, v183
	v_or_b32_e32 v32, v32, v183
	s_delay_alu instid0(VALU_DEP_4) | instskip(SKIP_1) | instid1(VALU_DEP_3)
	v_lshrrev_b32_e32 v183, 8, v181
	v_bfe_i32 v181, v181, 0, 8
	v_add_nc_u16 v32, 0xf800, v32
	s_delay_alu instid0(VALU_DEP_3) | instskip(NEXT) | instid1(VALU_DEP_3)
	v_bfe_i32 v183, v183, 0, 8
	v_cvt_f16_i16_e64 v181, v181
	s_delay_alu instid0(VALU_DEP_2) | instskip(NEXT) | instid1(VALU_DEP_1)
	v_cvt_f16_i16_e64 v183, v183
	v_pack_b32_f16 v181, v181, v183
	v_lshrrev_b32_e32 v183, 8, v32
	v_bfe_i32 v32, v32, 0, 8
	s_delay_alu instid0(VALU_DEP_2) | instskip(NEXT) | instid1(VALU_DEP_2)
	v_bfe_i32 v183, v183, 0, 8
	v_cvt_f16_i16_e32 v32, v32
	s_delay_alu instid0(VALU_DEP_2) | instskip(NEXT) | instid1(VALU_DEP_1)
	v_cvt_f16_i16_e64 v183, v183
	v_pack_b32_f16 v32, v32, v183
	s_wait_loadcnt 0x2
	v_mul_u32_u24_e32 v48, 0x10001, v48
	s_delay_alu instid0(VALU_DEP_1) | instskip(NEXT) | instid1(VALU_DEP_3)
	v_pk_mul_f16 v184, v181, v48
	v_pk_mul_f16 v32, v32, v48
	s_wait_loadcnt 0x1
	v_ashrrev_i32_e32 v48, v175, v182
	s_delay_alu instid0(VALU_DEP_1) | instskip(SKIP_2) | instid1(VALU_DEP_2)
	v_and_b32_e32 v48, 0xf0f0f0f, v48
	s_wait_loadcnt 0x0
	v_mul_u32_u24_e32 v180, 0x10001, v180
	v_lshlrev_b16 v181, 8, v48
	v_and_b32_e32 v182, 0xf00, v48
	v_lshrrev_b32_e32 v48, 16, v48
	s_delay_alu instid0(VALU_DEP_3) | instskip(NEXT) | instid1(VALU_DEP_1)
	v_add_nc_u16 v181, 0xf800, v181
	v_lshrrev_b16 v181, 8, v181
	s_delay_alu instid0(VALU_DEP_1) | instskip(NEXT) | instid1(VALU_DEP_4)
	v_or_b32_e32 v181, v182, v181
	v_lshlrev_b16 v182, 8, v48
	v_and_b32_e32 v48, 0xf00, v48
	s_delay_alu instid0(VALU_DEP_3) | instskip(NEXT) | instid1(VALU_DEP_3)
	v_add_nc_u16 v181, 0xf800, v181
	v_add_nc_u16 v182, 0xf800, v182
	s_delay_alu instid0(VALU_DEP_1) | instskip(NEXT) | instid1(VALU_DEP_1)
	v_lshrrev_b16 v182, 8, v182
	v_or_b32_e32 v48, v48, v182
	s_delay_alu instid0(VALU_DEP_4) | instskip(SKIP_1) | instid1(VALU_DEP_3)
	v_lshrrev_b32_e32 v182, 8, v181
	v_bfe_i32 v181, v181, 0, 8
	v_add_nc_u16 v48, 0xf800, v48
	s_delay_alu instid0(VALU_DEP_3) | instskip(NEXT) | instid1(VALU_DEP_3)
	v_bfe_i32 v182, v182, 0, 8
	v_cvt_f16_i16_e64 v181, v181
	s_delay_alu instid0(VALU_DEP_2) | instskip(NEXT) | instid1(VALU_DEP_1)
	v_cvt_f16_i16_e64 v182, v182
	v_pack_b32_f16 v181, v181, v182
	v_lshrrev_b32_e32 v182, 8, v48
	v_bfe_i32 v48, v48, 0, 8
	s_delay_alu instid0(VALU_DEP_3) | instskip(NEXT) | instid1(VALU_DEP_3)
	v_pk_mul_f16 v185, v181, v180
	v_bfe_i32 v182, v182, 0, 8
	s_delay_alu instid0(VALU_DEP_3) | instskip(SKIP_1) | instid1(VALU_DEP_3)
	v_cvt_f16_i16_e32 v48, v48
	v_pk_fma_f16 v181, v32, v33, v177
	v_cvt_f16_i16_e64 v182, v182
	s_delay_alu instid0(VALU_DEP_1) | instskip(SKIP_1) | instid1(VALU_DEP_2)
	v_pack_b32_f16 v48, v48, v182
	v_pk_fma_f16 v182, v185, v33, v178
	v_pk_mul_f16 v48, v48, v180
	v_pk_fma_f16 v180, v184, v33, v176
	s_delay_alu instid0(VALU_DEP_2) | instskip(SKIP_1) | instid1(VALU_DEP_1)
	v_pk_fma_f16 v183, v48, v33, v179
	v_lshrrev_b32_e32 v33, 16, v49
	v_mul_u32_u24_e32 v33, 0x10001, v33
	s_delay_alu instid0(VALU_DEP_1)
	v_pk_fma_f16 v177, v32, v33, v45
	v_add_co_u32 v32, vcc_lo, v116, s8
	v_pk_fma_f16 v176, v184, v33, v44
	v_pk_fma_f16 v178, v185, v33, v46
	v_pk_fma_f16 v179, v48, v33, v47
	s_wait_alu 0xfffd
	v_add_co_ci_u32_e64 v33, null, 0, v0, vcc_lo
	global_load_b32 v44, v[32:33], off
	s_clause 0x2
	scratch_load_b32 v1, off, off offset:968 th:TH_LOAD_LU
	scratch_load_b32 v30, off, off offset:972 th:TH_LOAD_LU
	;; [unrolled: 1-line block ×3, first 2 shown]
	s_wait_loadcnt 0x2
	v_add_co_u32 v32, vcc_lo, v1, s8
	s_wait_loadcnt 0x1
	s_wait_alu 0xfffd
	v_add_co_ci_u32_e64 v33, null, 0, v30, vcc_lo
	s_wait_loadcnt 0x0
	v_mov_b32_e32 v140, v17
	global_load_u16 v45, v[32:33], off
	v_add_co_u32 v32, vcc_lo, v19, s8
	s_wait_alu 0xfffd
	v_add_co_ci_u32_e64 v33, null, 0, v17, vcc_lo
	global_load_b32 v46, v[32:33], off
	s_clause 0x3
	scratch_load_b32 v137, off, off offset:1096 th:TH_LOAD_LU
	scratch_load_b32 v185, off, off offset:944 th:TH_LOAD_LU
	;; [unrolled: 1-line block ×4, first 2 shown]
	ds_store_b128 v127, v[180:183]
	ds_store_b128 v127, v[176:179] offset:16
	s_wait_loadcnt 0x5
	v_mul_u32_u24_e32 v45, 0x10001, v45
	s_wait_loadcnt 0x3
	v_add_co_u32 v32, vcc_lo, v137, s8
	s_wait_loadcnt 0x2
	s_wait_alu 0xfffd
	v_add_co_ci_u32_e64 v33, null, 0, v185, vcc_lo
	global_load_u16 v32, v[32:33], off
	v_ashrrev_i32_e32 v33, v175, v44
	s_delay_alu instid0(VALU_DEP_1) | instskip(NEXT) | instid1(VALU_DEP_1)
	v_and_b32_e32 v33, 0xf0f0f0f, v33
	v_lshlrev_b16 v44, 8, v33
	v_and_b32_e32 v47, 0xf00, v33
	v_lshrrev_b32_e32 v33, 16, v33
	s_delay_alu instid0(VALU_DEP_3) | instskip(NEXT) | instid1(VALU_DEP_1)
	v_add_nc_u16 v44, 0xf800, v44
	v_lshrrev_b16 v44, 8, v44
	s_delay_alu instid0(VALU_DEP_1) | instskip(NEXT) | instid1(VALU_DEP_4)
	v_or_b32_e32 v44, v47, v44
	v_lshlrev_b16 v47, 8, v33
	v_and_b32_e32 v33, 0xf00, v33
	s_delay_alu instid0(VALU_DEP_3) | instskip(NEXT) | instid1(VALU_DEP_3)
	v_add_nc_u16 v44, 0xf800, v44
	v_add_nc_u16 v47, 0xf800, v47
	s_delay_alu instid0(VALU_DEP_1) | instskip(NEXT) | instid1(VALU_DEP_1)
	v_lshrrev_b16 v47, 8, v47
	v_or_b32_e32 v33, v33, v47
	s_delay_alu instid0(VALU_DEP_4) | instskip(SKIP_1) | instid1(VALU_DEP_3)
	v_lshrrev_b32_e32 v47, 8, v44
	v_bfe_i32 v44, v44, 0, 8
	v_add_nc_u16 v33, 0xf800, v33
	s_delay_alu instid0(VALU_DEP_3) | instskip(NEXT) | instid1(VALU_DEP_3)
	v_bfe_i32 v47, v47, 0, 8
	v_cvt_f16_i16_e32 v44, v44
	s_delay_alu instid0(VALU_DEP_2) | instskip(NEXT) | instid1(VALU_DEP_1)
	v_cvt_f16_i16_e32 v47, v47
	v_pack_b32_f16 v44, v44, v47
	v_lshrrev_b32_e32 v47, 8, v33
	v_bfe_i32 v33, v33, 0, 8
	s_delay_alu instid0(VALU_DEP_3) | instskip(NEXT) | instid1(VALU_DEP_3)
	v_pk_mul_f16 v48, v44, v45
	v_bfe_i32 v47, v47, 0, 8
	s_delay_alu instid0(VALU_DEP_3) | instskip(SKIP_1) | instid1(VALU_DEP_3)
	v_cvt_f16_i16_e32 v33, v33
	v_ashrrev_i32_e32 v44, v175, v46
	v_cvt_f16_i16_e32 v47, v47
	s_delay_alu instid0(VALU_DEP_2) | instskip(NEXT) | instid1(VALU_DEP_2)
	v_and_b32_e32 v44, 0xf0f0f0f, v44
	v_pack_b32_f16 v33, v33, v47
	s_delay_alu instid0(VALU_DEP_2) | instskip(NEXT) | instid1(VALU_DEP_2)
	v_and_b32_e32 v46, 0xf00, v44
	v_pk_mul_f16 v33, v33, v45
	v_lshlrev_b16 v45, 8, v44
	v_lshrrev_b32_e32 v44, 16, v44
	s_delay_alu instid0(VALU_DEP_2) | instskip(NEXT) | instid1(VALU_DEP_1)
	v_add_nc_u16 v45, 0xf800, v45
	v_lshrrev_b16 v45, 8, v45
	s_delay_alu instid0(VALU_DEP_1) | instskip(NEXT) | instid1(VALU_DEP_4)
	v_or_b32_e32 v45, v46, v45
	v_lshlrev_b16 v46, 8, v44
	v_and_b32_e32 v44, 0xf00, v44
	s_delay_alu instid0(VALU_DEP_3) | instskip(NEXT) | instid1(VALU_DEP_3)
	v_add_nc_u16 v45, 0xf800, v45
	v_add_nc_u16 v46, 0xf800, v46
	s_delay_alu instid0(VALU_DEP_1) | instskip(NEXT) | instid1(VALU_DEP_1)
	v_lshrrev_b16 v46, 8, v46
	v_or_b32_e32 v44, v44, v46
	s_delay_alu instid0(VALU_DEP_4) | instskip(SKIP_1) | instid1(VALU_DEP_3)
	v_lshrrev_b32_e32 v46, 8, v45
	v_bfe_i32 v45, v45, 0, 8
	v_add_nc_u16 v44, 0xf800, v44
	s_delay_alu instid0(VALU_DEP_3) | instskip(NEXT) | instid1(VALU_DEP_3)
	v_bfe_i32 v46, v46, 0, 8
	v_cvt_f16_i16_e32 v45, v45
	s_delay_alu instid0(VALU_DEP_2) | instskip(NEXT) | instid1(VALU_DEP_1)
	v_cvt_f16_i16_e32 v46, v46
	v_pack_b32_f16 v45, v45, v46
	v_lshrrev_b32_e32 v46, 8, v44
	v_bfe_i32 v44, v44, 0, 8
	s_delay_alu instid0(VALU_DEP_2) | instskip(NEXT) | instid1(VALU_DEP_2)
	v_bfe_i32 v46, v46, 0, 8
	v_cvt_f16_i16_e32 v44, v44
	s_delay_alu instid0(VALU_DEP_2) | instskip(NEXT) | instid1(VALU_DEP_1)
	v_cvt_f16_i16_e32 v46, v46
	v_pack_b32_f16 v44, v44, v46
	s_wait_loadcnt 0x0
	v_mul_u32_u24_e32 v32, 0x10001, v32
	s_delay_alu instid0(VALU_DEP_1) | instskip(NEXT) | instid1(VALU_DEP_3)
	v_pk_mul_f16 v49, v45, v32
	v_pk_mul_f16 v32, v44, v32
	v_and_b32_e32 v44, 0xffff, v34
	v_lshrrev_b32_e32 v34, 16, v34
	s_delay_alu instid0(VALU_DEP_2) | instskip(NEXT) | instid1(VALU_DEP_2)
	v_mul_u32_u24_e32 v47, 0x10001, v44
	v_mul_u32_u24_e32 v34, 0x10001, v34
	s_delay_alu instid0(VALU_DEP_2) | instskip(SKIP_4) | instid1(VALU_DEP_4)
	v_pk_fma_f16 v44, v48, v47, v180
	v_and_b32_e32 v180, 0xffff, v50
	v_pk_fma_f16 v45, v33, v47, v181
	v_pk_fma_f16 v46, v49, v47, v182
	;; [unrolled: 1-line block ×3, first 2 shown]
	v_mul_u32_u24_e32 v183, 0x10001, v180
	s_delay_alu instid0(VALU_DEP_1)
	v_pk_fma_f16 v180, v48, v183, v176
	v_pk_fma_f16 v181, v33, v183, v177
	;; [unrolled: 1-line block ×4, first 2 shown]
	v_add_co_u32 v32, vcc_lo, v129, s8
	s_wait_alu 0xfffd
	v_add_co_ci_u32_e64 v33, null, 0, v130, vcc_lo
	global_load_b32 v48, v[32:33], off
	s_clause 0x3
	scratch_load_b32 v141, off, off offset:1092 th:TH_LOAD_LU
	scratch_load_b32 v194, off, off offset:992 th:TH_LOAD_LU
	scratch_load_b32 v132, off, off offset:1068 th:TH_LOAD_LU
	scratch_load_b32 v193, off, off offset:988 th:TH_LOAD_LU
	ds_store_b128 v127, v[44:47]
	ds_store_b128 v127, v[180:183] offset:16
	s_wait_loadcnt 0x3
	v_add_co_u32 v32, vcc_lo, v141, s8
	s_wait_loadcnt 0x2
	s_wait_alu 0xfffd
	v_add_co_ci_u32_e64 v33, null, 0, v194, vcc_lo
	global_load_u16 v49, v[32:33], off
	v_add_co_u32 v32, vcc_lo, v94, s8
	s_wait_alu 0xfffd
	v_add_co_ci_u32_e64 v33, null, 0, v102, vcc_lo
	global_load_b32 v176, v[32:33], off
	v_add_co_u32 v32, vcc_lo, v110, s8
	s_wait_loadcnt 0x3
	s_wait_alu 0xfffd
	v_add_co_ci_u32_e64 v33, null, 0, v132, vcc_lo
	v_mov_b32_e32 v110, v102
	v_mov_b32_e32 v102, v94
	;; [unrolled: 1-line block ×3, first 2 shown]
	global_load_u16 v32, v[32:33], off
	v_ashrrev_i32_e32 v33, v175, v48
	s_delay_alu instid0(VALU_DEP_1) | instskip(NEXT) | instid1(VALU_DEP_1)
	v_and_b32_e32 v33, 0xf0f0f0f, v33
	v_lshlrev_b16 v48, 8, v33
	v_and_b32_e32 v177, 0xf00, v33
	v_lshrrev_b32_e32 v33, 16, v33
	s_delay_alu instid0(VALU_DEP_3) | instskip(NEXT) | instid1(VALU_DEP_1)
	v_add_nc_u16 v48, 0xf800, v48
	v_lshrrev_b16 v48, 8, v48
	s_delay_alu instid0(VALU_DEP_1) | instskip(NEXT) | instid1(VALU_DEP_4)
	v_or_b32_e32 v48, v177, v48
	v_lshlrev_b16 v177, 8, v33
	v_and_b32_e32 v33, 0xf00, v33
	s_delay_alu instid0(VALU_DEP_3) | instskip(NEXT) | instid1(VALU_DEP_3)
	v_add_nc_u16 v48, 0xf800, v48
	v_add_nc_u16 v177, 0xf800, v177
	s_delay_alu instid0(VALU_DEP_1) | instskip(NEXT) | instid1(VALU_DEP_1)
	v_lshrrev_b16 v177, 8, v177
	v_or_b32_e32 v33, v33, v177
	s_delay_alu instid0(VALU_DEP_4) | instskip(SKIP_1) | instid1(VALU_DEP_3)
	v_lshrrev_b32_e32 v177, 8, v48
	v_bfe_i32 v48, v48, 0, 8
	v_add_nc_u16 v33, 0xf800, v33
	s_delay_alu instid0(VALU_DEP_3) | instskip(NEXT) | instid1(VALU_DEP_3)
	v_bfe_i32 v177, v177, 0, 8
	v_cvt_f16_i16_e32 v48, v48
	s_delay_alu instid0(VALU_DEP_2) | instskip(NEXT) | instid1(VALU_DEP_1)
	v_cvt_f16_i16_e64 v177, v177
	v_pack_b32_f16 v48, v48, v177
	v_lshrrev_b32_e32 v177, 8, v33
	v_bfe_i32 v33, v33, 0, 8
	s_delay_alu instid0(VALU_DEP_2) | instskip(NEXT) | instid1(VALU_DEP_2)
	v_bfe_i32 v177, v177, 0, 8
	v_cvt_f16_i16_e32 v33, v33
	s_delay_alu instid0(VALU_DEP_2) | instskip(NEXT) | instid1(VALU_DEP_1)
	v_cvt_f16_i16_e64 v177, v177
	v_pack_b32_f16 v33, v33, v177
	s_wait_loadcnt 0x2
	v_mul_u32_u24_e32 v49, 0x10001, v49
	s_delay_alu instid0(VALU_DEP_1) | instskip(NEXT) | instid1(VALU_DEP_3)
	v_pk_mul_f16 v48, v48, v49
	v_pk_mul_f16 v33, v33, v49
	s_wait_loadcnt 0x1
	v_ashrrev_i32_e32 v49, v175, v176
	s_delay_alu instid0(VALU_DEP_1) | instskip(SKIP_2) | instid1(VALU_DEP_2)
	v_and_b32_e32 v49, 0xf0f0f0f, v49
	s_wait_loadcnt 0x0
	v_mul_u32_u24_e32 v32, 0x10001, v32
	v_lshlrev_b16 v176, 8, v49
	v_and_b32_e32 v177, 0xf00, v49
	v_lshrrev_b32_e32 v49, 16, v49
	s_delay_alu instid0(VALU_DEP_3) | instskip(NEXT) | instid1(VALU_DEP_1)
	v_add_nc_u16 v176, 0xf800, v176
	v_lshrrev_b16 v176, 8, v176
	s_delay_alu instid0(VALU_DEP_1) | instskip(NEXT) | instid1(VALU_DEP_4)
	v_or_b32_e32 v176, v177, v176
	v_lshlrev_b16 v177, 8, v49
	v_and_b32_e32 v49, 0xf00, v49
	s_delay_alu instid0(VALU_DEP_3) | instskip(NEXT) | instid1(VALU_DEP_3)
	v_add_nc_u16 v176, 0xf800, v176
	v_add_nc_u16 v177, 0xf800, v177
	s_delay_alu instid0(VALU_DEP_1) | instskip(NEXT) | instid1(VALU_DEP_1)
	v_lshrrev_b16 v177, 8, v177
	v_or_b32_e32 v49, v49, v177
	s_delay_alu instid0(VALU_DEP_4) | instskip(SKIP_1) | instid1(VALU_DEP_3)
	v_lshrrev_b32_e32 v177, 8, v176
	v_bfe_i32 v176, v176, 0, 8
	v_add_nc_u16 v49, 0xf800, v49
	s_delay_alu instid0(VALU_DEP_3) | instskip(NEXT) | instid1(VALU_DEP_3)
	v_bfe_i32 v177, v177, 0, 8
	v_cvt_f16_i16_e64 v176, v176
	s_delay_alu instid0(VALU_DEP_2) | instskip(NEXT) | instid1(VALU_DEP_1)
	v_cvt_f16_i16_e64 v177, v177
	v_pack_b32_f16 v176, v176, v177
	v_lshrrev_b32_e32 v177, 8, v49
	v_bfe_i32 v49, v49, 0, 8
	s_delay_alu instid0(VALU_DEP_3) | instskip(NEXT) | instid1(VALU_DEP_3)
	v_pk_mul_f16 v184, v176, v32
	v_bfe_i32 v177, v177, 0, 8
	s_delay_alu instid0(VALU_DEP_3) | instskip(SKIP_1) | instid1(VALU_DEP_4)
	v_cvt_f16_i16_e32 v49, v49
	v_pk_fma_f16 v176, v48, v34, v44
	v_pk_fma_f16 v178, v184, v34, v46
	s_delay_alu instid0(VALU_DEP_4) | instskip(NEXT) | instid1(VALU_DEP_1)
	v_cvt_f16_i16_e64 v177, v177
	v_pack_b32_f16 v49, v49, v177
	v_pk_fma_f16 v177, v33, v34, v45
	s_delay_alu instid0(VALU_DEP_2) | instskip(NEXT) | instid1(VALU_DEP_1)
	v_pk_mul_f16 v32, v49, v32
	v_pk_fma_f16 v179, v32, v34, v47
	v_lshrrev_b32_e32 v34, 16, v50
	s_delay_alu instid0(VALU_DEP_1) | instskip(NEXT) | instid1(VALU_DEP_1)
	v_mul_u32_u24_e32 v34, 0x10001, v34
	v_pk_fma_f16 v47, v32, v34, v183
	v_add_co_u32 v32, vcc_lo, v193, s8
	v_pk_fma_f16 v45, v33, v34, v181
	s_wait_alu 0xfffd
	v_add_co_ci_u32_e64 v33, null, 0, v113, vcc_lo
	v_pk_fma_f16 v44, v48, v34, v180
	v_pk_fma_f16 v46, v184, v34, v182
	global_load_b32 v34, v[32:33], off
	scratch_load_b32 v109, off, off offset:1108 th:TH_LOAD_LU ; 4-byte Folded Reload
	v_mov_b32_e32 v184, v197
	s_wait_loadcnt 0x0
	v_add_co_u32 v32, vcc_lo, v109, s8
	s_wait_alu 0xfffd
	v_add_co_ci_u32_e64 v33, null, 0, v86, vcc_lo
	global_load_u16 v48, v[32:33], off
	s_clause 0x3
	scratch_load_b32 v192, off, off offset:1064 th:TH_LOAD_LU
	scratch_load_b32 v4, off, off offset:904 th:TH_LOAD_LU
	;; [unrolled: 1-line block ×4, first 2 shown]
	ds_store_b128 v127, v[176:179]
	ds_store_b128 v127, v[44:47] offset:16
	v_dual_mov_b32 v86, v113 :: v_dual_mov_b32 v113, v107
	s_wait_loadcnt 0x4
	v_mul_u32_u24_e32 v48, 0x10001, v48
	s_wait_loadcnt 0x3
	v_add_co_u32 v32, vcc_lo, v192, s8
	s_wait_loadcnt 0x2
	s_wait_alu 0xfffd
	v_add_co_ci_u32_e64 v33, null, 0, v4, vcc_lo
	s_wait_loadcnt 0x1
	v_mov_b32_e32 v237, v17
	global_load_b32 v49, v[32:33], off
	v_add_co_u32 v32, vcc_lo, v142, s8
	s_wait_alu 0xfffd
	v_add_co_ci_u32_e64 v33, null, 0, v17, vcc_lo
	scratch_load_b32 v142, off, off offset:896 th:TH_LOAD_LU ; 4-byte Folded Reload
	global_load_u16 v32, v[32:33], off
	v_ashrrev_i32_e32 v33, v175, v34
	s_delay_alu instid0(VALU_DEP_1) | instskip(NEXT) | instid1(VALU_DEP_1)
	v_and_b32_e32 v33, 0xf0f0f0f, v33
	v_lshlrev_b16 v34, 8, v33
	v_and_b32_e32 v50, 0xf00, v33
	v_lshrrev_b32_e32 v33, 16, v33
	s_delay_alu instid0(VALU_DEP_3) | instskip(NEXT) | instid1(VALU_DEP_1)
	v_add_nc_u16 v34, 0xf800, v34
	v_lshrrev_b16 v34, 8, v34
	s_delay_alu instid0(VALU_DEP_1) | instskip(NEXT) | instid1(VALU_DEP_4)
	v_or_b32_e32 v34, v50, v34
	v_lshlrev_b16 v50, 8, v33
	v_and_b32_e32 v33, 0xf00, v33
	s_delay_alu instid0(VALU_DEP_3) | instskip(NEXT) | instid1(VALU_DEP_3)
	v_add_nc_u16 v34, 0xf800, v34
	v_add_nc_u16 v50, 0xf800, v50
	s_delay_alu instid0(VALU_DEP_1) | instskip(NEXT) | instid1(VALU_DEP_1)
	v_lshrrev_b16 v50, 8, v50
	v_or_b32_e32 v33, v33, v50
	s_delay_alu instid0(VALU_DEP_4) | instskip(SKIP_1) | instid1(VALU_DEP_3)
	v_lshrrev_b32_e32 v50, 8, v34
	v_bfe_i32 v34, v34, 0, 8
	v_add_nc_u16 v33, 0xf800, v33
	s_delay_alu instid0(VALU_DEP_3) | instskip(NEXT) | instid1(VALU_DEP_3)
	v_bfe_i32 v50, v50, 0, 8
	v_cvt_f16_i16_e32 v34, v34
	s_delay_alu instid0(VALU_DEP_2) | instskip(NEXT) | instid1(VALU_DEP_1)
	v_cvt_f16_i16_e32 v50, v50
	v_pack_b32_f16 v34, v34, v50
	v_lshrrev_b32_e32 v50, 8, v33
	v_bfe_i32 v33, v33, 0, 8
	s_delay_alu instid0(VALU_DEP_3) | instskip(NEXT) | instid1(VALU_DEP_3)
	v_pk_mul_f16 v34, v34, v48
	v_bfe_i32 v50, v50, 0, 8
	s_delay_alu instid0(VALU_DEP_3) | instskip(NEXT) | instid1(VALU_DEP_2)
	v_cvt_f16_i16_e32 v33, v33
	v_cvt_f16_i16_e32 v50, v50
	s_delay_alu instid0(VALU_DEP_1) | instskip(NEXT) | instid1(VALU_DEP_1)
	v_pack_b32_f16 v33, v33, v50
	v_pk_mul_f16 v33, v33, v48
	s_wait_loadcnt 0x2
	v_ashrrev_i32_e32 v48, v175, v49
	s_delay_alu instid0(VALU_DEP_1) | instskip(SKIP_2) | instid1(VALU_DEP_2)
	v_and_b32_e32 v48, 0xf0f0f0f, v48
	s_wait_loadcnt 0x0
	v_mul_u32_u24_e32 v32, 0x10001, v32
	v_lshlrev_b16 v49, 8, v48
	v_and_b32_e32 v50, 0xf00, v48
	v_lshrrev_b32_e32 v48, 16, v48
	s_delay_alu instid0(VALU_DEP_3) | instskip(NEXT) | instid1(VALU_DEP_1)
	v_add_nc_u16 v49, 0xf800, v49
	v_lshrrev_b16 v49, 8, v49
	s_delay_alu instid0(VALU_DEP_1) | instskip(NEXT) | instid1(VALU_DEP_4)
	v_or_b32_e32 v49, v50, v49
	v_lshlrev_b16 v50, 8, v48
	v_and_b32_e32 v48, 0xf00, v48
	s_delay_alu instid0(VALU_DEP_3) | instskip(NEXT) | instid1(VALU_DEP_3)
	v_add_nc_u16 v49, 0xf800, v49
	v_add_nc_u16 v50, 0xf800, v50
	s_delay_alu instid0(VALU_DEP_1) | instskip(NEXT) | instid1(VALU_DEP_1)
	v_lshrrev_b16 v50, 8, v50
	v_or_b32_e32 v48, v48, v50
	s_delay_alu instid0(VALU_DEP_4) | instskip(SKIP_1) | instid1(VALU_DEP_3)
	v_lshrrev_b32_e32 v50, 8, v49
	v_bfe_i32 v49, v49, 0, 8
	v_add_nc_u16 v48, 0xf800, v48
	s_delay_alu instid0(VALU_DEP_3) | instskip(NEXT) | instid1(VALU_DEP_3)
	v_bfe_i32 v50, v50, 0, 8
	v_cvt_f16_i16_e32 v49, v49
	s_delay_alu instid0(VALU_DEP_2) | instskip(NEXT) | instid1(VALU_DEP_1)
	v_cvt_f16_i16_e32 v50, v50
	v_pack_b32_f16 v49, v49, v50
	v_lshrrev_b32_e32 v50, 8, v48
	v_bfe_i32 v48, v48, 0, 8
	s_delay_alu instid0(VALU_DEP_3) | instskip(NEXT) | instid1(VALU_DEP_3)
	v_pk_mul_f16 v49, v49, v32
	v_bfe_i32 v50, v50, 0, 8
	s_delay_alu instid0(VALU_DEP_3) | instskip(NEXT) | instid1(VALU_DEP_2)
	v_cvt_f16_i16_e32 v48, v48
	v_cvt_f16_i16_e32 v50, v50
	s_delay_alu instid0(VALU_DEP_1) | instskip(NEXT) | instid1(VALU_DEP_1)
	v_pack_b32_f16 v48, v48, v50
	v_pk_mul_f16 v32, v48, v32
	v_and_b32_e32 v48, 0xffff, v35
	s_delay_alu instid0(VALU_DEP_1) | instskip(NEXT) | instid1(VALU_DEP_1)
	v_mul_u32_u24_e32 v48, 0x10001, v48
	v_pk_fma_f16 v180, v34, v48, v176
	v_pk_fma_f16 v181, v33, v48, v177
	;; [unrolled: 1-line block ×4, first 2 shown]
	v_and_b32_e32 v48, 0xffff, v51
	s_delay_alu instid0(VALU_DEP_1) | instskip(NEXT) | instid1(VALU_DEP_1)
	v_mul_u32_u24_e32 v48, 0x10001, v48
	v_pk_fma_f16 v179, v32, v48, v47
	v_add_co_u32 v32, vcc_lo, v142, s8
	v_pk_fma_f16 v177, v33, v48, v45
	s_wait_alu 0xfffd
	v_add_co_ci_u32_e64 v33, null, 0, v209, vcc_lo
	v_pk_fma_f16 v176, v34, v48, v44
	v_lshrrev_b32_e32 v34, 16, v35
	global_load_b32 v35, v[32:33], off
	s_clause 0x2
	scratch_load_b32 v223, off, off offset:1040 th:TH_LOAD_LU
	scratch_load_b32 v233, off, off offset:1080 th:TH_LOAD_LU
	;; [unrolled: 1-line block ×3, first 2 shown]
	v_pk_fma_f16 v178, v49, v48, v46
	s_wait_loadcnt 0x2
	v_add_co_u32 v32, vcc_lo, v223, s8
	s_wait_loadcnt 0x1
	s_wait_alu 0xfffd
	v_add_co_ci_u32_e64 v33, null, 0, v233, vcc_lo
	global_load_u16 v44, v[32:33], off
	v_add_co_u32 v32, vcc_lo, v111, s8
	s_wait_loadcnt 0x1
	s_wait_alu 0xfffd
	v_add_co_ci_u32_e64 v33, null, 0, v230, vcc_lo
	global_load_b32 v45, v[32:33], off
	s_clause 0x8
	scratch_load_b32 v231, off, off offset:1044 th:TH_LOAD_LU
	scratch_load_b32 v224, off, off offset:1036 th:TH_LOAD_LU
	;; [unrolled: 1-line block ×9, first 2 shown]
	ds_store_b128 v127, v[180:183]
	ds_store_b128 v127, v[176:179] offset:16
	s_clause 0x1
	scratch_load_b32 v117, off, off offset:1100 th:TH_LOAD_LU
	scratch_load_b32 v229, off, off offset:1072 th:TH_LOAD_LU
	s_wait_loadcnt 0xc
	v_mul_u32_u24_e32 v44, 0x10001, v44
	s_wait_loadcnt 0xa
	v_add_co_u32 v32, vcc_lo, v231, s8
	s_wait_loadcnt 0x9
	s_wait_alu 0xfffd
	v_add_co_ci_u32_e64 v33, null, 0, v224, vcc_lo
	global_load_u16 v32, v[32:33], off
	v_ashrrev_i32_e32 v33, v175, v35
	s_delay_alu instid0(VALU_DEP_1) | instskip(NEXT) | instid1(VALU_DEP_1)
	v_and_b32_e32 v33, 0xf0f0f0f, v33
	v_lshlrev_b16 v35, 8, v33
	v_and_b32_e32 v46, 0xf00, v33
	v_lshrrev_b32_e32 v33, 16, v33
	s_delay_alu instid0(VALU_DEP_3) | instskip(NEXT) | instid1(VALU_DEP_1)
	v_add_nc_u16 v35, 0xf800, v35
	v_lshrrev_b16 v35, 8, v35
	s_delay_alu instid0(VALU_DEP_1) | instskip(NEXT) | instid1(VALU_DEP_4)
	v_or_b32_e32 v35, v46, v35
	v_lshlrev_b16 v46, 8, v33
	v_and_b32_e32 v33, 0xf00, v33
	s_delay_alu instid0(VALU_DEP_3) | instskip(NEXT) | instid1(VALU_DEP_3)
	v_add_nc_u16 v35, 0xf800, v35
	v_add_nc_u16 v46, 0xf800, v46
	s_delay_alu instid0(VALU_DEP_1) | instskip(NEXT) | instid1(VALU_DEP_1)
	v_lshrrev_b16 v46, 8, v46
	v_or_b32_e32 v33, v33, v46
	s_delay_alu instid0(VALU_DEP_4) | instskip(SKIP_1) | instid1(VALU_DEP_3)
	v_lshrrev_b32_e32 v46, 8, v35
	v_bfe_i32 v35, v35, 0, 8
	v_add_nc_u16 v33, 0xf800, v33
	s_delay_alu instid0(VALU_DEP_3) | instskip(NEXT) | instid1(VALU_DEP_3)
	v_bfe_i32 v46, v46, 0, 8
	v_cvt_f16_i16_e32 v35, v35
	s_delay_alu instid0(VALU_DEP_2) | instskip(NEXT) | instid1(VALU_DEP_1)
	v_cvt_f16_i16_e32 v46, v46
	v_pack_b32_f16 v35, v35, v46
	v_lshrrev_b32_e32 v46, 8, v33
	v_bfe_i32 v33, v33, 0, 8
	s_delay_alu instid0(VALU_DEP_2) | instskip(NEXT) | instid1(VALU_DEP_2)
	v_bfe_i32 v46, v46, 0, 8
	v_cvt_f16_i16_e32 v33, v33
	s_delay_alu instid0(VALU_DEP_2) | instskip(NEXT) | instid1(VALU_DEP_1)
	v_cvt_f16_i16_e32 v46, v46
	v_pack_b32_f16 v33, v33, v46
	v_pk_mul_f16 v46, v35, v44
	s_delay_alu instid0(VALU_DEP_2) | instskip(SKIP_1) | instid1(VALU_DEP_1)
	v_pk_mul_f16 v47, v33, v44
	v_ashrrev_i32_e32 v33, v175, v45
	v_and_b32_e32 v33, 0xf0f0f0f, v33
	s_delay_alu instid0(VALU_DEP_1) | instskip(SKIP_2) | instid1(VALU_DEP_3)
	v_lshlrev_b16 v35, 8, v33
	v_and_b32_e32 v44, 0xf00, v33
	v_lshrrev_b32_e32 v33, 16, v33
	v_add_nc_u16 v35, 0xf800, v35
	s_delay_alu instid0(VALU_DEP_1) | instskip(NEXT) | instid1(VALU_DEP_1)
	v_lshrrev_b16 v35, 8, v35
	v_or_b32_e32 v35, v44, v35
	s_delay_alu instid0(VALU_DEP_4) | instskip(SKIP_1) | instid1(VALU_DEP_3)
	v_lshlrev_b16 v44, 8, v33
	v_and_b32_e32 v33, 0xf00, v33
	v_add_nc_u16 v35, 0xf800, v35
	s_delay_alu instid0(VALU_DEP_3) | instskip(NEXT) | instid1(VALU_DEP_1)
	v_add_nc_u16 v44, 0xf800, v44
	v_lshrrev_b16 v44, 8, v44
	s_delay_alu instid0(VALU_DEP_1) | instskip(NEXT) | instid1(VALU_DEP_4)
	v_or_b32_e32 v33, v33, v44
	v_lshrrev_b32_e32 v44, 8, v35
	v_bfe_i32 v35, v35, 0, 8
	s_delay_alu instid0(VALU_DEP_3) | instskip(NEXT) | instid1(VALU_DEP_3)
	v_add_nc_u16 v33, 0xf800, v33
	v_bfe_i32 v44, v44, 0, 8
	s_delay_alu instid0(VALU_DEP_3) | instskip(NEXT) | instid1(VALU_DEP_2)
	v_cvt_f16_i16_e32 v35, v35
	v_cvt_f16_i16_e32 v44, v44
	s_delay_alu instid0(VALU_DEP_1) | instskip(SKIP_2) | instid1(VALU_DEP_2)
	v_pack_b32_f16 v35, v35, v44
	v_lshrrev_b32_e32 v44, 8, v33
	v_bfe_i32 v33, v33, 0, 8
	v_bfe_i32 v44, v44, 0, 8
	s_delay_alu instid0(VALU_DEP_2) | instskip(NEXT) | instid1(VALU_DEP_2)
	v_cvt_f16_i16_e32 v33, v33
	v_cvt_f16_i16_e32 v44, v44
	s_delay_alu instid0(VALU_DEP_1) | instskip(SKIP_1) | instid1(VALU_DEP_1)
	v_pack_b32_f16 v33, v33, v44
	v_lshrrev_b32_e32 v44, 16, v51
	v_mul_u32_u24_e32 v50, 0x10001, v44
	s_delay_alu instid0(VALU_DEP_1) | instskip(SKIP_3) | instid1(VALU_DEP_1)
	v_pk_fma_f16 v44, v46, v50, v176
	v_pk_fma_f16 v45, v47, v50, v177
	s_wait_loadcnt 0x0
	v_mul_u32_u24_e32 v32, 0x10001, v32
	v_pk_mul_f16 v48, v35, v32
	v_mul_u32_u24_e32 v35, 0x10001, v34
	v_pk_mul_f16 v49, v33, v32
	s_delay_alu instid0(VALU_DEP_2) | instskip(NEXT) | instid1(VALU_DEP_4)
	v_pk_fma_f16 v32, v46, v35, v180
	v_pk_fma_f16 v34, v48, v35, v182
	v_pk_fma_f16 v46, v48, v50, v178
	v_add_co_u32 v48, vcc_lo, v112, s8
	v_pk_fma_f16 v33, v47, v35, v181
	v_pk_fma_f16 v35, v49, v35, v183
	;; [unrolled: 1-line block ×3, first 2 shown]
	s_wait_alu 0xfffd
	v_add_co_ci_u32_e64 v49, null, 0, v106, vcc_lo
	v_mov_b32_e32 v180, v14
	ds_store_b128 v127, v[32:35]
	ds_store_b128 v127, v[44:47] offset:16
	global_load_b32 v50, v[48:49], off
	v_add_co_u32 v48, vcc_lo, v107, s8
	s_wait_alu 0xfffd
	v_add_co_ci_u32_e64 v49, null, 0, v108, vcc_lo
	v_dual_mov_b32 v107, v103 :: v_dual_mov_b32 v108, v105
	v_mov_b32_e32 v181, v16
	global_load_u16 v51, v[48:49], off
	v_add_co_u32 v48, vcc_lo, v103, s8
	s_wait_alu 0xfffd
	v_add_co_ci_u32_e64 v49, null, 0, v101, vcc_lo
	v_dual_mov_b32 v103, v98 :: v_dual_mov_b32 v182, v25
	v_mov_b32_e32 v183, v28
	global_load_b32 v176, v[48:49], off
	v_add_co_u32 v48, vcc_lo, v105, s8
	s_wait_alu 0xfffd
	v_add_co_ci_u32_e64 v49, null, 0, v104, vcc_lo
	v_mov_b32_e32 v105, v99
	global_load_u16 v48, v[48:49], off
	s_wait_loadcnt 0x3
	v_ashrrev_i32_e32 v49, v175, v50
	s_delay_alu instid0(VALU_DEP_1) | instskip(SKIP_2) | instid1(VALU_DEP_2)
	v_and_b32_e32 v49, 0xf0f0f0f, v49
	s_wait_loadcnt 0x2
	v_mul_u32_u24_e32 v51, 0x10001, v51
	v_lshlrev_b16 v50, 8, v49
	v_and_b32_e32 v177, 0xf00, v49
	v_lshrrev_b32_e32 v49, 16, v49
	s_delay_alu instid0(VALU_DEP_3) | instskip(NEXT) | instid1(VALU_DEP_1)
	v_add_nc_u16 v50, 0xf800, v50
	v_lshrrev_b16 v50, 8, v50
	s_wait_loadcnt 0x0
	v_mul_u32_u24_e32 v48, 0x10001, v48
	s_delay_alu instid0(VALU_DEP_2) | instskip(SKIP_2) | instid1(VALU_DEP_3)
	v_or_b32_e32 v50, v177, v50
	v_lshlrev_b16 v177, 8, v49
	v_and_b32_e32 v49, 0xf00, v49
	v_add_nc_u16 v50, 0xf800, v50
	s_delay_alu instid0(VALU_DEP_3) | instskip(NEXT) | instid1(VALU_DEP_1)
	v_add_nc_u16 v177, 0xf800, v177
	v_lshrrev_b16 v177, 8, v177
	s_delay_alu instid0(VALU_DEP_1) | instskip(NEXT) | instid1(VALU_DEP_4)
	v_or_b32_e32 v49, v49, v177
	v_lshrrev_b32_e32 v177, 8, v50
	v_bfe_i32 v50, v50, 0, 8
	s_delay_alu instid0(VALU_DEP_3) | instskip(NEXT) | instid1(VALU_DEP_3)
	v_add_nc_u16 v49, 0xf800, v49
	v_bfe_i32 v177, v177, 0, 8
	s_delay_alu instid0(VALU_DEP_3) | instskip(NEXT) | instid1(VALU_DEP_2)
	v_cvt_f16_i16_e32 v50, v50
	v_cvt_f16_i16_e64 v177, v177
	s_delay_alu instid0(VALU_DEP_1) | instskip(SKIP_2) | instid1(VALU_DEP_2)
	v_pack_b32_f16 v50, v50, v177
	v_lshrrev_b32_e32 v177, 8, v49
	v_bfe_i32 v49, v49, 0, 8
	v_bfe_i32 v177, v177, 0, 8
	s_delay_alu instid0(VALU_DEP_2) | instskip(NEXT) | instid1(VALU_DEP_2)
	v_cvt_f16_i16_e32 v49, v49
	v_cvt_f16_i16_e64 v177, v177
	s_delay_alu instid0(VALU_DEP_1) | instskip(SKIP_1) | instid1(VALU_DEP_2)
	v_pack_b32_f16 v49, v49, v177
	v_pk_mul_f16 v177, v50, v51
	v_pk_mul_f16 v178, v49, v51
	v_ashrrev_i32_e32 v49, v175, v176
	s_delay_alu instid0(VALU_DEP_1) | instskip(NEXT) | instid1(VALU_DEP_1)
	v_and_b32_e32 v49, 0xf0f0f0f, v49
	v_lshlrev_b16 v50, 8, v49
	v_and_b32_e32 v51, 0xf00, v49
	v_lshrrev_b32_e32 v49, 16, v49
	s_delay_alu instid0(VALU_DEP_3) | instskip(NEXT) | instid1(VALU_DEP_1)
	v_add_nc_u16 v50, 0xf800, v50
	v_lshrrev_b16 v50, 8, v50
	s_delay_alu instid0(VALU_DEP_1) | instskip(NEXT) | instid1(VALU_DEP_4)
	v_or_b32_e32 v50, v51, v50
	v_lshlrev_b16 v51, 8, v49
	v_and_b32_e32 v49, 0xf00, v49
	s_delay_alu instid0(VALU_DEP_3) | instskip(NEXT) | instid1(VALU_DEP_3)
	v_add_nc_u16 v50, 0xf800, v50
	v_add_nc_u16 v51, 0xf800, v51
	s_delay_alu instid0(VALU_DEP_1) | instskip(NEXT) | instid1(VALU_DEP_1)
	v_lshrrev_b16 v51, 8, v51
	v_or_b32_e32 v49, v49, v51
	s_delay_alu instid0(VALU_DEP_4) | instskip(SKIP_1) | instid1(VALU_DEP_3)
	v_lshrrev_b32_e32 v51, 8, v50
	v_bfe_i32 v50, v50, 0, 8
	v_add_nc_u16 v49, 0xf800, v49
	s_delay_alu instid0(VALU_DEP_3) | instskip(NEXT) | instid1(VALU_DEP_3)
	v_bfe_i32 v51, v51, 0, 8
	v_cvt_f16_i16_e32 v50, v50
	s_delay_alu instid0(VALU_DEP_2) | instskip(NEXT) | instid1(VALU_DEP_1)
	v_cvt_f16_i16_e32 v51, v51
	v_pack_b32_f16 v50, v50, v51
	v_lshrrev_b32_e32 v51, 8, v49
	v_bfe_i32 v49, v49, 0, 8
	s_delay_alu instid0(VALU_DEP_3) | instskip(NEXT) | instid1(VALU_DEP_3)
	v_pk_mul_f16 v176, v50, v48
	v_bfe_i32 v51, v51, 0, 8
	s_delay_alu instid0(VALU_DEP_3) | instskip(NEXT) | instid1(VALU_DEP_2)
	v_cvt_f16_i16_e32 v49, v49
	v_cvt_f16_i16_e32 v51, v51
	s_delay_alu instid0(VALU_DEP_1) | instskip(NEXT) | instid1(VALU_DEP_1)
	v_pack_b32_f16 v49, v49, v51
	v_pk_mul_f16 v179, v49, v48
	v_and_b32_e32 v48, 0xffff, v40
	v_lshrrev_b32_e32 v40, 16, v40
	s_delay_alu instid0(VALU_DEP_2) | instskip(NEXT) | instid1(VALU_DEP_2)
	v_mul_u32_u24_e32 v51, 0x10001, v48
	v_mul_u32_u24_e32 v40, 0x10001, v40
	s_delay_alu instid0(VALU_DEP_2)
	v_pk_fma_f16 v48, v177, v51, v32
	s_wait_dscnt 0x11
	v_and_b32_e32 v32, 0xffff, v36
	v_pk_fma_f16 v49, v178, v51, v33
	v_pk_fma_f16 v50, v176, v51, v34
	;; [unrolled: 1-line block ×3, first 2 shown]
	v_lshrrev_b32_e32 v36, 16, v36
	v_mul_u32_u24_e32 v35, 0x10001, v32
	s_delay_alu instid0(VALU_DEP_2) | instskip(NEXT) | instid1(VALU_DEP_2)
	v_mul_u32_u24_e32 v36, 0x10001, v36
	v_pk_fma_f16 v32, v177, v35, v44
	v_add_co_u32 v44, vcc_lo, v96, s8
	v_pk_fma_f16 v33, v178, v35, v45
	s_wait_alu 0xfffd
	v_add_co_ci_u32_e64 v45, null, 0, v98, vcc_lo
	v_pk_fma_f16 v34, v176, v35, v46
	v_pk_fma_f16 v35, v179, v35, v47
	ds_store_b128 v127, v[48:51]
	global_load_b32 v46, v[44:45], off
	v_add_co_u32 v44, vcc_lo, v99, s8
	s_wait_alu 0xfffd
	v_add_co_ci_u32_e64 v45, null, 0, v100, vcc_lo
	ds_store_b128 v127, v[32:35] offset:16
	v_dual_mov_b32 v98, v92 :: v_dual_mov_b32 v99, v95
	global_load_u16 v47, v[44:45], off
	v_add_co_u32 v44, vcc_lo, v95, s8
	s_wait_alu 0xfffd
	v_add_co_ci_u32_e64 v45, null, 0, v87, vcc_lo
	v_mov_b32_e32 v95, v90
	global_load_b32 v176, v[44:45], off
	v_add_co_u32 v44, vcc_lo, v97, s8
	s_wait_alu 0xfffd
	v_add_co_ci_u32_e64 v45, null, 0, v117, vcc_lo
	global_load_u16 v44, v[44:45], off
	s_wait_loadcnt 0x3
	v_ashrrev_i32_e32 v45, v175, v46
	s_delay_alu instid0(VALU_DEP_1) | instskip(SKIP_2) | instid1(VALU_DEP_2)
	v_and_b32_e32 v45, 0xf0f0f0f, v45
	s_wait_loadcnt 0x2
	v_mul_u32_u24_e32 v47, 0x10001, v47
	v_lshlrev_b16 v46, 8, v45
	v_and_b32_e32 v177, 0xf00, v45
	v_lshrrev_b32_e32 v45, 16, v45
	s_delay_alu instid0(VALU_DEP_3) | instskip(NEXT) | instid1(VALU_DEP_1)
	v_add_nc_u16 v46, 0xf800, v46
	v_lshrrev_b16 v46, 8, v46
	s_wait_loadcnt 0x0
	v_mul_u32_u24_e32 v44, 0x10001, v44
	s_delay_alu instid0(VALU_DEP_2) | instskip(SKIP_2) | instid1(VALU_DEP_3)
	v_or_b32_e32 v46, v177, v46
	v_lshlrev_b16 v177, 8, v45
	v_and_b32_e32 v45, 0xf00, v45
	v_add_nc_u16 v46, 0xf800, v46
	s_delay_alu instid0(VALU_DEP_3) | instskip(NEXT) | instid1(VALU_DEP_1)
	v_add_nc_u16 v177, 0xf800, v177
	v_lshrrev_b16 v177, 8, v177
	s_delay_alu instid0(VALU_DEP_1) | instskip(NEXT) | instid1(VALU_DEP_4)
	v_or_b32_e32 v45, v45, v177
	v_lshrrev_b32_e32 v177, 8, v46
	v_bfe_i32 v46, v46, 0, 8
	s_delay_alu instid0(VALU_DEP_3) | instskip(NEXT) | instid1(VALU_DEP_3)
	v_add_nc_u16 v45, 0xf800, v45
	v_bfe_i32 v177, v177, 0, 8
	s_delay_alu instid0(VALU_DEP_3) | instskip(NEXT) | instid1(VALU_DEP_2)
	v_cvt_f16_i16_e32 v46, v46
	v_cvt_f16_i16_e64 v177, v177
	s_delay_alu instid0(VALU_DEP_1) | instskip(SKIP_2) | instid1(VALU_DEP_2)
	v_pack_b32_f16 v46, v46, v177
	v_lshrrev_b32_e32 v177, 8, v45
	v_bfe_i32 v45, v45, 0, 8
	v_bfe_i32 v177, v177, 0, 8
	s_delay_alu instid0(VALU_DEP_2) | instskip(NEXT) | instid1(VALU_DEP_2)
	v_cvt_f16_i16_e32 v45, v45
	v_cvt_f16_i16_e64 v177, v177
	s_delay_alu instid0(VALU_DEP_1) | instskip(SKIP_1) | instid1(VALU_DEP_2)
	v_pack_b32_f16 v45, v45, v177
	v_pk_mul_f16 v177, v46, v47
	v_pk_mul_f16 v178, v45, v47
	v_ashrrev_i32_e32 v45, v175, v176
	s_delay_alu instid0(VALU_DEP_1) | instskip(NEXT) | instid1(VALU_DEP_1)
	v_and_b32_e32 v45, 0xf0f0f0f, v45
	v_lshlrev_b16 v46, 8, v45
	v_and_b32_e32 v47, 0xf00, v45
	v_lshrrev_b32_e32 v45, 16, v45
	s_delay_alu instid0(VALU_DEP_3) | instskip(NEXT) | instid1(VALU_DEP_1)
	v_add_nc_u16 v46, 0xf800, v46
	v_lshrrev_b16 v46, 8, v46
	s_delay_alu instid0(VALU_DEP_1) | instskip(NEXT) | instid1(VALU_DEP_4)
	v_or_b32_e32 v46, v47, v46
	v_lshlrev_b16 v47, 8, v45
	v_and_b32_e32 v45, 0xf00, v45
	s_delay_alu instid0(VALU_DEP_3) | instskip(NEXT) | instid1(VALU_DEP_3)
	v_add_nc_u16 v46, 0xf800, v46
	v_add_nc_u16 v47, 0xf800, v47
	s_delay_alu instid0(VALU_DEP_1) | instskip(NEXT) | instid1(VALU_DEP_1)
	v_lshrrev_b16 v47, 8, v47
	v_or_b32_e32 v45, v45, v47
	s_delay_alu instid0(VALU_DEP_4) | instskip(SKIP_1) | instid1(VALU_DEP_3)
	v_lshrrev_b32_e32 v47, 8, v46
	v_bfe_i32 v46, v46, 0, 8
	v_add_nc_u16 v45, 0xf800, v45
	s_delay_alu instid0(VALU_DEP_3) | instskip(NEXT) | instid1(VALU_DEP_3)
	v_bfe_i32 v47, v47, 0, 8
	v_cvt_f16_i16_e32 v46, v46
	s_delay_alu instid0(VALU_DEP_2) | instskip(NEXT) | instid1(VALU_DEP_1)
	v_cvt_f16_i16_e32 v47, v47
	v_pack_b32_f16 v46, v46, v47
	v_lshrrev_b32_e32 v47, 8, v45
	v_bfe_i32 v45, v45, 0, 8
	s_delay_alu instid0(VALU_DEP_3) | instskip(NEXT) | instid1(VALU_DEP_3)
	v_pk_mul_f16 v176, v46, v44
	v_bfe_i32 v47, v47, 0, 8
	s_delay_alu instid0(VALU_DEP_3) | instskip(NEXT) | instid1(VALU_DEP_3)
	v_cvt_f16_i16_e32 v45, v45
	v_pk_fma_f16 v46, v176, v40, v50
	s_delay_alu instid0(VALU_DEP_3) | instskip(SKIP_1) | instid1(VALU_DEP_2)
	v_cvt_f16_i16_e32 v47, v47
	v_pk_fma_f16 v50, v176, v36, v34
	v_pack_b32_f16 v45, v45, v47
	s_delay_alu instid0(VALU_DEP_1)
	v_pk_mul_f16 v179, v45, v44
	v_pk_fma_f16 v44, v177, v40, v48
	v_pk_fma_f16 v48, v177, v36, v32
	v_add_co_u32 v32, vcc_lo, v89, s8
	v_pk_fma_f16 v45, v178, v40, v49
	v_pk_fma_f16 v49, v178, v36, v33
	s_wait_alu 0xfffd
	v_add_co_ci_u32_e64 v33, null, 0, v90, vcc_lo
	v_pk_fma_f16 v47, v179, v40, v51
	v_pk_fma_f16 v51, v179, v36, v35
	v_mov_b32_e32 v90, v83
	global_load_b32 v34, v[32:33], off
	v_add_co_u32 v32, vcc_lo, v91, s8
	s_wait_alu 0xfffd
	v_add_co_ci_u32_e64 v33, null, 0, v92, vcc_lo
	ds_store_b128 v127, v[44:47]
	ds_store_b128 v127, v[48:51] offset:16
	v_mov_b32_e32 v92, v88
	global_load_u16 v35, v[32:33], off
	v_add_co_u32 v32, vcc_lo, v84, s8
	s_wait_alu 0xfffd
	v_add_co_ci_u32_e64 v33, null, 0, v229, vcc_lo
	v_mov_b32_e32 v178, v104
	v_mov_b32_e32 v104, v96
	v_mov_b32_e32 v96, v89
	global_load_b32 v36, v[32:33], off
	v_add_co_u32 v32, vcc_lo, v88, s8
	s_wait_alu 0xfffd
	v_add_co_ci_u32_e64 v33, null, 0, v236, vcc_lo
	v_dual_mov_b32 v88, v82 :: v_dual_mov_b32 v89, v252
	v_mov_b32_e32 v179, v188
	global_load_u16 v32, v[32:33], off
	s_wait_loadcnt 0x3
	v_ashrrev_i32_e32 v33, v175, v34
	s_delay_alu instid0(VALU_DEP_1) | instskip(SKIP_2) | instid1(VALU_DEP_2)
	v_and_b32_e32 v33, 0xf0f0f0f, v33
	s_wait_loadcnt 0x2
	v_mul_u32_u24_e32 v35, 0x10001, v35
	v_lshlrev_b16 v34, 8, v33
	v_and_b32_e32 v40, 0xf00, v33
	v_lshrrev_b32_e32 v33, 16, v33
	s_delay_alu instid0(VALU_DEP_3) | instskip(NEXT) | instid1(VALU_DEP_1)
	v_add_nc_u16 v34, 0xf800, v34
	v_lshrrev_b16 v34, 8, v34
	s_wait_loadcnt 0x0
	v_mul_u32_u24_e32 v32, 0x10001, v32
	s_delay_alu instid0(VALU_DEP_2) | instskip(SKIP_2) | instid1(VALU_DEP_3)
	v_or_b32_e32 v34, v40, v34
	v_lshlrev_b16 v40, 8, v33
	v_and_b32_e32 v33, 0xf00, v33
	v_add_nc_u16 v34, 0xf800, v34
	s_delay_alu instid0(VALU_DEP_3) | instskip(NEXT) | instid1(VALU_DEP_1)
	v_add_nc_u16 v40, 0xf800, v40
	v_lshrrev_b16 v40, 8, v40
	s_delay_alu instid0(VALU_DEP_1) | instskip(NEXT) | instid1(VALU_DEP_4)
	v_or_b32_e32 v33, v33, v40
	v_lshrrev_b32_e32 v40, 8, v34
	v_bfe_i32 v34, v34, 0, 8
	s_delay_alu instid0(VALU_DEP_3) | instskip(NEXT) | instid1(VALU_DEP_3)
	v_add_nc_u16 v33, 0xf800, v33
	v_bfe_i32 v40, v40, 0, 8
	s_delay_alu instid0(VALU_DEP_3) | instskip(NEXT) | instid1(VALU_DEP_2)
	v_cvt_f16_i16_e32 v34, v34
	v_cvt_f16_i16_e32 v40, v40
	s_delay_alu instid0(VALU_DEP_1) | instskip(SKIP_2) | instid1(VALU_DEP_2)
	v_pack_b32_f16 v34, v34, v40
	v_lshrrev_b32_e32 v40, 8, v33
	v_bfe_i32 v33, v33, 0, 8
	v_bfe_i32 v40, v40, 0, 8
	s_delay_alu instid0(VALU_DEP_2) | instskip(NEXT) | instid1(VALU_DEP_2)
	v_cvt_f16_i16_e32 v33, v33
	v_cvt_f16_i16_e32 v40, v40
	s_delay_alu instid0(VALU_DEP_1) | instskip(SKIP_1) | instid1(VALU_DEP_2)
	v_pack_b32_f16 v33, v33, v40
	v_pk_mul_f16 v40, v34, v35
	v_pk_mul_f16 v176, v33, v35
	v_ashrrev_i32_e32 v33, v175, v36
	s_delay_alu instid0(VALU_DEP_1) | instskip(NEXT) | instid1(VALU_DEP_1)
	v_and_b32_e32 v33, 0xf0f0f0f, v33
	v_lshlrev_b16 v34, 8, v33
	v_and_b32_e32 v35, 0xf00, v33
	v_lshrrev_b32_e32 v33, 16, v33
	s_delay_alu instid0(VALU_DEP_3) | instskip(NEXT) | instid1(VALU_DEP_1)
	v_add_nc_u16 v34, 0xf800, v34
	v_lshrrev_b16 v34, 8, v34
	s_delay_alu instid0(VALU_DEP_1) | instskip(NEXT) | instid1(VALU_DEP_4)
	v_or_b32_e32 v34, v35, v34
	v_lshlrev_b16 v35, 8, v33
	v_and_b32_e32 v33, 0xf00, v33
	s_delay_alu instid0(VALU_DEP_3) | instskip(NEXT) | instid1(VALU_DEP_3)
	v_add_nc_u16 v34, 0xf800, v34
	v_add_nc_u16 v35, 0xf800, v35
	s_delay_alu instid0(VALU_DEP_1) | instskip(NEXT) | instid1(VALU_DEP_1)
	v_lshrrev_b16 v35, 8, v35
	v_or_b32_e32 v33, v33, v35
	s_delay_alu instid0(VALU_DEP_4) | instskip(SKIP_1) | instid1(VALU_DEP_3)
	v_lshrrev_b32_e32 v35, 8, v34
	v_bfe_i32 v34, v34, 0, 8
	v_add_nc_u16 v33, 0xf800, v33
	s_delay_alu instid0(VALU_DEP_3) | instskip(NEXT) | instid1(VALU_DEP_3)
	v_bfe_i32 v35, v35, 0, 8
	v_cvt_f16_i16_e32 v34, v34
	s_delay_alu instid0(VALU_DEP_2) | instskip(NEXT) | instid1(VALU_DEP_1)
	v_cvt_f16_i16_e32 v35, v35
	v_pack_b32_f16 v34, v34, v35
	v_lshrrev_b32_e32 v35, 8, v33
	v_bfe_i32 v33, v33, 0, 8
	s_delay_alu instid0(VALU_DEP_3) | instskip(NEXT) | instid1(VALU_DEP_3)
	v_pk_mul_f16 v36, v34, v32
	v_bfe_i32 v35, v35, 0, 8
	s_delay_alu instid0(VALU_DEP_3) | instskip(NEXT) | instid1(VALU_DEP_2)
	v_cvt_f16_i16_e32 v33, v33
	v_cvt_f16_i16_e32 v35, v35
	s_delay_alu instid0(VALU_DEP_1) | instskip(NEXT) | instid1(VALU_DEP_1)
	v_pack_b32_f16 v33, v33, v35
	v_pk_mul_f16 v177, v33, v32
	v_and_b32_e32 v32, 0xffff, v41
	v_lshrrev_b32_e32 v41, 16, v41
	s_delay_alu instid0(VALU_DEP_2) | instskip(NEXT) | instid1(VALU_DEP_2)
	v_mul_u32_u24_e32 v35, 0x10001, v32
	v_mul_u32_u24_e32 v41, 0x10001, v41
	s_delay_alu instid0(VALU_DEP_2) | instskip(SKIP_4) | instid1(VALU_DEP_4)
	v_pk_fma_f16 v32, v40, v35, v44
	v_and_b32_e32 v44, 0xffff, v37
	v_pk_fma_f16 v33, v176, v35, v45
	v_pk_fma_f16 v34, v36, v35, v46
	;; [unrolled: 1-line block ×3, first 2 shown]
	v_mul_u32_u24_e32 v47, 0x10001, v44
	s_delay_alu instid0(VALU_DEP_1)
	v_pk_fma_f16 v44, v40, v47, v48
	v_add_co_u32 v48, vcc_lo, v234, s8
	v_pk_fma_f16 v45, v176, v47, v49
	s_wait_alu 0xfffd
	v_add_co_ci_u32_e64 v49, null, 0, v252, vcc_lo
	v_pk_fma_f16 v46, v36, v47, v50
	v_pk_fma_f16 v47, v177, v47, v51
	ds_store_b128 v127, v[32:35]
	global_load_b32 v36, v[48:49], off
	v_add_co_u32 v48, vcc_lo, v82, s8
	s_wait_alu 0xfffd
	v_add_co_ci_u32_e64 v49, null, 0, v83, vcc_lo
	ds_store_b128 v127, v[44:47] offset:16
	v_dual_mov_b32 v82, v79 :: v_dual_mov_b32 v83, v80
	global_load_u16 v40, v[48:49], off
	v_add_co_u32 v48, vcc_lo, v80, s8
	s_wait_alu 0xfffd
	v_add_co_ci_u32_e64 v49, null, 0, v85, vcc_lo
	v_mov_b32_e32 v80, v77
	v_dual_mov_b32 v252, v115 :: v_dual_mov_b32 v115, v111
	global_load_b32 v50, v[48:49], off
	v_add_co_u32 v48, vcc_lo, v81, s8
	s_wait_alu 0xfffd
	v_add_co_ci_u32_e64 v49, null, 0, v241, vcc_lo
	v_dual_mov_b32 v111, v106 :: v_dual_mov_b32 v106, v100
	v_mov_b32_e32 v100, v97
	global_load_u16 v48, v[48:49], off
	v_mov_b32_e32 v97, v91
	v_dual_mov_b32 v91, v84 :: v_dual_mov_b32 v84, v81
	v_mov_b32_e32 v81, v78
	s_wait_loadcnt 0x3
	v_ashrrev_i32_e32 v36, v175, v36
	s_delay_alu instid0(VALU_DEP_1) | instskip(SKIP_2) | instid1(VALU_DEP_2)
	v_and_b32_e32 v36, 0xf0f0f0f, v36
	s_wait_loadcnt 0x2
	v_mul_u32_u24_e32 v40, 0x10001, v40
	v_lshlrev_b16 v49, 8, v36
	v_and_b32_e32 v51, 0xf00, v36
	v_lshrrev_b32_e32 v36, 16, v36
	s_delay_alu instid0(VALU_DEP_3) | instskip(NEXT) | instid1(VALU_DEP_1)
	v_add_nc_u16 v49, 0xf800, v49
	v_lshrrev_b16 v49, 8, v49
	s_wait_loadcnt 0x0
	v_mul_u32_u24_e32 v48, 0x10001, v48
	s_delay_alu instid0(VALU_DEP_2) | instskip(SKIP_2) | instid1(VALU_DEP_3)
	v_or_b32_e32 v49, v51, v49
	v_lshlrev_b16 v51, 8, v36
	v_and_b32_e32 v36, 0xf00, v36
	v_add_nc_u16 v49, 0xf800, v49
	s_delay_alu instid0(VALU_DEP_3) | instskip(NEXT) | instid1(VALU_DEP_1)
	v_add_nc_u16 v51, 0xf800, v51
	v_lshrrev_b16 v51, 8, v51
	s_delay_alu instid0(VALU_DEP_1) | instskip(NEXT) | instid1(VALU_DEP_4)
	v_or_b32_e32 v36, v36, v51
	v_lshrrev_b32_e32 v51, 8, v49
	v_bfe_i32 v49, v49, 0, 8
	s_delay_alu instid0(VALU_DEP_3) | instskip(NEXT) | instid1(VALU_DEP_3)
	v_add_nc_u16 v36, 0xf800, v36
	v_bfe_i32 v51, v51, 0, 8
	s_delay_alu instid0(VALU_DEP_3) | instskip(NEXT) | instid1(VALU_DEP_2)
	v_cvt_f16_i16_e32 v49, v49
	v_cvt_f16_i16_e32 v51, v51
	s_delay_alu instid0(VALU_DEP_1) | instskip(SKIP_2) | instid1(VALU_DEP_3)
	v_pack_b32_f16 v49, v49, v51
	v_lshrrev_b32_e32 v51, 8, v36
	v_bfe_i32 v36, v36, 0, 8
	v_pk_mul_f16 v176, v49, v40
	s_delay_alu instid0(VALU_DEP_3) | instskip(NEXT) | instid1(VALU_DEP_3)
	v_bfe_i32 v51, v51, 0, 8
	v_cvt_f16_i16_e32 v36, v36
	s_delay_alu instid0(VALU_DEP_2) | instskip(NEXT) | instid1(VALU_DEP_1)
	v_cvt_f16_i16_e32 v51, v51
	v_pack_b32_f16 v36, v36, v51
	s_delay_alu instid0(VALU_DEP_1) | instskip(SKIP_1) | instid1(VALU_DEP_1)
	v_pk_mul_f16 v36, v36, v40
	v_ashrrev_i32_e32 v40, v175, v50
	v_and_b32_e32 v40, 0xf0f0f0f, v40
	s_delay_alu instid0(VALU_DEP_1) | instskip(SKIP_2) | instid1(VALU_DEP_3)
	v_lshlrev_b16 v49, 8, v40
	v_and_b32_e32 v50, 0xf00, v40
	v_lshrrev_b32_e32 v40, 16, v40
	v_add_nc_u16 v49, 0xf800, v49
	s_delay_alu instid0(VALU_DEP_1) | instskip(NEXT) | instid1(VALU_DEP_1)
	v_lshrrev_b16 v49, 8, v49
	v_or_b32_e32 v49, v50, v49
	s_delay_alu instid0(VALU_DEP_4) | instskip(SKIP_1) | instid1(VALU_DEP_3)
	v_lshlrev_b16 v50, 8, v40
	v_and_b32_e32 v40, 0xf00, v40
	v_add_nc_u16 v49, 0xf800, v49
	s_delay_alu instid0(VALU_DEP_3) | instskip(NEXT) | instid1(VALU_DEP_1)
	v_add_nc_u16 v50, 0xf800, v50
	v_lshrrev_b16 v50, 8, v50
	s_delay_alu instid0(VALU_DEP_1) | instskip(NEXT) | instid1(VALU_DEP_4)
	v_or_b32_e32 v40, v40, v50
	v_lshrrev_b32_e32 v50, 8, v49
	v_bfe_i32 v49, v49, 0, 8
	s_delay_alu instid0(VALU_DEP_3) | instskip(NEXT) | instid1(VALU_DEP_3)
	v_add_nc_u16 v40, 0xf800, v40
	v_bfe_i32 v50, v50, 0, 8
	s_delay_alu instid0(VALU_DEP_3) | instskip(NEXT) | instid1(VALU_DEP_2)
	v_cvt_f16_i16_e32 v49, v49
	v_cvt_f16_i16_e32 v50, v50
	s_delay_alu instid0(VALU_DEP_1) | instskip(SKIP_2) | instid1(VALU_DEP_3)
	v_pack_b32_f16 v49, v49, v50
	v_lshrrev_b32_e32 v50, 8, v40
	v_bfe_i32 v40, v40, 0, 8
	v_pk_mul_f16 v177, v49, v48
	s_delay_alu instid0(VALU_DEP_3) | instskip(NEXT) | instid1(VALU_DEP_3)
	v_bfe_i32 v50, v50, 0, 8
	v_cvt_f16_i16_e32 v40, v40
	v_pk_fma_f16 v49, v36, v41, v33
	s_delay_alu instid0(VALU_DEP_3) | instskip(NEXT) | instid1(VALU_DEP_1)
	v_cvt_f16_i16_e32 v50, v50
	v_pack_b32_f16 v40, v40, v50
	v_pk_fma_f16 v50, v177, v41, v34
	s_delay_alu instid0(VALU_DEP_2) | instskip(SKIP_2) | instid1(VALU_DEP_3)
	v_pk_mul_f16 v40, v40, v48
	v_pk_fma_f16 v48, v176, v41, v32
	v_lshrrev_b32_e32 v32, 16, v37
	v_pk_fma_f16 v51, v40, v41, v35
	s_delay_alu instid0(VALU_DEP_2) | instskip(NEXT) | instid1(VALU_DEP_1)
	v_mul_u32_u24_e32 v35, 0x10001, v32
	v_pk_fma_f16 v33, v36, v35, v45
	v_add_co_u32 v36, vcc_lo, v76, s8
	s_wait_alu 0xfffd
	v_add_co_ci_u32_e64 v37, null, 0, v77, vcc_lo
	v_pk_fma_f16 v32, v176, v35, v44
	v_pk_fma_f16 v34, v177, v35, v46
	;; [unrolled: 1-line block ×3, first 2 shown]
	global_load_b32 v40, v[36:37], off
	v_add_co_u32 v36, vcc_lo, v78, s8
	s_wait_alu 0xfffd
	v_add_co_ci_u32_e64 v37, null, 0, v79, vcc_lo
	ds_store_b128 v127, v[48:51]
	ds_store_b128 v127, v[32:35] offset:16
	v_mov_b32_e32 v79, v76
	global_load_u16 v41, v[36:37], off
	v_add_co_u32 v36, vcc_lo, v72, s8
	s_wait_alu 0xfffd
	v_add_co_ci_u32_e64 v37, null, 0, v73, vcc_lo
	v_dual_mov_b32 v76, v73 :: v_dual_mov_b32 v73, v70
	v_mov_b32_e32 v77, v74
	global_load_b32 v44, v[36:37], off
	v_add_co_u32 v36, vcc_lo, v74, s8
	s_wait_alu 0xfffd
	v_add_co_ci_u32_e64 v37, null, 0, v75, vcc_lo
	v_mov_b32_e32 v74, v71
	v_dual_mov_b32 v78, v75 :: v_dual_mov_b32 v75, v72
	global_load_u16 v36, v[36:37], off
	v_dual_mov_b32 v72, v69 :: v_dual_mov_b32 v177, v2
	s_wait_loadcnt 0x3
	v_ashrrev_i32_e32 v37, v175, v40
	s_delay_alu instid0(VALU_DEP_1) | instskip(SKIP_2) | instid1(VALU_DEP_2)
	v_and_b32_e32 v37, 0xf0f0f0f, v37
	s_wait_loadcnt 0x2
	v_mul_u32_u24_e32 v41, 0x10001, v41
	v_lshlrev_b16 v40, 8, v37
	v_and_b32_e32 v45, 0xf00, v37
	v_lshrrev_b32_e32 v37, 16, v37
	s_delay_alu instid0(VALU_DEP_3) | instskip(NEXT) | instid1(VALU_DEP_1)
	v_add_nc_u16 v40, 0xf800, v40
	v_lshrrev_b16 v40, 8, v40
	s_wait_loadcnt 0x0
	v_mul_u32_u24_e32 v36, 0x10001, v36
	s_delay_alu instid0(VALU_DEP_2) | instskip(SKIP_2) | instid1(VALU_DEP_3)
	v_or_b32_e32 v40, v45, v40
	v_lshlrev_b16 v45, 8, v37
	v_and_b32_e32 v37, 0xf00, v37
	v_add_nc_u16 v40, 0xf800, v40
	s_delay_alu instid0(VALU_DEP_3) | instskip(NEXT) | instid1(VALU_DEP_1)
	v_add_nc_u16 v45, 0xf800, v45
	v_lshrrev_b16 v45, 8, v45
	s_delay_alu instid0(VALU_DEP_1) | instskip(NEXT) | instid1(VALU_DEP_4)
	v_or_b32_e32 v37, v37, v45
	v_lshrrev_b32_e32 v45, 8, v40
	v_bfe_i32 v40, v40, 0, 8
	s_delay_alu instid0(VALU_DEP_3) | instskip(NEXT) | instid1(VALU_DEP_3)
	v_add_nc_u16 v37, 0xf800, v37
	v_bfe_i32 v45, v45, 0, 8
	s_delay_alu instid0(VALU_DEP_3) | instskip(NEXT) | instid1(VALU_DEP_2)
	v_cvt_f16_i16_e32 v40, v40
	v_cvt_f16_i16_e32 v45, v45
	s_delay_alu instid0(VALU_DEP_1) | instskip(SKIP_2) | instid1(VALU_DEP_3)
	v_pack_b32_f16 v40, v40, v45
	v_lshrrev_b32_e32 v45, 8, v37
	v_bfe_i32 v37, v37, 0, 8
	v_pk_mul_f16 v40, v40, v41
	s_delay_alu instid0(VALU_DEP_3) | instskip(NEXT) | instid1(VALU_DEP_3)
	v_bfe_i32 v45, v45, 0, 8
	v_cvt_f16_i16_e32 v37, v37
	s_delay_alu instid0(VALU_DEP_2) | instskip(NEXT) | instid1(VALU_DEP_1)
	v_cvt_f16_i16_e32 v45, v45
	v_pack_b32_f16 v37, v37, v45
	s_delay_alu instid0(VALU_DEP_1) | instskip(SKIP_1) | instid1(VALU_DEP_1)
	v_pk_mul_f16 v37, v37, v41
	v_ashrrev_i32_e32 v41, v175, v44
	v_and_b32_e32 v41, 0xf0f0f0f, v41
	s_delay_alu instid0(VALU_DEP_1) | instskip(SKIP_2) | instid1(VALU_DEP_3)
	v_lshlrev_b16 v44, 8, v41
	v_and_b32_e32 v45, 0xf00, v41
	v_lshrrev_b32_e32 v41, 16, v41
	v_add_nc_u16 v44, 0xf800, v44
	s_delay_alu instid0(VALU_DEP_1) | instskip(NEXT) | instid1(VALU_DEP_1)
	v_lshrrev_b16 v44, 8, v44
	v_or_b32_e32 v44, v45, v44
	s_delay_alu instid0(VALU_DEP_4) | instskip(SKIP_1) | instid1(VALU_DEP_3)
	v_lshlrev_b16 v45, 8, v41
	v_and_b32_e32 v41, 0xf00, v41
	v_add_nc_u16 v44, 0xf800, v44
	s_delay_alu instid0(VALU_DEP_3) | instskip(NEXT) | instid1(VALU_DEP_1)
	v_add_nc_u16 v45, 0xf800, v45
	v_lshrrev_b16 v45, 8, v45
	s_delay_alu instid0(VALU_DEP_1) | instskip(NEXT) | instid1(VALU_DEP_4)
	v_or_b32_e32 v41, v41, v45
	v_lshrrev_b32_e32 v45, 8, v44
	v_bfe_i32 v44, v44, 0, 8
	s_delay_alu instid0(VALU_DEP_3) | instskip(NEXT) | instid1(VALU_DEP_3)
	v_add_nc_u16 v41, 0xf800, v41
	v_bfe_i32 v45, v45, 0, 8
	s_delay_alu instid0(VALU_DEP_3) | instskip(NEXT) | instid1(VALU_DEP_2)
	v_cvt_f16_i16_e32 v44, v44
	v_cvt_f16_i16_e32 v45, v45
	s_delay_alu instid0(VALU_DEP_1) | instskip(SKIP_2) | instid1(VALU_DEP_3)
	v_pack_b32_f16 v44, v44, v45
	v_lshrrev_b32_e32 v45, 8, v41
	v_bfe_i32 v41, v41, 0, 8
	v_pk_mul_f16 v176, v44, v36
	s_delay_alu instid0(VALU_DEP_3) | instskip(NEXT) | instid1(VALU_DEP_3)
	v_bfe_i32 v45, v45, 0, 8
	v_cvt_f16_i16_e32 v41, v41
	s_delay_alu instid0(VALU_DEP_2) | instskip(NEXT) | instid1(VALU_DEP_1)
	v_cvt_f16_i16_e32 v45, v45
	v_pack_b32_f16 v41, v41, v45
	s_delay_alu instid0(VALU_DEP_1) | instskip(SKIP_1) | instid1(VALU_DEP_1)
	v_pk_mul_f16 v36, v41, v36
	v_and_b32_e32 v41, 0xffff, v42
	v_mul_u32_u24_e32 v41, 0x10001, v41
	s_delay_alu instid0(VALU_DEP_1)
	v_pk_fma_f16 v44, v40, v41, v48
	v_pk_fma_f16 v45, v37, v41, v49
	;; [unrolled: 1-line block ×4, first 2 shown]
	v_and_b32_e32 v41, 0xffff, v38
	v_lshrrev_b32_e32 v38, 16, v38
	s_delay_alu instid0(VALU_DEP_2) | instskip(NEXT) | instid1(VALU_DEP_2)
	v_mul_u32_u24_e32 v41, 0x10001, v41
	v_mul_u32_u24_e32 v38, 0x10001, v38
	s_delay_alu instid0(VALU_DEP_2)
	v_pk_fma_f16 v48, v40, v41, v32
	v_add_co_u32 v32, vcc_lo, v68, s8
	v_pk_fma_f16 v49, v37, v41, v33
	s_wait_alu 0xfffd
	v_add_co_ci_u32_e64 v33, null, 0, v69, vcc_lo
	v_pk_fma_f16 v50, v176, v41, v34
	v_pk_fma_f16 v51, v36, v41, v35
	v_mov_b32_e32 v69, v66
	global_load_b32 v34, v[32:33], off
	v_add_co_u32 v32, vcc_lo, v70, s8
	s_wait_alu 0xfffd
	v_add_co_ci_u32_e64 v33, null, 0, v71, vcc_lo
	v_dual_mov_b32 v70, v67 :: v_dual_mov_b32 v71, v68
	v_mov_b32_e32 v68, v65
	global_load_u16 v35, v[32:33], off
	v_add_co_u32 v32, vcc_lo, v64, s8
	s_wait_alu 0xfffd
	v_add_co_ci_u32_e64 v33, null, 0, v65, vcc_lo
	scratch_load_b32 v65, off, off offset:1120 th:TH_LOAD_LU ; 4-byte Folded Reload
	ds_store_b128 v127, v[44:47]
	ds_store_b128 v127, v[48:51] offset:16
	global_load_b32 v36, v[32:33], off
	v_add_co_u32 v32, vcc_lo, v66, s8
	s_wait_alu 0xfffd
	v_add_co_ci_u32_e64 v33, null, 0, v67, vcc_lo
	v_mov_b32_e32 v67, v64
	s_clause 0x1
	scratch_load_b32 v64, off, off offset:1116 th:TH_LOAD_LU
	scratch_load_b32 v66, off, off offset:1124 th:TH_LOAD_LU
	global_load_u16 v32, v[32:33], off
	v_mov_b32_e32 v176, v13
	s_wait_loadcnt 0x6
	v_ashrrev_i32_e32 v33, v175, v34
	s_delay_alu instid0(VALU_DEP_1) | instskip(SKIP_2) | instid1(VALU_DEP_2)
	v_and_b32_e32 v33, 0xf0f0f0f, v33
	s_wait_loadcnt 0x5
	v_mul_u32_u24_e32 v35, 0x10001, v35
	v_lshlrev_b16 v34, 8, v33
	v_and_b32_e32 v37, 0xf00, v33
	v_lshrrev_b32_e32 v33, 16, v33
	s_delay_alu instid0(VALU_DEP_3) | instskip(NEXT) | instid1(VALU_DEP_1)
	v_add_nc_u16 v34, 0xf800, v34
	v_lshrrev_b16 v34, 8, v34
	s_wait_loadcnt 0x0
	v_mul_u32_u24_e32 v32, 0x10001, v32
	s_delay_alu instid0(VALU_DEP_2) | instskip(SKIP_2) | instid1(VALU_DEP_3)
	v_or_b32_e32 v34, v37, v34
	v_lshlrev_b16 v37, 8, v33
	v_and_b32_e32 v33, 0xf00, v33
	v_add_nc_u16 v34, 0xf800, v34
	s_delay_alu instid0(VALU_DEP_3) | instskip(NEXT) | instid1(VALU_DEP_1)
	v_add_nc_u16 v37, 0xf800, v37
	v_lshrrev_b16 v37, 8, v37
	s_delay_alu instid0(VALU_DEP_1) | instskip(NEXT) | instid1(VALU_DEP_4)
	v_or_b32_e32 v33, v33, v37
	v_lshrrev_b32_e32 v37, 8, v34
	v_bfe_i32 v34, v34, 0, 8
	s_delay_alu instid0(VALU_DEP_3) | instskip(NEXT) | instid1(VALU_DEP_3)
	v_add_nc_u16 v33, 0xf800, v33
	v_bfe_i32 v37, v37, 0, 8
	s_delay_alu instid0(VALU_DEP_3) | instskip(NEXT) | instid1(VALU_DEP_2)
	v_cvt_f16_i16_e32 v34, v34
	v_cvt_f16_i16_e32 v37, v37
	s_delay_alu instid0(VALU_DEP_1) | instskip(SKIP_2) | instid1(VALU_DEP_2)
	v_pack_b32_f16 v34, v34, v37
	v_lshrrev_b32_e32 v37, 8, v33
	v_bfe_i32 v33, v33, 0, 8
	v_bfe_i32 v37, v37, 0, 8
	s_delay_alu instid0(VALU_DEP_2) | instskip(NEXT) | instid1(VALU_DEP_2)
	v_cvt_f16_i16_e32 v33, v33
	v_cvt_f16_i16_e32 v37, v37
	s_delay_alu instid0(VALU_DEP_1) | instskip(SKIP_1) | instid1(VALU_DEP_2)
	v_pack_b32_f16 v33, v33, v37
	v_pk_mul_f16 v37, v34, v35
	v_pk_mul_f16 v40, v33, v35
	v_ashrrev_i32_e32 v33, v175, v36
	s_delay_alu instid0(VALU_DEP_1) | instskip(NEXT) | instid1(VALU_DEP_1)
	v_and_b32_e32 v33, 0xf0f0f0f, v33
	v_lshlrev_b16 v34, 8, v33
	v_and_b32_e32 v35, 0xf00, v33
	v_lshrrev_b32_e32 v33, 16, v33
	s_delay_alu instid0(VALU_DEP_3) | instskip(NEXT) | instid1(VALU_DEP_1)
	v_add_nc_u16 v34, 0xf800, v34
	v_lshrrev_b16 v34, 8, v34
	s_delay_alu instid0(VALU_DEP_1) | instskip(NEXT) | instid1(VALU_DEP_4)
	v_or_b32_e32 v34, v35, v34
	v_lshlrev_b16 v35, 8, v33
	v_and_b32_e32 v33, 0xf00, v33
	s_delay_alu instid0(VALU_DEP_3) | instskip(NEXT) | instid1(VALU_DEP_3)
	v_add_nc_u16 v34, 0xf800, v34
	v_add_nc_u16 v35, 0xf800, v35
	s_delay_alu instid0(VALU_DEP_1) | instskip(NEXT) | instid1(VALU_DEP_1)
	v_lshrrev_b16 v35, 8, v35
	v_or_b32_e32 v33, v33, v35
	s_delay_alu instid0(VALU_DEP_4) | instskip(SKIP_1) | instid1(VALU_DEP_3)
	v_lshrrev_b32_e32 v35, 8, v34
	v_bfe_i32 v34, v34, 0, 8
	v_add_nc_u16 v33, 0xf800, v33
	s_delay_alu instid0(VALU_DEP_3) | instskip(NEXT) | instid1(VALU_DEP_3)
	v_bfe_i32 v35, v35, 0, 8
	v_cvt_f16_i16_e32 v34, v34
	s_delay_alu instid0(VALU_DEP_2) | instskip(NEXT) | instid1(VALU_DEP_1)
	v_cvt_f16_i16_e32 v35, v35
	v_pack_b32_f16 v34, v34, v35
	v_lshrrev_b32_e32 v35, 8, v33
	v_bfe_i32 v33, v33, 0, 8
	s_delay_alu instid0(VALU_DEP_3) | instskip(NEXT) | instid1(VALU_DEP_3)
	v_pk_mul_f16 v36, v34, v32
	v_bfe_i32 v35, v35, 0, 8
	s_delay_alu instid0(VALU_DEP_3) | instskip(NEXT) | instid1(VALU_DEP_2)
	v_cvt_f16_i16_e32 v33, v33
	v_cvt_f16_i16_e32 v35, v35
	s_delay_alu instid0(VALU_DEP_1) | instskip(NEXT) | instid1(VALU_DEP_1)
	v_pack_b32_f16 v33, v33, v35
	v_pk_mul_f16 v41, v33, v32
	v_lshrrev_b32_e32 v32, 16, v42
	s_delay_alu instid0(VALU_DEP_1) | instskip(NEXT) | instid1(VALU_DEP_1)
	v_mul_u32_u24_e32 v35, 0x10001, v32
	v_pk_fma_f16 v34, v36, v35, v46
	v_pk_fma_f16 v46, v36, v38, v50
	v_add_co_u32 v36, vcc_lo, v63, s8
	v_pk_fma_f16 v32, v37, v35, v44
	v_pk_fma_f16 v44, v37, v38, v48
	s_wait_alu 0xfffd
	v_add_co_ci_u32_e64 v37, null, 0, v64, vcc_lo
	v_pk_fma_f16 v33, v40, v35, v45
	v_pk_fma_f16 v35, v41, v35, v47
	;; [unrolled: 1-line block ×4, first 2 shown]
	global_load_b32 v38, v[36:37], off
	v_add_co_u32 v36, vcc_lo, v65, s8
	s_wait_alu 0xfffd
	v_add_co_ci_u32_e64 v37, null, 0, v66, vcc_lo
	global_load_u16 v40, v[36:37], off
	s_clause 0x1
	scratch_load_b32 v59, off, off offset:1004 th:TH_LOAD_LU
	scratch_load_b32 v60, off, off offset:1008 th:TH_LOAD_LU
	s_wait_loadcnt 0x2
	v_mul_u32_u24_e32 v40, 0x10001, v40
	s_wait_loadcnt 0x1
	v_add_co_u32 v36, vcc_lo, v59, s8
	s_wait_loadcnt 0x0
	s_wait_alu 0xfffd
	v_add_co_ci_u32_e64 v37, null, 0, v60, vcc_lo
	global_load_b32 v41, v[36:37], off
	s_clause 0x3
	scratch_load_b32 v61, off, off offset:1012 th:TH_LOAD_LU
	scratch_load_b32 v62, off, off offset:1020 th:TH_LOAD_LU
	;; [unrolled: 1-line block ×4, first 2 shown]
	ds_store_b128 v127, v[32:35]
	ds_store_b128 v127, v[44:47] offset:16
	s_wait_loadcnt 0x3
	v_add_co_u32 v36, vcc_lo, v61, s8
	s_wait_loadcnt 0x2
	s_wait_alu 0xfffd
	v_add_co_ci_u32_e64 v37, null, 0, v62, vcc_lo
	global_load_u16 v36, v[36:37], off
	v_ashrrev_i32_e32 v37, v175, v38
	s_delay_alu instid0(VALU_DEP_1) | instskip(NEXT) | instid1(VALU_DEP_1)
	v_and_b32_e32 v37, 0xf0f0f0f, v37
	v_lshlrev_b16 v38, 8, v37
	v_and_b32_e32 v42, 0xf00, v37
	v_lshrrev_b32_e32 v37, 16, v37
	s_delay_alu instid0(VALU_DEP_3) | instskip(NEXT) | instid1(VALU_DEP_1)
	v_add_nc_u16 v38, 0xf800, v38
	v_lshrrev_b16 v38, 8, v38
	s_delay_alu instid0(VALU_DEP_1) | instskip(NEXT) | instid1(VALU_DEP_4)
	v_or_b32_e32 v38, v42, v38
	v_lshlrev_b16 v42, 8, v37
	v_and_b32_e32 v37, 0xf00, v37
	s_delay_alu instid0(VALU_DEP_3) | instskip(NEXT) | instid1(VALU_DEP_3)
	v_add_nc_u16 v38, 0xf800, v38
	v_add_nc_u16 v42, 0xf800, v42
	s_delay_alu instid0(VALU_DEP_1) | instskip(NEXT) | instid1(VALU_DEP_1)
	v_lshrrev_b16 v42, 8, v42
	v_or_b32_e32 v37, v37, v42
	s_delay_alu instid0(VALU_DEP_4) | instskip(SKIP_1) | instid1(VALU_DEP_3)
	v_lshrrev_b32_e32 v42, 8, v38
	v_bfe_i32 v38, v38, 0, 8
	v_add_nc_u16 v37, 0xf800, v37
	s_delay_alu instid0(VALU_DEP_3) | instskip(NEXT) | instid1(VALU_DEP_3)
	v_bfe_i32 v42, v42, 0, 8
	v_cvt_f16_i16_e32 v38, v38
	s_delay_alu instid0(VALU_DEP_2) | instskip(NEXT) | instid1(VALU_DEP_1)
	v_cvt_f16_i16_e32 v42, v42
	v_pack_b32_f16 v38, v38, v42
	v_lshrrev_b32_e32 v42, 8, v37
	v_bfe_i32 v37, v37, 0, 8
	s_delay_alu instid0(VALU_DEP_3) | instskip(NEXT) | instid1(VALU_DEP_3)
	v_pk_mul_f16 v38, v38, v40
	v_bfe_i32 v42, v42, 0, 8
	s_delay_alu instid0(VALU_DEP_3) | instskip(NEXT) | instid1(VALU_DEP_2)
	v_cvt_f16_i16_e32 v37, v37
	v_cvt_f16_i16_e32 v42, v42
	s_delay_alu instid0(VALU_DEP_1) | instskip(NEXT) | instid1(VALU_DEP_1)
	v_pack_b32_f16 v37, v37, v42
	v_pk_mul_f16 v37, v37, v40
	v_ashrrev_i32_e32 v40, v175, v41
	s_delay_alu instid0(VALU_DEP_1) | instskip(NEXT) | instid1(VALU_DEP_1)
	v_and_b32_e32 v40, 0xf0f0f0f, v40
	v_lshlrev_b16 v41, 8, v40
	v_and_b32_e32 v42, 0xf00, v40
	v_lshrrev_b32_e32 v40, 16, v40
	s_delay_alu instid0(VALU_DEP_3) | instskip(NEXT) | instid1(VALU_DEP_1)
	v_add_nc_u16 v41, 0xf800, v41
	v_lshrrev_b16 v41, 8, v41
	s_delay_alu instid0(VALU_DEP_1) | instskip(NEXT) | instid1(VALU_DEP_4)
	v_or_b32_e32 v41, v42, v41
	v_lshlrev_b16 v42, 8, v40
	v_and_b32_e32 v40, 0xf00, v40
	s_delay_alu instid0(VALU_DEP_3) | instskip(NEXT) | instid1(VALU_DEP_3)
	v_add_nc_u16 v41, 0xf800, v41
	v_add_nc_u16 v42, 0xf800, v42
	s_delay_alu instid0(VALU_DEP_1) | instskip(NEXT) | instid1(VALU_DEP_1)
	v_lshrrev_b16 v42, 8, v42
	v_or_b32_e32 v40, v40, v42
	s_delay_alu instid0(VALU_DEP_4) | instskip(SKIP_1) | instid1(VALU_DEP_3)
	v_lshrrev_b32_e32 v42, 8, v41
	v_bfe_i32 v41, v41, 0, 8
	v_add_nc_u16 v40, 0xf800, v40
	s_delay_alu instid0(VALU_DEP_3) | instskip(NEXT) | instid1(VALU_DEP_3)
	v_bfe_i32 v42, v42, 0, 8
	v_cvt_f16_i16_e32 v41, v41
	s_delay_alu instid0(VALU_DEP_2) | instskip(NEXT) | instid1(VALU_DEP_1)
	v_cvt_f16_i16_e32 v42, v42
	v_pack_b32_f16 v41, v41, v42
	v_lshrrev_b32_e32 v42, 8, v40
	v_bfe_i32 v40, v40, 0, 8
	s_delay_alu instid0(VALU_DEP_2) | instskip(NEXT) | instid1(VALU_DEP_2)
	v_bfe_i32 v42, v42, 0, 8
	v_cvt_f16_i16_e32 v40, v40
	s_delay_alu instid0(VALU_DEP_2) | instskip(NEXT) | instid1(VALU_DEP_1)
	v_cvt_f16_i16_e32 v42, v42
	v_pack_b32_f16 v40, v40, v42
	s_wait_loadcnt 0x0
	v_mul_u32_u24_e32 v36, 0x10001, v36
	s_delay_alu instid0(VALU_DEP_1) | instskip(NEXT) | instid1(VALU_DEP_3)
	v_pk_mul_f16 v41, v41, v36
	v_pk_mul_f16 v36, v40, v36
	v_and_b32_e32 v40, 0xffff, v43
	s_delay_alu instid0(VALU_DEP_1) | instskip(NEXT) | instid1(VALU_DEP_1)
	v_mul_u32_u24_e32 v40, 0x10001, v40
	v_pk_fma_f16 v48, v38, v40, v32
	v_and_b32_e32 v32, 0xffff, v39
	v_pk_fma_f16 v51, v36, v40, v35
	v_pk_fma_f16 v49, v37, v40, v33
	;; [unrolled: 1-line block ×3, first 2 shown]
	s_delay_alu instid0(VALU_DEP_4) | instskip(NEXT) | instid1(VALU_DEP_1)
	v_mul_u32_u24_e32 v35, 0x10001, v32
	v_pk_fma_f16 v32, v38, v35, v44
	v_pk_fma_f16 v33, v37, v35, v45
	;; [unrolled: 1-line block ×4, first 2 shown]
	v_add_co_u32 v36, vcc_lo, v239, s8
	s_wait_alu 0xfffd
	v_add_co_ci_u32_e64 v37, null, 0, v56, vcc_lo
	global_load_b32 v40, v[36:37], off
	s_clause 0x1
	scratch_load_b32 v57, off, off offset:960 th:TH_LOAD_LU
	scratch_load_b32 v58, off, off offset:1000 th:TH_LOAD_LU
	v_lshrrev_b32_e32 v38, 16, v43
	s_wait_loadcnt 0x1
	v_add_co_u32 v36, vcc_lo, v57, s8
	s_wait_loadcnt 0x0
	s_wait_alu 0xfffd
	v_add_co_ci_u32_e64 v37, null, 0, v58, vcc_lo
	global_load_u16 v41, v[36:37], off
	s_clause 0x2
	scratch_load_b32 v240, off, off offset:1112 th:TH_LOAD_LU
	scratch_load_b32 v52, off, off offset:888 th:TH_LOAD_LU
	;; [unrolled: 1-line block ×3, first 2 shown]
	s_wait_loadcnt 0x3
	v_mul_u32_u24_e32 v41, 0x10001, v41
	s_wait_loadcnt 0x1
	v_add_co_u32 v36, vcc_lo, v52, s8
	s_wait_loadcnt 0x0
	s_wait_alu 0xfffd
	v_add_co_ci_u32_e64 v37, null, 0, v211, vcc_lo
	global_load_b32 v42, v[36:37], off
	s_clause 0x1
	scratch_load_b32 v53, off, off offset:1052 th:TH_LOAD_LU
	scratch_load_b32 v247, off, off offset:1128 th:TH_LOAD_LU
	ds_store_b128 v127, v[48:51]
	s_wait_loadcnt 0x1
	v_add_co_u32 v36, vcc_lo, v53, s8
	s_wait_loadcnt 0x0
	s_wait_alu 0xfffd
	v_add_co_ci_u32_e64 v37, null, 0, v247, vcc_lo
	global_load_u16 v36, v[36:37], off
	v_ashrrev_i32_e32 v37, v175, v40
	s_delay_alu instid0(VALU_DEP_1) | instskip(NEXT) | instid1(VALU_DEP_1)
	v_and_b32_e32 v37, 0xf0f0f0f, v37
	v_lshlrev_b16 v40, 8, v37
	v_and_b32_e32 v43, 0xf00, v37
	v_lshrrev_b32_e32 v37, 16, v37
	s_delay_alu instid0(VALU_DEP_3) | instskip(NEXT) | instid1(VALU_DEP_1)
	v_add_nc_u16 v40, 0xf800, v40
	v_lshrrev_b16 v40, 8, v40
	s_delay_alu instid0(VALU_DEP_1) | instskip(NEXT) | instid1(VALU_DEP_4)
	v_or_b32_e32 v40, v43, v40
	v_lshlrev_b16 v43, 8, v37
	v_and_b32_e32 v37, 0xf00, v37
	s_delay_alu instid0(VALU_DEP_3) | instskip(NEXT) | instid1(VALU_DEP_3)
	v_add_nc_u16 v40, 0xf800, v40
	v_add_nc_u16 v43, 0xf800, v43
	s_delay_alu instid0(VALU_DEP_1) | instskip(NEXT) | instid1(VALU_DEP_1)
	v_lshrrev_b16 v43, 8, v43
	v_or_b32_e32 v37, v37, v43
	s_delay_alu instid0(VALU_DEP_4) | instskip(SKIP_1) | instid1(VALU_DEP_3)
	v_lshrrev_b32_e32 v43, 8, v40
	v_bfe_i32 v40, v40, 0, 8
	v_add_nc_u16 v37, 0xf800, v37
	s_delay_alu instid0(VALU_DEP_3) | instskip(NEXT) | instid1(VALU_DEP_3)
	v_bfe_i32 v43, v43, 0, 8
	v_cvt_f16_i16_e32 v40, v40
	s_delay_alu instid0(VALU_DEP_2) | instskip(NEXT) | instid1(VALU_DEP_1)
	v_cvt_f16_i16_e32 v43, v43
	v_pack_b32_f16 v40, v40, v43
	v_lshrrev_b32_e32 v43, 8, v37
	v_bfe_i32 v37, v37, 0, 8
	s_delay_alu instid0(VALU_DEP_3) | instskip(NEXT) | instid1(VALU_DEP_3)
	v_pk_mul_f16 v44, v40, v41
	v_bfe_i32 v43, v43, 0, 8
	s_delay_alu instid0(VALU_DEP_3) | instskip(SKIP_1) | instid1(VALU_DEP_3)
	v_cvt_f16_i16_e32 v37, v37
	v_ashrrev_i32_e32 v40, v175, v42
	v_cvt_f16_i16_e32 v43, v43
	s_delay_alu instid0(VALU_DEP_2) | instskip(NEXT) | instid1(VALU_DEP_2)
	v_and_b32_e32 v40, 0xf0f0f0f, v40
	v_pack_b32_f16 v37, v37, v43
	s_delay_alu instid0(VALU_DEP_2) | instskip(NEXT) | instid1(VALU_DEP_2)
	v_and_b32_e32 v42, 0xf00, v40
	v_pk_mul_f16 v37, v37, v41
	v_lshlrev_b16 v41, 8, v40
	v_lshrrev_b32_e32 v40, 16, v40
	s_delay_alu instid0(VALU_DEP_2) | instskip(NEXT) | instid1(VALU_DEP_1)
	v_add_nc_u16 v41, 0xf800, v41
	v_lshrrev_b16 v41, 8, v41
	s_delay_alu instid0(VALU_DEP_1) | instskip(NEXT) | instid1(VALU_DEP_4)
	v_or_b32_e32 v41, v42, v41
	v_lshlrev_b16 v42, 8, v40
	v_and_b32_e32 v40, 0xf00, v40
	s_delay_alu instid0(VALU_DEP_3) | instskip(NEXT) | instid1(VALU_DEP_3)
	v_add_nc_u16 v41, 0xf800, v41
	v_add_nc_u16 v42, 0xf800, v42
	s_delay_alu instid0(VALU_DEP_1) | instskip(NEXT) | instid1(VALU_DEP_1)
	v_lshrrev_b16 v42, 8, v42
	v_or_b32_e32 v40, v40, v42
	s_delay_alu instid0(VALU_DEP_4) | instskip(SKIP_1) | instid1(VALU_DEP_3)
	v_lshrrev_b32_e32 v42, 8, v41
	v_bfe_i32 v41, v41, 0, 8
	v_add_nc_u16 v40, 0xf800, v40
	s_delay_alu instid0(VALU_DEP_3) | instskip(NEXT) | instid1(VALU_DEP_3)
	v_bfe_i32 v42, v42, 0, 8
	v_cvt_f16_i16_e32 v41, v41
	s_delay_alu instid0(VALU_DEP_2) | instskip(NEXT) | instid1(VALU_DEP_1)
	v_cvt_f16_i16_e32 v42, v42
	v_pack_b32_f16 v41, v41, v42
	v_lshrrev_b32_e32 v42, 8, v40
	v_bfe_i32 v40, v40, 0, 8
	s_delay_alu instid0(VALU_DEP_2) | instskip(NEXT) | instid1(VALU_DEP_2)
	v_bfe_i32 v42, v42, 0, 8
	v_cvt_f16_i16_e32 v40, v40
	s_delay_alu instid0(VALU_DEP_2) | instskip(NEXT) | instid1(VALU_DEP_1)
	v_cvt_f16_i16_e32 v42, v42
	v_pack_b32_f16 v40, v40, v42
	s_wait_loadcnt 0x0
	v_mul_u32_u24_e32 v36, 0x10001, v36
	s_delay_alu instid0(VALU_DEP_1) | instskip(NEXT) | instid1(VALU_DEP_3)
	v_pk_mul_f16 v45, v41, v36
	v_pk_mul_f16 v46, v40, v36
	v_mul_u32_u24_e32 v36, 0x10001, v38
	s_delay_alu instid0(VALU_DEP_1) | instskip(SKIP_4) | instid1(VALU_DEP_1)
	v_pk_fma_f16 v40, v44, v36, v48
	v_pk_fma_f16 v41, v37, v36, v49
	;; [unrolled: 1-line block ×4, first 2 shown]
	v_lshrrev_b32_e32 v36, 16, v39
	v_mul_u32_u24_e32 v39, 0x10001, v36
	s_delay_alu instid0(VALU_DEP_1)
	v_pk_fma_f16 v36, v44, v39, v32
	v_pk_fma_f16 v37, v37, v39, v33
	;; [unrolled: 1-line block ×4, first 2 shown]
	ds_store_b128 v127, v[32:35] offset:16
	ds_store_b128 v127, v[40:43]
	ds_store_b128 v127, v[36:39] offset:16
	s_clause 0x2
	scratch_load_b64 v[32:33], off, off offset:644 th:TH_LOAD_LU
	scratch_load_b32 v20, off, off offset:656 th:TH_LOAD_LU
	scratch_load_b32 v21, off, off offset:668 th:TH_LOAD_LU
	s_wait_loadcnt 0x0
	v_fma_f32 v32, v20, v32, v21
	s_clause 0x1
	scratch_load_b32 v20, off, off offset:660 th:TH_LOAD_LU
	scratch_load_b32 v21, off, off offset:664 th:TH_LOAD_LU
	s_wait_loadcnt 0x0
	v_fma_f32 v33, v20, v33, v21
	scratch_load_b32 v20, off, off offset:4 ; 4-byte Folded Reload
	scratch_store_b64 off, v[32:33], off offset:644 ; 8-byte Folded Spill
	scratch_load_b32 v32, off, off offset:12 ; 4-byte Folded Reload
	s_wait_loadcnt 0x0
	v_add_co_u32 v32, vcc_lo, v32, s10
	scratch_store_b32 off, v32, off offset:12 ; 4-byte Folded Spill
	scratch_load_b32 v32, off, off offset:16 ; 4-byte Folded Reload
	s_wait_loadcnt 0x0
	s_wait_alu 0xfffd
	v_add_co_ci_u32_e64 v32, null, 0, v32, vcc_lo
	scratch_store_b32 off, v32, off offset:16 ; 4-byte Folded Spill
	scratch_load_b32 v32, off, off offset:252 ; 4-byte Folded Reload
	s_wait_loadcnt 0x0
	v_add_co_u32 v32, vcc_lo, v32, s6
	scratch_store_b32 off, v32, off offset:252 ; 4-byte Folded Spill
	scratch_load_b32 v32, off, off offset:256 ; 4-byte Folded Reload
	s_wait_loadcnt 0x0
	s_wait_alu 0xfffd
	v_add_co_ci_u32_e64 v32, null, s7, v32, vcc_lo
	scratch_store_b32 off, v32, off offset:256 ; 4-byte Folded Spill
	scratch_load_b32 v32, off, off offset:20 ; 4-byte Folded Reload
	s_wait_loadcnt 0x0
	v_add_co_u32 v32, vcc_lo, v32, s6
	scratch_store_b32 off, v32, off offset:20 ; 4-byte Folded Spill
	scratch_load_b32 v32, off, off offset:24 ; 4-byte Folded Reload
	s_wait_loadcnt 0x0
	s_wait_alu 0xfffd
	v_add_co_ci_u32_e64 v32, null, s7, v32, vcc_lo
	v_add_co_u32 v20, vcc_lo, v20, s6
	scratch_store_b32 off, v32, off offset:24 ; 4-byte Folded Spill
	scratch_load_b32 v32, off, off offset:28 ; 4-byte Folded Reload
	scratch_store_b32 off, v20, off offset:4 ; 4-byte Folded Spill
	scratch_load_b32 v20, off, off offset:8 ; 4-byte Folded Reload
	s_wait_loadcnt 0x0
	s_wait_alu 0xfffd
	v_add_co_ci_u32_e64 v20, null, s7, v20, vcc_lo
	v_add_co_u32 v27, vcc_lo, v27, s11
	s_wait_alu 0xfffd
	v_add_co_ci_u32_e64 v24, null, 0, v24, vcc_lo
	v_add_co_u32 v191, vcc_lo, v191, s11
	;; [unrolled: 3-line block ×3, first 2 shown]
	s_clause 0x2
	scratch_store_b32 off, v20, off offset:8
	scratch_store_b32 off, v27, off offset:664
	scratch_store_b32 off, v26, off offset:676
	s_wait_alu 0xfffd
	v_add_co_ci_u32_e64 v54, null, 0, v54, vcc_lo
	scratch_load_b32 v20, off, off          ; 4-byte Folded Reload
	v_add_co_u32 v32, vcc_lo, v32, s10
	s_clause 0x3
	scratch_store_b32 off, v24, off offset:668
	scratch_store_b32 off, v248, off offset:680
	;; [unrolled: 1-line block ×4, first 2 shown]
	scratch_load_b32 v32, off, off offset:32 ; 4-byte Folded Reload
	v_mov_b32_e32 v24, v0
	v_dual_mov_b32 v26, v1 :: v_dual_mov_b32 v27, v30
	v_dual_mov_b32 v30, v31 :: v_dual_mov_b32 v31, v139
	v_mov_b32_e32 v139, v196
	s_wait_loadcnt 0x0
	s_wait_alu 0xfffd
	v_add_co_ci_u32_e64 v32, null, 0, v32, vcc_lo
	v_add_co_u32 v20, vcc_lo, v20, s10
	s_clause 0x2
	scratch_store_b32 off, v191, off offset:672
	scratch_store_b32 off, v32, off offset:32
	scratch_store_b32 off, v20, off
	s_clause 0x4
	scratch_load_b32 v191, off, off offset:240 th:TH_LOAD_LU
	scratch_load_b32 v251, off, off offset:864 th:TH_LOAD_LU
	;; [unrolled: 1-line block ×5, first 2 shown]
	s_wait_loadcnt 0x3
	s_wait_alu 0xfffd
	v_add_co_ci_u32_e64 v251, null, 0, v251, vcc_lo
	v_add_co_u32 v135, vcc_lo, v135, s11
	s_wait_alu 0xfffd
	v_add_co_ci_u32_e64 v18, null, 0, v18, vcc_lo
	v_add_co_u32 v254, vcc_lo, v254, s11
	s_clause 0x1
	scratch_store_b32 off, v135, off offset:656
	scratch_store_b32 off, v18, off offset:660
	scratch_load_b32 v135, off, off offset:880 th:TH_LOAD_LU ; 4-byte Folded Reload
	s_wait_alu 0xfffd
	v_add_co_ci_u32_e64 v255, null, 0, v255, vcc_lo
	v_add_co_u32 v123, vcc_lo, v123, s11
	s_wait_alu 0xfffd
	v_add_co_ci_u32_e64 v122, null, 0, v122, vcc_lo
	v_add_co_u32 v124, vcc_lo, v124, s11
	;; [unrolled: 3-line block ×5, first 2 shown]
	s_wait_alu 0xfffd
	v_add_co_ci_u32_e64 v133, null, 0, v133, vcc_lo
	s_wait_loadcnt 0x1
	v_add_co_u32 v134, vcc_lo, v134, s10
	s_clause 0x9
	scratch_load_b32 v232, off, off offset:216 th:TH_LOAD_LU
	scratch_load_b32 v118, off, off offset:204 th:TH_LOAD_LU
	;; [unrolled: 1-line block ×10, first 2 shown]
	v_mov_b32_e32 v18, v140
	s_clause 0x5
	scratch_load_b32 v186, off, off offset:44 th:TH_LOAD_LU
	scratch_load_b32 v187, off, off offset:48 th:TH_LOAD_LU
	;; [unrolled: 1-line block ×6, first 2 shown]
	v_dual_mov_b32 v140, v143 :: v_dual_mov_b32 v143, v144
	v_dual_mov_b32 v144, v145 :: v_dual_mov_b32 v145, v146
	;; [unrolled: 1-line block ×11, first 2 shown]
	v_mov_b32_e32 v15, v6
	s_clause 0x1d
	scratch_load_b32 v226, off, off offset:68 th:TH_LOAD_LU
	scratch_load_b32 v6, off, off offset:100 th:TH_LOAD_LU
	;; [unrolled: 1-line block ×29, first 2 shown]
	scratch_load_b64 v[35:36], off, off offset:1132
	s_wait_loadcnt 0x2e
	s_wait_alu 0xfffd
	v_add_co_ci_u32_e64 v135, null, 0, v135, vcc_lo
	v_add_co_u32 v52, vcc_lo, v52, s11
	s_wait_alu 0xfffd
	v_add_co_ci_u32_e64 v211, null, 0, v211, vcc_lo
	v_add_co_u32 v53, vcc_lo, v53, s11
	;; [unrolled: 3-line block ×43, first 2 shown]
	scratch_load_b32 v178, off, off offset:36 th:TH_LOAD_LU ; 4-byte Folded Reload
	s_wait_alu 0xfffd
	v_add_co_ci_u32_e64 v130, null, 0, v130, vcc_lo
	v_add_co_u32 v141, vcc_lo, v141, s11
	s_wait_alu 0xfffd
	v_add_co_ci_u32_e64 v194, null, 0, v194, vcc_lo
	v_add_co_u32 v19, vcc_lo, v19, s11
	;; [unrolled: 3-line block ×3, first 2 shown]
	s_wait_alu 0xfffd
	v_add_co_ci_u32_e64 v23, null, 0, v185, vcc_lo
	scratch_load_b32 v185, off, off offset:40 th:TH_LOAD_LU ; 4-byte Folded Reload
	v_add_co_u32 v116, vcc_lo, v116, s11
	s_wait_alu 0xfffd
	v_add_co_ci_u32_e64 v24, null, 0, v24, vcc_lo
	v_add_co_u32 v26, vcc_lo, v26, s11
	s_wait_alu 0xfffd
	v_add_co_ci_u32_e64 v27, null, 0, v27, vcc_lo
	v_add_co_u32 v250, vcc_lo, v250, s11
	s_wait_alu 0xfffd
	v_add_co_ci_u32_e64 v30, null, 0, v30, vcc_lo
	v_add_co_u32 v252, vcc_lo, v252, s11
	s_wait_alu 0xfffd
	v_add_co_ci_u32_e64 v253, null, 0, v253, vcc_lo
	v_add_co_u32 v31, vcc_lo, v31, s11
	s_wait_alu 0xfffd
	v_add_co_ci_u32_e64 v139, null, 0, v139, vcc_lo
	v_add_co_u32 v195, vcc_lo, v195, s11
	s_wait_alu 0xfffd
	v_add_co_ci_u32_e64 v138, null, 0, v138, vcc_lo
	v_add_co_u32 v140, vcc_lo, v140, s11
	s_wait_alu 0xfffd
	v_add_co_ci_u32_e64 v143, null, 0, v143, vcc_lo
	v_add_co_u32 v144, vcc_lo, v144, s11
	s_wait_alu 0xfffd
	v_add_co_ci_u32_e64 v145, null, 0, v145, vcc_lo
	v_add_co_u32 v146, vcc_lo, v146, s11
	s_wait_alu 0xfffd
	v_add_co_ci_u32_e64 v147, null, 0, v147, vcc_lo
	v_add_co_u32 v148, vcc_lo, v148, s11
	s_wait_alu 0xfffd
	v_add_co_ci_u32_e64 v149, null, 0, v149, vcc_lo
	v_add_co_u32 v150, vcc_lo, v150, s11
	s_wait_alu 0xfffd
	v_add_co_ci_u32_e64 v151, null, 0, v151, vcc_lo
	v_add_co_u32 v152, vcc_lo, v152, s11
	s_wait_alu 0xfffd
	v_add_co_ci_u32_e64 v153, null, 0, v153, vcc_lo
	v_add_co_u32 v154, vcc_lo, v154, s11
	s_wait_alu 0xfffd
	v_add_co_ci_u32_e64 v155, null, 0, v155, vcc_lo
	v_add_co_u32 v156, vcc_lo, v156, s11
	s_wait_alu 0xfffd
	v_add_co_ci_u32_e64 v157, null, 0, v157, vcc_lo
	v_add_co_u32 v158, vcc_lo, v158, s11
	s_wait_alu 0xfffd
	v_add_co_ci_u32_e64 v159, null, 0, v159, vcc_lo
	v_add_co_u32 v160, vcc_lo, v160, s11
	s_wait_alu 0xfffd
	v_add_co_ci_u32_e64 v161, null, 0, v161, vcc_lo
	v_add_co_u32 v162, vcc_lo, v162, s11
	s_wait_alu 0xfffd
	v_add_co_ci_u32_e64 v163, null, 0, v163, vcc_lo
	v_add_co_u32 v164, vcc_lo, v164, s11
	s_wait_alu 0xfffd
	v_add_co_ci_u32_e64 v165, null, 0, v165, vcc_lo
	v_add_co_u32 v166, vcc_lo, v166, s11
	s_wait_alu 0xfffd
	v_add_co_ci_u32_e64 v167, null, 0, v167, vcc_lo
	v_add_co_u32 v168, vcc_lo, v168, s11
	s_wait_alu 0xfffd
	v_add_co_ci_u32_e64 v169, null, 0, v169, vcc_lo
	v_add_co_u32 v170, vcc_lo, v170, s11
	s_wait_alu 0xfffd
	v_add_co_ci_u32_e64 v171, null, 0, v171, vcc_lo
	v_add_co_u32 v172, vcc_lo, v172, s11
	s_wait_alu 0xfffd
	v_add_co_ci_u32_e64 v173, null, 0, v173, vcc_lo
	v_add_co_u32 v174, vcc_lo, v174, s11
	s_wait_alu 0xfffd
	v_add_co_ci_u32_e64 v136, null, 0, v136, vcc_lo
	v_add_co_u32 v3, vcc_lo, v3, s11
	s_wait_alu 0xfffd
	v_add_co_ci_u32_e64 v22, null, 0, v22, vcc_lo
	v_add_co_u32 v176, vcc_lo, v176, s11
	s_wait_alu 0xfffd
	v_add_co_ci_u32_e64 v177, null, 0, v177, vcc_lo
	v_add_co_u32 v220, vcc_lo, v220, s11
	s_wait_alu 0xfffd
	v_add_co_ci_u32_e64 v15, null, 0, v15, vcc_lo
	s_wait_loadcnt 0x1
	v_add_co_u32 v178, vcc_lo, v178, s11
	s_wait_alu 0xfffd
	v_add_co_ci_u32_e64 v179, null, 0, v179, vcc_lo
	v_add_co_u32 v180, vcc_lo, v180, s11
	s_wait_alu 0xfffd
	v_add_co_ci_u32_e64 v181, null, 0, v181, vcc_lo
	;; [unrolled: 3-line block ×3, first 2 shown]
	v_add_co_u32 v184, vcc_lo, v184, s11
	s_wait_loadcnt 0x0
	s_wait_alu 0xfffd
	v_add_co_ci_u32_e64 v185, null, 0, v185, vcc_lo
	v_add_co_u32 v186, vcc_lo, v186, s11
	s_wait_alu 0xfffd
	v_add_co_ci_u32_e64 v187, null, 0, v187, vcc_lo
	v_add_co_u32 v2, vcc_lo, v2, s11
	;; [unrolled: 3-line block ×11, first 2 shown]
	s_clause 0x1
	scratch_load_b32 v5, off, off offset:96 th:TH_LOAD_LU
	scratch_load_b32 v10, off, off offset:116 th:TH_LOAD_LU
	s_wait_alu 0xfffd
	v_add_co_ci_u32_e64 v1, null, 0, v9, vcc_lo
	v_add_co_u32 v210, vcc_lo, v210, s11
	s_wait_alu 0xfffd
	v_add_co_ci_u32_e64 v218, null, 0, v218, vcc_lo
	v_add_co_u32 v219, vcc_lo, v219, s11
	scratch_load_b32 v9, off, off offset:112 th:TH_LOAD_LU ; 4-byte Folded Reload
	s_wait_alu 0xfffd
	v_add_co_ci_u32_e64 v215, null, 0, v215, vcc_lo
	v_add_co_u32 v235, vcc_lo, v11, s11
	scratch_load_b32 v11, off, off offset:120 th:TH_LOAD_LU ; 4-byte Folded Reload
	s_wait_alu 0xfffd
	v_add_co_ci_u32_e64 v238, null, 0, v238, vcc_lo
	v_add_co_u32 v221, vcc_lo, v221, s11
	s_wait_alu 0xfffd
	v_add_co_ci_u32_e64 v222, null, 0, v222, vcc_lo
	v_add_co_u32 v226, vcc_lo, v226, s11
	;; [unrolled: 3-line block ×5, first 2 shown]
	s_wait_alu 0xfffd
	v_add_co_ci_u32_e64 v21, null, 0, v21, vcc_lo
	s_wait_loadcnt 0x3
	v_add_co_u32 v5, vcc_lo, v5, s11
	s_wait_alu 0xfffd
	v_add_co_ci_u32_e64 v6, null, 0, v6, vcc_lo
	v_add_co_u32 v7, vcc_lo, v7, s11
	s_wait_alu 0xfffd
	v_add_co_ci_u32_e64 v8, null, 0, v8, vcc_lo
	s_wait_loadcnt 0x1
	v_add_co_u32 v9, vcc_lo, v9, s11
	s_wait_alu 0xfffd
	v_add_co_ci_u32_e64 v10, null, 0, v10, vcc_lo
	s_wait_loadcnt 0x0
	v_add_co_u32 v11, vcc_lo, v11, s11
	s_wait_alu 0xfffd
	v_add_co_ci_u32_e64 v12, null, 0, v12, vcc_lo
	v_add_co_u32 v13, vcc_lo, v13, s11
	s_wait_alu 0xfffd
	v_add_co_ci_u32_e64 v14, null, 0, v14, vcc_lo
	;; [unrolled: 3-line block ×20, first 2 shown]
	s_cbranch_scc1 .LBB28_32
.LBB28_22:                              ; =>This Inner Loop Header: Depth=1
	s_clause 0x1f
	scratch_store_b32 off, v164, off offset:940
	scratch_store_b32 off, v165, off offset:936
	scratch_store_b32 off, v166, off offset:932
	scratch_store_b32 off, v167, off offset:928
	scratch_store_b32 off, v168, off offset:924
	scratch_store_b32 off, v169, off offset:920
	scratch_store_b32 off, v170, off offset:916
	scratch_store_b32 off, v171, off offset:912
	scratch_store_b32 off, v172, off offset:908
	scratch_store_b32 off, v173, off offset:884
	scratch_store_b32 off, v174, off offset:876
	scratch_store_b32 off, v136, off offset:868
	scratch_store_b32 off, v246, off offset:860
	scratch_store_b32 off, v245, off offset:856
	scratch_store_b32 off, v33, off offset:248
	scratch_store_b32 off, v32, off offset:244
	scratch_store_b32 off, v191, off offset:240
	scratch_store_b32 off, v49, off offset:236
	scratch_store_b32 off, v175, off offset:232
	scratch_store_b32 off, v244, off offset:852
	scratch_store_b32 off, v93, off offset:848
	scratch_store_b32 off, v243, off offset:228
	scratch_store_b32 off, v242, off offset:844
	scratch_store_b32 off, v212, off offset:840
	scratch_store_b32 off, v47, off offset:224
	scratch_store_b32 off, v45, off offset:220
	scratch_store_b32 off, v232, off offset:216
	scratch_store_b32 off, v119, off offset:836
	scratch_store_b32 off, v46, off offset:212
	scratch_store_b32 off, v44, off offset:208
	scratch_store_b32 off, v118, off offset:204
	scratch_store_b32 off, v217, off offset:200
	s_clause 0x1f
	scratch_store_b32 off, v43, off offset:196
	scratch_store_b32 off, v42, off offset:192
	scratch_store_b32 off, v216, off offset:188
	scratch_store_b32 off, v51, off offset:184
	scratch_store_b32 off, v41, off offset:180
	scratch_store_b32 off, v40, off offset:176
	scratch_store_b32 off, v50, off offset:172
	scratch_store_b32 off, v48, off offset:168
	scratch_store_b32 off, v39, off offset:164
	scratch_store_b32 off, v38, off offset:160
	scratch_store_b32 off, v37, off offset:156
	scratch_store_b32 off, v34, off offset:152
	scratch_store_b32 off, v28, off offset:148
	scratch_store_b32 off, v25, off offset:144
	scratch_store_b32 off, v29, off offset:140
	scratch_store_b32 off, v16, off offset:136
	scratch_store_b32 off, v14, off offset:132
	scratch_store_b32 off, v13, off offset:128
	scratch_store_b32 off, v12, off offset:124
	scratch_store_b32 off, v11, off offset:120
	scratch_store_b32 off, v10, off offset:116
	scratch_store_b32 off, v9, off offset:112
	scratch_store_b32 off, v8, off offset:108
	scratch_store_b32 off, v7, off offset:104
	scratch_store_b32 off, v6, off offset:100
	scratch_store_b32 off, v5, off offset:96
	scratch_store_b32 off, v21, off offset:92
	scratch_store_b32 off, v20, off offset:88
	scratch_store_b32 off, v213, off offset:84
	scratch_store_b32 off, v214, off offset:80
	scratch_store_b32 off, v17, off offset:76
	scratch_store_b32 off, v228, off offset:72
	s_clause 0x1f
	scratch_store_b32 off, v227, off offset:832
	scratch_store_b32 off, v226, off offset:68
	scratch_store_b32 off, v222, off offset:828
	scratch_store_b32 off, v221, off offset:824
	scratch_store_b32 off, v238, off offset:820
	scratch_store_b32 off, v235, off offset:816
	scratch_store_b32 off, v215, off offset:812
	scratch_store_b32 off, v219, off offset:808
	scratch_store_b32 off, v218, off offset:804
	scratch_store_b32 off, v210, off offset:800
	scratch_store_b32 off, v1, off offset:796
	scratch_store_b32 off, v0, off offset:792
	scratch_store_b32 off, v225, off offset:788
	scratch_store_b32 off, v208, off offset:784
	scratch_store_b32 off, v207, off offset:780
	scratch_store_b32 off, v206, off offset:776
	scratch_store_b32 off, v205, off offset:772
	scratch_store_b32 off, v204, off offset:768
	scratch_store_b32 off, v203, off offset:764
	scratch_store_b32 off, v202, off offset:760
	scratch_store_b32 off, v201, off offset:756
	scratch_store_b32 off, v200, off offset:752
	scratch_store_b32 off, v199, off offset:748
	scratch_store_b32 off, v198, off offset:744
	scratch_store_b32 off, v197, off offset:740
	scratch_store_b32 off, v196, off offset:736
	scratch_store_b32 off, v190, off offset:64
	scratch_store_b32 off, v189, off offset:60
	scratch_store_b32 off, v188, off offset:56
	scratch_store_b32 off, v2, off offset:52
	scratch_store_b32 off, v187, off offset:48
	scratch_store_b32 off, v186, off offset:44
	s_clause 0xd
	scratch_store_b32 off, v185, off offset:40
	scratch_store_b32 off, v184, off offset:732
	;; [unrolled: 1-line block ×14, first 2 shown]
	v_add_co_u32 v37, vcc_lo, v134, s9
	s_wait_alu 0xfffd
	v_add_co_ci_u32_e64 v38, null, 0, v135, vcc_lo
	v_dual_mov_b32 v164, v138 :: v_dual_mov_b32 v29, v252
	v_dual_mov_b32 v166, v253 :: v_dual_mov_b32 v13, v131
	;; [unrolled: 1-line block ×4, first 2 shown]
	v_mov_b32_e32 v8, v86
	v_dual_mov_b32 v2, v233 :: v_dual_mov_b32 v131, v115
	v_dual_mov_b32 v0, v209 :: v_dual_mov_b32 v115, v114
	v_mov_b32_e32 v130, v224
	v_dual_mov_b32 v114, v113 :: v_dual_mov_b32 v113, v111
	v_dual_mov_b32 v111, v248 :: v_dual_mov_b32 v94, v92
	;; [unrolled: 1-line block ×3, first 2 shown]
	v_mov_b32_e32 v90, v88
	v_mov_b32_e32 v88, v234
	;; [unrolled: 1-line block ×3, first 2 shown]
	v_dual_mov_b32 v84, v83 :: v_dual_mov_b32 v83, v82
	v_dual_mov_b32 v82, v81 :: v_dual_mov_b32 v81, v80
	;; [unrolled: 1-line block ×12, first 2 shown]
	s_clause 0x9
	scratch_load_b32 v253, off, off offset:660
	scratch_load_b32 v252, off, off offset:656
	;; [unrolled: 1-line block ×10, first 2 shown]
	global_load_b32 v39, v[37:38], off offset:-140
	scratch_load_b32 v32, off, off          ; 4-byte Folded Reload
	v_dual_mov_b32 v138, v195 :: v_dual_mov_b32 v167, v250
	v_dual_mov_b32 v61, v60 :: v_dual_mov_b32 v60, v59
	;; [unrolled: 1-line block ×12, first 2 shown]
	v_mov_b32_e32 v129, v231
	v_mov_b32_e32 v97, v95
	v_mov_b32_e32 v95, v236
	v_mov_b32_e32 v139, v251
	s_wait_loadcnt 0x1
	v_cvt_f32_f16_e64 v200, v39
	s_wait_loadcnt 0x0
	v_mov_b32_e32 v250, v32
	v_add_co_u32 v32, vcc_lo, v32, s9
	s_wait_alu 0xfffd
	v_add_co_ci_u32_e64 v33, null, 0, v251, vcc_lo
	s_clause 0x1
	global_load_b32 v34, v[32:33], off offset:4
	global_load_b32 v40, v[32:33], off offset:12
	global_load_b32 v41, v[37:38], off offset:-120
	s_clause 0x1
	global_load_b32 v42, v[32:33], off offset:24
	global_load_b32 v43, v[32:33], off offset:32
	s_clause 0x5
	global_load_b32 v44, v[37:38], off offset:-100
	global_load_b32 v45, v[37:38], off offset:-80
	;; [unrolled: 1-line block ×5, first 2 shown]
	global_load_b32 v205, v[37:38], off
	v_lshrrev_b32_e32 v37, 16, v39
	s_clause 0x3
	global_load_b32 v38, v[32:33], off offset:44
	global_load_b32 v39, v[32:33], off offset:52
	;; [unrolled: 1-line block ×4, first 2 shown]
	s_clause 0x1
	scratch_load_b64 v[118:119], off, off offset:260
	scratch_load_b128 v[176:179], off, off offset:292
	v_mov_b32_e32 v56, v239
	v_cvt_f32_f16_e64 v204, v37
	v_mov_b32_e32 v136, v134
	s_and_not1_b32 vcc_lo, exec_lo, s87
	scratch_load_b32 v241, off, off offset:1164 ; 4-byte Folded Reload
	s_wait_loadcnt 0x11
	v_and_b32_e32 v203, 0xf0f0f0f, v34
	v_lshrrev_b32_e32 v34, 4, v34
	v_mov_b32_e32 v54, v53
	s_wait_loadcnt 0x10
	v_lshrrev_b32_e32 v50, 4, v40
	s_wait_loadcnt 0xf
	v_cvt_f32_f16_e64 v194, v41
	v_mov_b32_e32 v132, v240
	s_wait_loadcnt 0xb
	v_cvt_f32_f16_e64 v182, v45
	v_and_b32_e32 v202, 0xf0f0f0f, v40
	v_and_b32_e32 v201, 0xf0f0f0f, v34
	;; [unrolled: 1-line block ×3, first 2 shown]
	s_wait_loadcnt 0x5
	v_and_b32_e32 v191, 0xf0f0f0f, v39
	v_and_b32_e32 v196, 0xf0f0f0f, v42
	;; [unrolled: 1-line block ×3, first 2 shown]
	s_wait_loadcnt 0x2
	v_dot4_i32_iu8 v34, v203, v118, 0 neg_lo:[1,1,0]
	v_dot4_i32_iu8 v37, v202, v119, 0 neg_lo:[1,1,0]
	scratch_load_b64 v[118:119], off, off offset:268 ; 8-byte Folded Reload
	s_wait_loadcnt 0x2
	v_mul_f32_e32 v40, v177, v204
	v_cvt_f32_f16_e64 v188, v44
	v_cvt_f32_i32_e32 v34, v34
	v_cvt_f32_i32_e32 v37, v37
	s_delay_alu instid0(VALU_DEP_4)
	v_dual_mov_b32 v53, v211 :: v_dual_mul_f32 v206, 0x3e000000, v40
	v_and_b32_e32 v190, 0xf0f0f0f, v38
	v_and_b32_e32 v184, 0xf0f0f0f, v48
	;; [unrolled: 1-line block ×3, first 2 shown]
	s_wait_loadcnt 0x0
	v_dot4_i32_iu8 v40, v201, v118, 0 neg_lo:[1,1,0]
	v_mul_f32_e32 v118, v176, v200
	v_dot4_i32_iu8 v50, v199, v119, 0 neg_lo:[1,1,0]
	v_cvt_f32_f16_e64 v176, v46
	s_delay_alu instid0(VALU_DEP_4) | instskip(NEXT) | instid1(VALU_DEP_4)
	v_cvt_f32_i32_e32 v40, v40
	v_fma_f32 v207, v118, v34, v206
	v_lshrrev_b32_e32 v34, 16, v41
	v_cvt_f32_i32_e32 v50, v50
	v_fma_f32 v208, v118, v37, v206
	v_fma_f32 v209, v118, v40, v206
	v_lshrrev_b32_e32 v40, 4, v43
	v_cvt_f32_f16_e64 v198, v34
	v_fmac_f32_e32 v206, v118, v50
	v_lshrrev_b32_e32 v37, 4, v42
	scratch_load_b64 v[118:119], off, off offset:364 ; 8-byte Folded Reload
	v_and_b32_e32 v193, 0xf0f0f0f, v40
	scratch_load_b64 v[40:41], off, off offset:276 ; 8-byte Folded Reload
	v_dual_mov_b32 v174, v135 :: v_dual_and_b32 v195, 0xf0f0f0f, v37
	v_dual_mul_f32 v42, v178, v194 :: v_dual_add_f32 v207, 0, v207
	s_delay_alu instid0(VALU_DEP_1) | instskip(NEXT) | instid1(VALU_DEP_1)
	v_add_f32_e32 v207, v207, v208
	v_add_f32_e32 v207, v207, v209
	s_wait_loadcnt 0x0
	v_dot4_i32_iu8 v34, v196, v40, 0 neg_lo:[1,1,0]
	v_mul_f32_e32 v40, v179, v198
	v_dot4_i32_iu8 v37, v197, v41, 0 neg_lo:[1,1,0]
	s_delay_alu instid0(VALU_DEP_3) | instskip(NEXT) | instid1(VALU_DEP_3)
	v_cvt_f32_i32_e32 v34, v34
	v_mul_f32_e32 v210, 0x3e000000, v40
	scratch_load_b64 v[40:41], off, off offset:284 ; 8-byte Folded Reload
	v_cvt_f32_i32_e32 v37, v37
	v_fma_f32 v211, v42, v34, v210
	v_lshrrev_b32_e32 v34, 16, v44
	s_delay_alu instid0(VALU_DEP_3) | instskip(SKIP_2) | instid1(VALU_DEP_4)
	v_fma_f32 v212, v42, v37, v210
	v_lshrrev_b32_e32 v37, 4, v38
	v_lshrrev_b32_e32 v38, 4, v39
	v_cvt_f32_f16_e64 v192, v34
	s_delay_alu instid0(VALU_DEP_3) | instskip(NEXT) | instid1(VALU_DEP_3)
	v_and_b32_e32 v189, 0xf0f0f0f, v37
	v_and_b32_e32 v187, 0xf0f0f0f, v38
	scratch_load_b64 v[37:38], off, off offset:356 ; 8-byte Folded Reload
	s_wait_loadcnt 0x1
	v_dot4_i32_iu8 v40, v195, v40, 0 neg_lo:[1,1,0]
	v_dot4_i32_iu8 v41, v193, v41, 0 neg_lo:[1,1,0]
	s_delay_alu instid0(VALU_DEP_2) | instskip(NEXT) | instid1(VALU_DEP_2)
	v_cvt_f32_i32_e32 v40, v40
	v_cvt_f32_i32_e32 v41, v41
	s_delay_alu instid0(VALU_DEP_2) | instskip(NEXT) | instid1(VALU_DEP_2)
	v_fma_f32 v213, v42, v40, v210
	v_fmac_f32_e32 v210, v42, v41
	scratch_load_b128 v[41:44], off, off offset:308 ; 16-byte Folded Reload
	s_wait_loadcnt 0x1
	v_dot4_i32_iu8 v34, v190, v37, 0 neg_lo:[1,1,0]
	v_dot4_i32_iu8 v37, v191, v38, 0 neg_lo:[1,1,0]
	s_delay_alu instid0(VALU_DEP_2) | instskip(NEXT) | instid1(VALU_DEP_2)
	v_cvt_f32_i32_e32 v34, v34
	v_cvt_f32_i32_e32 v37, v37
	s_wait_loadcnt 0x0
	v_mul_f32_e32 v38, v42, v192
	v_mul_f32_e32 v41, v41, v188
	v_dot4_i32_iu8 v40, v187, v119, 0 neg_lo:[1,1,0]
	v_add_f32_e32 v206, v207, v206
	s_delay_alu instid0(VALU_DEP_4) | instskip(SKIP_1) | instid1(VALU_DEP_4)
	v_mul_f32_e32 v39, 0x3e000000, v38
	v_dot4_i32_iu8 v38, v189, v118, 0 neg_lo:[1,1,0]
	v_cvt_f32_i32_e32 v40, v40
	s_delay_alu instid0(VALU_DEP_4) | instskip(NEXT) | instid1(VALU_DEP_4)
	v_dual_add_f32 v206, v206, v211 :: v_dual_mov_b32 v211, v241
	v_fma_f32 v215, v41, v37, v39
	s_delay_alu instid0(VALU_DEP_4) | instskip(SKIP_3) | instid1(VALU_DEP_4)
	v_cvt_f32_i32_e32 v38, v38
	v_lshrrev_b32_e32 v37, 4, v48
	v_fma_f32 v214, v41, v34, v39
	v_lshrrev_b32_e32 v34, 16, v45
	v_fma_f32 v216, v41, v38, v39
	v_lshrrev_b32_e32 v38, 4, v49
	v_and_b32_e32 v183, 0xf0f0f0f, v37
	v_fmac_f32_e32 v39, v41, v40
	scratch_load_b64 v[40:41], off, off offset:380 ; 8-byte Folded Reload
	v_cvt_f32_f16_e64 v186, v34
	v_and_b32_e32 v180, 0xf0f0f0f, v38
	scratch_load_b64 v[37:38], off, off offset:372 ; 8-byte Folded Reload
	s_wait_loadcnt 0x0
	v_dot4_i32_iu8 v34, v184, v37, 0 neg_lo:[1,1,0]
	v_dot4_i32_iu8 v37, v185, v38, 0 neg_lo:[1,1,0]
	v_mul_f32_e32 v38, v44, v186
	s_delay_alu instid0(VALU_DEP_3) | instskip(NEXT) | instid1(VALU_DEP_3)
	v_cvt_f32_i32_e32 v34, v34
	v_cvt_f32_i32_e32 v37, v37
	s_delay_alu instid0(VALU_DEP_3) | instskip(SKIP_3) | instid1(VALU_DEP_3)
	v_mul_f32_e32 v217, 0x3e000000, v38
	v_dot4_i32_iu8 v38, v183, v40, 0 neg_lo:[1,1,0]
	v_dot4_i32_iu8 v40, v180, v41, 0 neg_lo:[1,1,0]
	v_mul_f32_e32 v41, v43, v182
	v_cvt_f32_i32_e32 v38, v38
	s_delay_alu instid0(VALU_DEP_3) | instskip(NEXT) | instid1(VALU_DEP_3)
	v_cvt_f32_i32_e32 v40, v40
	v_fma_f32 v218, v41, v34, v217
	v_fma_f32 v219, v41, v37, v217
	s_delay_alu instid0(VALU_DEP_4) | instskip(NEXT) | instid1(VALU_DEP_4)
	v_fma_f32 v220, v41, v38, v217
	v_fmac_f32_e32 v217, v41, v40
	s_clause 0x7
	global_load_b32 v34, v[32:33], off offset:84
	global_load_b32 v37, v[32:33], off offset:92
	;; [unrolled: 1-line block ×8, first 2 shown]
	s_clause 0x1
	scratch_load_b128 v[225:228], off, off offset:324
	scratch_load_b128 v[237:240], off, off offset:340
	v_lshrrev_b32_e32 v32, 16, v46
	scratch_load_b64 v[234:235], off, off offset:436 ; 8-byte Folded Reload
	v_cvt_f32_f16_e32 v46, v51
	v_add_f32_e32 v206, v206, v212
	v_cvt_f32_f16_e64 v181, v32
	s_wait_loadcnt 0xa
	v_and_b32_e32 v178, 0xf0f0f0f, v34
	s_wait_loadcnt 0x9
	v_lshrrev_b32_e32 v43, 4, v37
	v_lshrrev_b32_e32 v34, 4, v34
	v_and_b32_e32 v179, 0xf0f0f0f, v37
	s_wait_loadcnt 0x8
	v_and_b32_e32 v48, 0xf0f0f0f, v38
	s_wait_loadcnt 0x7
	v_and_b32_e32 v49, 0xf0f0f0f, v40
	v_and_b32_e32 v119, 0xf0f0f0f, v43
	scratch_load_b64 v[43:44], off, off offset:388 ; 8-byte Folded Reload
	v_and_b32_e32 v177, 0xf0f0f0f, v34
	s_wait_loadcnt 0x3
	v_mul_f32_e32 v37, v226, v181
	s_delay_alu instid0(VALU_DEP_1)
	v_mul_f32_e32 v222, 0x3e000000, v37
	s_wait_loadcnt 0x0
	v_dot4_i32_iu8 v32, v178, v43, 0 neg_lo:[1,1,0]
	v_dot4_i32_iu8 v34, v179, v44, 0 neg_lo:[1,1,0]
	scratch_load_b64 v[43:44], off, off offset:396 ; 8-byte Folded Reload
	v_cvt_f32_i32_e32 v32, v32
	v_cvt_f32_i32_e32 v34, v34
	s_wait_loadcnt 0x0
	v_dot4_i32_iu8 v37, v177, v43, 0 neg_lo:[1,1,0]
	v_dot4_i32_iu8 v43, v119, v44, 0 neg_lo:[1,1,0]
	v_mul_f32_e32 v44, v225, v176
	s_delay_alu instid0(VALU_DEP_3) | instskip(NEXT) | instid1(VALU_DEP_3)
	v_cvt_f32_i32_e32 v37, v37
	v_cvt_f32_i32_e32 v43, v43
	s_delay_alu instid0(VALU_DEP_3)
	v_fma_f32 v223, v44, v32, v222
	v_fma_f32 v224, v44, v34, v222
	v_lshrrev_b32_e32 v34, 4, v38
	v_fma_f32 v225, v44, v37, v222
	v_fmac_f32_e32 v222, v44, v43
	v_cvt_f32_f16_e32 v44, v47
	v_lshrrev_b32_e32 v37, 4, v40
	v_lshrrev_b32_e32 v32, 16, v47
	v_and_b32_e32 v47, 0xf0f0f0f, v34
	s_delay_alu instid0(VALU_DEP_4) | instskip(NEXT) | instid1(VALU_DEP_4)
	v_dual_mul_f32 v43, v237, v46 :: v_dual_mul_f32 v40, v227, v44
	v_and_b32_e32 v45, 0xf0f0f0f, v37
	scratch_load_b64 v[37:38], off, off offset:404 ; 8-byte Folded Reload
	v_cvt_f32_f16_e32 v50, v32
	v_add_f32_e32 v206, v206, v213
	s_delay_alu instid0(VALU_DEP_1) | instskip(NEXT) | instid1(VALU_DEP_1)
	v_add_f32_e32 v206, v206, v210
	v_add_f32_e32 v206, v206, v214
	s_delay_alu instid0(VALU_DEP_1) | instskip(SKIP_4) | instid1(VALU_DEP_3)
	v_add_f32_e32 v206, v206, v215
	s_wait_loadcnt 0x0
	v_dot4_i32_iu8 v32, v48, v37, 0 neg_lo:[1,1,0]
	v_mul_f32_e32 v37, v228, v50
	v_dot4_i32_iu8 v34, v49, v38, 0 neg_lo:[1,1,0]
	v_cvt_f32_i32_e32 v32, v32
	s_delay_alu instid0(VALU_DEP_3) | instskip(SKIP_4) | instid1(VALU_DEP_3)
	v_mul_f32_e32 v226, 0x3e000000, v37
	scratch_load_b64 v[37:38], off, off offset:412 ; 8-byte Folded Reload
	v_cvt_f32_i32_e32 v34, v34
	v_fma_f32 v227, v40, v32, v226
	v_lshrrev_b32_e32 v32, 16, v51
	v_fma_f32 v228, v40, v34, v226
	v_lshrrev_b32_e32 v34, 4, v41
	v_dual_add_f32 v206, v206, v216 :: v_dual_and_b32 v51, 0xf0f0f0f, v41
	s_delay_alu instid0(VALU_DEP_4) | instskip(NEXT) | instid1(VALU_DEP_2)
	v_cvt_f32_f16_e32 v118, v32
	v_add_f32_e32 v39, v206, v39
	s_delay_alu instid0(VALU_DEP_1) | instskip(NEXT) | instid1(VALU_DEP_1)
	v_add_f32_e32 v39, v39, v218
	v_add_f32_e32 v39, v39, v219
	s_delay_alu instid0(VALU_DEP_1) | instskip(NEXT) | instid1(VALU_DEP_1)
	v_add_f32_e32 v39, v39, v220
	;; [unrolled: 3-line block ×5, first 2 shown]
	v_add_f32_e32 v39, v39, v228
	s_wait_loadcnt 0x0
	v_dot4_i32_iu8 v37, v47, v37, 0 neg_lo:[1,1,0]
	v_dot4_i32_iu8 v38, v45, v38, 0 neg_lo:[1,1,0]
	s_delay_alu instid0(VALU_DEP_2) | instskip(NEXT) | instid1(VALU_DEP_2)
	v_cvt_f32_i32_e32 v37, v37
	v_cvt_f32_i32_e32 v38, v38
	s_delay_alu instid0(VALU_DEP_2) | instskip(NEXT) | instid1(VALU_DEP_2)
	v_fma_f32 v229, v40, v37, v226
	v_fmac_f32_e32 v226, v40, v38
	v_and_b32_e32 v38, 0xf0f0f0f, v42
	v_and_b32_e32 v37, 0xf0f0f0f, v34
	v_lshrrev_b32_e32 v40, 4, v42
	s_delay_alu instid0(VALU_DEP_1)
	v_dual_add_f32 v39, v39, v229 :: v_dual_and_b32 v32, 0xf0f0f0f, v40
	scratch_load_b64 v[40:41], off, off offset:420 ; 8-byte Folded Reload
	v_add_f32_e32 v39, v39, v226
	s_wait_loadcnt 0x0
	v_dot4_i32_iu8 v34, v51, v40, 0 neg_lo:[1,1,0]
	v_dot4_i32_iu8 v40, v38, v41, 0 neg_lo:[1,1,0]
	v_mul_f32_e32 v41, v238, v118
	s_delay_alu instid0(VALU_DEP_3) | instskip(NEXT) | instid1(VALU_DEP_3)
	v_cvt_f32_i32_e32 v34, v34
	v_cvt_f32_i32_e32 v40, v40
	s_delay_alu instid0(VALU_DEP_3) | instskip(SKIP_4) | instid1(VALU_DEP_3)
	v_mul_f32_e32 v230, 0x3e000000, v41
	scratch_load_b64 v[41:42], off, off offset:428 ; 8-byte Folded Reload
	v_fma_f32 v231, v43, v34, v230
	v_lshrrev_b32_e32 v34, 16, v205
	v_fma_f32 v232, v43, v40, v230
	v_dual_add_f32 v39, v39, v231 :: v_dual_and_b32 v40, 0xf0f0f0f, v33
	s_delay_alu instid0(VALU_DEP_1) | instskip(SKIP_3) | instid1(VALU_DEP_2)
	v_add_f32_e32 v39, v39, v232
	s_wait_loadcnt 0x0
	v_dot4_i32_iu8 v41, v37, v41, 0 neg_lo:[1,1,0]
	v_dot4_i32_iu8 v42, v32, v42, 0 neg_lo:[1,1,0]
	v_cvt_f32_i32_e32 v41, v41
	s_delay_alu instid0(VALU_DEP_2) | instskip(NEXT) | instid1(VALU_DEP_2)
	v_cvt_f32_i32_e32 v42, v42
	v_fma_f32 v233, v43, v41, v230
	s_delay_alu instid0(VALU_DEP_2)
	v_fmac_f32_e32 v230, v43, v42
	v_cvt_f32_f16_e64 v41, v205
	v_lshrrev_b32_e32 v205, 4, v221
	v_cvt_f32_f16_e32 v42, v34
	v_and_b32_e32 v43, 0xf0f0f0f, v221
	v_lshrrev_b32_e32 v221, 4, v33
	v_mul_f32_e32 v237, v239, v41
	v_and_b32_e32 v34, 0xf0f0f0f, v205
	v_add_f32_e32 v39, v39, v233
	v_dot4_i32_iu8 v205, v43, v234, 0 neg_lo:[1,1,0]
	v_and_b32_e32 v33, 0xf0f0f0f, v221
	v_dot4_i32_iu8 v221, v40, v235, 0 neg_lo:[1,1,0]
	scratch_load_b64 v[235:236], off, off offset:444 ; 8-byte Folded Reload
	v_mul_f32_e32 v234, v240, v42
	v_cvt_f32_i32_e32 v205, v205
	v_add_f32_e32 v39, v39, v230
	v_cvt_f32_i32_e32 v221, v221
	s_delay_alu instid0(VALU_DEP_4) | instskip(NEXT) | instid1(VALU_DEP_1)
	v_mul_f32_e32 v234, 0x3e000000, v234
	v_fma_f32 v205, v237, v205, v234
	s_delay_alu instid0(VALU_DEP_3) | instskip(NEXT) | instid1(VALU_DEP_2)
	v_fma_f32 v221, v237, v221, v234
	v_add_f32_e32 v39, v39, v205
	s_delay_alu instid0(VALU_DEP_1) | instskip(SKIP_3) | instid1(VALU_DEP_2)
	v_add_f32_e32 v39, v39, v221
	s_wait_loadcnt 0x0
	v_dot4_i32_iu8 v235, v34, v235, 0 neg_lo:[1,1,0]
	v_dot4_i32_iu8 v236, v33, v236, 0 neg_lo:[1,1,0]
	v_cvt_f32_i32_e32 v235, v235
	s_delay_alu instid0(VALU_DEP_2) | instskip(NEXT) | instid1(VALU_DEP_2)
	v_cvt_f32_i32_e32 v236, v236
	v_fma_f32 v235, v237, v235, v234
	s_delay_alu instid0(VALU_DEP_1) | instskip(NEXT) | instid1(VALU_DEP_1)
	v_dual_fmac_f32 v234, v237, v236 :: v_dual_add_f32 v39, v39, v235
	v_add_f32_e32 v39, v39, v234
	ds_bpermute_b32 v205, v241, v39
	s_wait_dscnt 0x0
	v_add_f32_e32 v39, v39, v205
	s_wait_alu 0xfffe
	s_cbranch_vccnz .LBB28_24
; %bb.23:                               ;   in Loop: Header=BB28_22 Depth=1
	s_clause 0x1
	scratch_load_b32 v205, off, off offset:20
	scratch_load_b32 v206, off, off offset:24
	s_wait_loadcnt 0x1
	v_add_co_u32 v205, vcc_lo, v205, s71
	s_wait_loadcnt 0x0
	s_wait_alu 0xfffd
	v_add_co_ci_u32_e64 v206, null, s77, v206, vcc_lo
	global_load_u16 v205, v[205:206], off offset:-2
	scratch_load_b32 v212, off, off offset:652 ; 4-byte Folded Reload
	s_wait_loadcnt 0x0
	v_fma_mix_f32 v39, v212, v205, v39 op_sel_hi:[0,1,0]
	s_branch .LBB28_25
.LBB28_24:                              ;   in Loop: Header=BB28_22 Depth=1
	scratch_load_b32 v212, off, off offset:652 ; 4-byte Folded Reload
.LBB28_25:                              ;   in Loop: Header=BB28_22 Depth=1
	s_clause 0x1
	scratch_load_b64 v[205:206], off, off offset:452
	scratch_load_b128 v[207:210], off, off offset:492
	s_and_not1_b32 vcc_lo, exec_lo, s12
	s_wait_loadcnt 0x1
	v_dot4_i32_iu8 v203, v203, v205, 0 neg_lo:[1,1,0]
	v_dot4_i32_iu8 v202, v202, v206, 0 neg_lo:[1,1,0]
	scratch_load_b64 v[205:206], off, off offset:460 ; 8-byte Folded Reload
	s_wait_loadcnt 0x1
	v_mul_f32_e32 v204, v208, v204
	v_mul_f32_e32 v200, v207, v200
	v_cvt_f32_i32_e32 v203, v203
	v_cvt_f32_i32_e32 v202, v202
	v_mul_f32_e32 v198, v210, v198
	v_mul_f32_e32 v204, 0x3e000000, v204
	s_delay_alu instid0(VALU_DEP_2) | instskip(NEXT) | instid1(VALU_DEP_2)
	v_mul_f32_e32 v198, 0x3e000000, v198
	v_fma_f32 v203, v200, v203, v204
	v_fma_f32 v202, v200, v202, v204
	s_wait_loadcnt 0x0
	v_dot4_i32_iu8 v201, v201, v205, 0 neg_lo:[1,1,0]
	v_dot4_i32_iu8 v199, v199, v206, 0 neg_lo:[1,1,0]
	scratch_load_b128 v[205:208], off, off offset:508 ; 16-byte Folded Reload
	v_cvt_f32_i32_e32 v201, v201
	v_cvt_f32_i32_e32 v199, v199
	s_delay_alu instid0(VALU_DEP_2) | instskip(NEXT) | instid1(VALU_DEP_2)
	v_fma_f32 v201, v200, v201, v204
	v_fmac_f32_e32 v204, v200, v199
	scratch_load_b64 v[199:200], off, off offset:468 ; 8-byte Folded Reload
	v_mul_f32_e32 v194, v209, v194
	s_wait_loadcnt 0x1
	v_mul_f32_e32 v188, v205, v188
	v_mul_f32_e32 v192, v206, v192
	;; [unrolled: 1-line block ×4, first 2 shown]
	scratch_load_b128 v[205:208], off, off offset:612 ; 16-byte Folded Reload
	v_mul_f32_e32 v192, 0x3e000000, v192
	v_mul_f32_e32 v186, 0x3e000000, v186
	s_wait_loadcnt 0x1
	v_dot4_i32_iu8 v196, v196, v199, 0 neg_lo:[1,1,0]
	v_dot4_i32_iu8 v197, v197, v200, 0 neg_lo:[1,1,0]
	scratch_load_b64 v[199:200], off, off offset:476 ; 8-byte Folded Reload
	v_cvt_f32_i32_e32 v196, v196
	v_cvt_f32_i32_e32 v197, v197
	s_delay_alu instid0(VALU_DEP_2) | instskip(NEXT) | instid1(VALU_DEP_2)
	v_fma_f32 v196, v194, v196, v198
	v_fma_f32 v197, v194, v197, v198
	s_wait_loadcnt 0x1
	v_mul_f32_e32 v44, v207, v44
	v_mul_f32_e32 v50, v208, v50
	s_delay_alu instid0(VALU_DEP_1) | instskip(SKIP_3) | instid1(VALU_DEP_2)
	v_mul_f32_e32 v50, 0x3e000000, v50
	s_wait_loadcnt 0x0
	v_dot4_i32_iu8 v195, v195, v199, 0 neg_lo:[1,1,0]
	v_dot4_i32_iu8 v193, v193, v200, 0 neg_lo:[1,1,0]
	v_cvt_f32_i32_e32 v195, v195
	s_delay_alu instid0(VALU_DEP_2) | instskip(NEXT) | instid1(VALU_DEP_2)
	v_cvt_f32_i32_e32 v193, v193
	v_fma_f32 v195, v194, v195, v198
	s_delay_alu instid0(VALU_DEP_2)
	v_fmac_f32_e32 v198, v194, v193
	scratch_load_b64 v[193:194], off, off offset:484 ; 8-byte Folded Reload
	s_wait_loadcnt 0x0
	v_dot4_i32_iu8 v190, v190, v193, 0 neg_lo:[1,1,0]
	v_dot4_i32_iu8 v191, v191, v194, 0 neg_lo:[1,1,0]
	scratch_load_b64 v[193:194], off, off offset:524 ; 8-byte Folded Reload
	v_cvt_f32_i32_e32 v190, v190
	v_cvt_f32_i32_e32 v191, v191
	s_delay_alu instid0(VALU_DEP_2) | instskip(NEXT) | instid1(VALU_DEP_2)
	v_fma_f32 v190, v188, v190, v192
	v_fma_f32 v191, v188, v191, v192
	s_wait_loadcnt 0x0
	v_dot4_i32_iu8 v189, v189, v193, 0 neg_lo:[1,1,0]
	v_dot4_i32_iu8 v187, v187, v194, 0 neg_lo:[1,1,0]
	s_delay_alu instid0(VALU_DEP_2) | instskip(NEXT) | instid1(VALU_DEP_2)
	v_cvt_f32_i32_e32 v189, v189
	v_cvt_f32_i32_e32 v187, v187
	s_delay_alu instid0(VALU_DEP_2) | instskip(NEXT) | instid1(VALU_DEP_2)
	v_fma_f32 v189, v188, v189, v192
	v_fmac_f32_e32 v192, v188, v187
	scratch_load_b64 v[187:188], off, off offset:532 ; 8-byte Folded Reload
	s_wait_loadcnt 0x0
	v_dot4_i32_iu8 v184, v184, v187, 0 neg_lo:[1,1,0]
	v_dot4_i32_iu8 v185, v185, v188, 0 neg_lo:[1,1,0]
	scratch_load_b64 v[187:188], off, off offset:540 ; 8-byte Folded Reload
	v_cvt_f32_i32_e32 v184, v184
	v_cvt_f32_i32_e32 v185, v185
	s_delay_alu instid0(VALU_DEP_2) | instskip(NEXT) | instid1(VALU_DEP_2)
	v_fma_f32 v184, v182, v184, v186
	v_fma_f32 v185, v182, v185, v186
	s_wait_loadcnt 0x0
	v_dot4_i32_iu8 v183, v183, v187, 0 neg_lo:[1,1,0]
	v_dot4_i32_iu8 v180, v180, v188, 0 neg_lo:[1,1,0]
	scratch_load_b64 v[187:188], off, off offset:548 ; 8-byte Folded Reload
	v_cvt_f32_i32_e32 v183, v183
	v_cvt_f32_i32_e32 v180, v180
	s_delay_alu instid0(VALU_DEP_2) | instskip(NEXT) | instid1(VALU_DEP_2)
	v_fma_f32 v183, v182, v183, v186
	v_fmac_f32_e32 v186, v182, v180
	v_mul_f32_e32 v180, v206, v181
	scratch_load_b64 v[181:182], off, off offset:556 ; 8-byte Folded Reload
	v_mul_f32_e32 v176, v205, v176
	v_mul_f32_e32 v180, 0x3e000000, v180
	s_wait_loadcnt 0x1
	v_dot4_i32_iu8 v178, v178, v187, 0 neg_lo:[1,1,0]
	v_dot4_i32_iu8 v179, v179, v188, 0 neg_lo:[1,1,0]
	s_delay_alu instid0(VALU_DEP_2) | instskip(NEXT) | instid1(VALU_DEP_2)
	v_cvt_f32_i32_e32 v178, v178
	v_cvt_f32_i32_e32 v179, v179
	s_delay_alu instid0(VALU_DEP_2) | instskip(SKIP_4) | instid1(VALU_DEP_3)
	v_fma_f32 v178, v176, v178, v180
	s_wait_loadcnt 0x0
	v_dot4_i32_iu8 v177, v177, v181, 0 neg_lo:[1,1,0]
	v_dot4_i32_iu8 v119, v119, v182, 0 neg_lo:[1,1,0]
	v_fma_f32 v179, v176, v179, v180
	v_cvt_f32_i32_e32 v177, v177
	s_delay_alu instid0(VALU_DEP_3) | instskip(NEXT) | instid1(VALU_DEP_2)
	v_cvt_f32_i32_e32 v119, v119
	v_fma_f32 v177, v176, v177, v180
	s_delay_alu instid0(VALU_DEP_2) | instskip(SKIP_1) | instid1(VALU_DEP_1)
	v_fmac_f32_e32 v180, v176, v119
	v_add_f32_e32 v119, 0, v203
	v_add_f32_e32 v119, v119, v202
	s_delay_alu instid0(VALU_DEP_1) | instskip(NEXT) | instid1(VALU_DEP_1)
	v_add_f32_e32 v119, v119, v201
	v_add_f32_e32 v119, v119, v204
	s_delay_alu instid0(VALU_DEP_1) | instskip(NEXT) | instid1(VALU_DEP_1)
	;; [unrolled: 3-line block ×8, first 2 shown]
	v_add_f32_e32 v119, v119, v178
	v_add_f32_e32 v119, v119, v179
	s_delay_alu instid0(VALU_DEP_1)
	v_add_f32_e32 v119, v119, v177
	scratch_load_b64 v[176:177], off, off offset:564 ; 8-byte Folded Reload
	v_add_f32_e32 v119, v119, v180
	scratch_load_b128 v[178:181], off, off offset:628 ; 16-byte Folded Reload
	s_wait_loadcnt 0x1
	v_dot4_i32_iu8 v48, v48, v176, 0 neg_lo:[1,1,0]
	v_dot4_i32_iu8 v49, v49, v177, 0 neg_lo:[1,1,0]
	scratch_load_b64 v[176:177], off, off offset:572 ; 8-byte Folded Reload
	v_cvt_f32_i32_e32 v48, v48
	v_cvt_f32_i32_e32 v49, v49
	s_wait_loadcnt 0x1
	v_mul_f32_e32 v46, v178, v46
	v_dual_mul_f32 v42, v181, v42 :: v_dual_mul_f32 v41, v180, v41
	v_fma_f32 v48, v44, v48, v50
	v_fma_f32 v49, v44, v49, v50
	s_delay_alu instid0(VALU_DEP_3) | instskip(NEXT) | instid1(VALU_DEP_3)
	v_mul_f32_e32 v42, 0x3e000000, v42
	v_add_f32_e32 v48, v119, v48
	s_delay_alu instid0(VALU_DEP_1)
	v_add_f32_e32 v48, v48, v49
	s_wait_loadcnt 0x0
	v_dot4_i32_iu8 v47, v47, v176, 0 neg_lo:[1,1,0]
	v_dot4_i32_iu8 v45, v45, v177, 0 neg_lo:[1,1,0]
	scratch_load_b64 v[176:177], off, off offset:580 ; 8-byte Folded Reload
	v_cvt_f32_i32_e32 v47, v47
	v_cvt_f32_i32_e32 v45, v45
	s_delay_alu instid0(VALU_DEP_2) | instskip(NEXT) | instid1(VALU_DEP_2)
	v_fma_f32 v47, v44, v47, v50
	v_fmac_f32_e32 v50, v44, v45
	s_delay_alu instid0(VALU_DEP_2)
	v_add_f32_e32 v44, v48, v47
	scratch_load_b64 v[47:48], off, off offset:588 ; 8-byte Folded Reload
	v_add_f32_e32 v44, v44, v50
	s_wait_loadcnt 0x1
	v_dot4_i32_iu8 v51, v51, v176, 0 neg_lo:[1,1,0]
	v_dot4_i32_iu8 v38, v38, v177, 0 neg_lo:[1,1,0]
	s_delay_alu instid0(VALU_DEP_2) | instskip(NEXT) | instid1(VALU_DEP_2)
	v_cvt_f32_i32_e32 v49, v51
	v_cvt_f32_i32_e32 v38, v38
	s_wait_loadcnt 0x0
	v_dot4_i32_iu8 v32, v32, v48, 0 neg_lo:[1,1,0]
	v_dot4_i32_iu8 v37, v37, v47, 0 neg_lo:[1,1,0]
	scratch_load_b64 v[47:48], off, off offset:596 ; 8-byte Folded Reload
	v_cvt_f32_i32_e32 v32, v32
	v_mul_f32_e32 v118, v179, v118
	v_cvt_f32_i32_e32 v37, v37
	s_delay_alu instid0(VALU_DEP_2) | instskip(NEXT) | instid1(VALU_DEP_1)
	v_mul_f32_e32 v51, 0x3e000000, v118
	v_fma_f32 v45, v46, v49, v51
	v_fma_f32 v38, v46, v38, v51
	s_delay_alu instid0(VALU_DEP_4) | instskip(NEXT) | instid1(VALU_DEP_3)
	v_fma_f32 v37, v46, v37, v51
	v_dual_fmac_f32 v51, v46, v32 :: v_dual_add_f32 v44, v44, v45
	s_delay_alu instid0(VALU_DEP_1) | instskip(SKIP_2) | instid1(VALU_DEP_1)
	v_add_f32_e32 v38, v44, v38
	scratch_load_b64 v[44:45], off, off offset:604 ; 8-byte Folded Reload
	v_add_f32_e32 v32, v38, v37
	v_add_f32_e32 v32, v32, v51
	s_wait_loadcnt 0x1
	v_dot4_i32_iu8 v43, v43, v47, 0 neg_lo:[1,1,0]
	v_dot4_i32_iu8 v40, v40, v48, 0 neg_lo:[1,1,0]
	s_delay_alu instid0(VALU_DEP_2) | instskip(NEXT) | instid1(VALU_DEP_2)
	v_cvt_f32_i32_e32 v43, v43
	v_cvt_f32_i32_e32 v37, v40
	s_delay_alu instid0(VALU_DEP_2) | instskip(NEXT) | instid1(VALU_DEP_2)
	v_fma_f32 v38, v41, v43, v42
	v_fma_f32 v37, v41, v37, v42
	s_delay_alu instid0(VALU_DEP_2) | instskip(NEXT) | instid1(VALU_DEP_1)
	v_add_f32_e32 v32, v32, v38
	v_add_f32_e32 v32, v32, v37
	s_wait_loadcnt 0x0
	v_dot4_i32_iu8 v34, v34, v44, 0 neg_lo:[1,1,0]
	v_dot4_i32_iu8 v33, v33, v45, 0 neg_lo:[1,1,0]
	s_delay_alu instid0(VALU_DEP_2) | instskip(NEXT) | instid1(VALU_DEP_2)
	v_cvt_f32_i32_e32 v34, v34
	v_cvt_f32_i32_e32 v33, v33
	s_delay_alu instid0(VALU_DEP_2) | instskip(NEXT) | instid1(VALU_DEP_2)
	v_fma_f32 v34, v41, v34, v42
	v_fmac_f32_e32 v42, v41, v33
	s_delay_alu instid0(VALU_DEP_2) | instskip(NEXT) | instid1(VALU_DEP_1)
	v_add_f32_e32 v32, v32, v34
	v_add_f32_e32 v32, v32, v42
	ds_bpermute_b32 v33, v211, v32
	s_wait_dscnt 0x0
	v_add_f32_e32 v40, v32, v33
	s_wait_alu 0xfffe
	s_cbranch_vccnz .LBB28_27
; %bb.26:                               ;   in Loop: Header=BB28_22 Depth=1
	s_clause 0x1
	scratch_load_b32 v32, off, off offset:252
	scratch_load_b32 v33, off, off offset:256
	s_wait_loadcnt 0x1
	v_add_co_u32 v32, vcc_lo, v32, s71
	s_wait_loadcnt 0x0
	s_wait_alu 0xfffd
	v_add_co_ci_u32_e64 v33, null, s77, v33, vcc_lo
	global_load_u16 v32, v[32:33], off
	s_wait_loadcnt 0x0
	v_fma_mix_f32 v40, v212, v32, v40 op_sel_hi:[0,1,0]
.LBB28_27:                              ;   in Loop: Header=BB28_22 Depth=1
	scratch_load_b32 v32, off, off offset:28 ; 4-byte Folded Reload
	s_wait_loadcnt 0x0
	v_add_co_u32 v37, vcc_lo, v32, s9
	scratch_load_b32 v32, off, off offset:32 ; 4-byte Folded Reload
	s_wait_loadcnt 0x0
	s_wait_alu 0xfffd
	v_add_co_ci_u32_e64 v38, null, 0, v32, vcc_lo
	global_load_b32 v41, v[37:38], off
	s_clause 0x1
	scratch_load_b32 v32, off, off offset:12
	scratch_load_b32 v33, off, off offset:16
	s_wait_loadcnt 0x2
	v_cvt_f32_f16_e64 v202, v41
	s_wait_loadcnt 0x1
	v_add_co_u32 v32, vcc_lo, v32, s9
	s_wait_loadcnt 0x0
	s_wait_alu 0xfffd
	v_add_co_ci_u32_e64 v33, null, 0, v33, vcc_lo
	s_and_not1_b32 vcc_lo, exec_lo, s87
	s_clause 0x2
	global_load_b32 v34, v[32:33], off offset:4
	global_load_b32 v42, v[32:33], off offset:12
	;; [unrolled: 1-line block ×3, first 2 shown]
	s_clause 0x6
	global_load_b32 v44, v[37:38], off offset:20
	global_load_b32 v45, v[37:38], off offset:40
	;; [unrolled: 1-line block ×7, first 2 shown]
	v_lshrrev_b32_e32 v38, 16, v41
	s_clause 0x4
	global_load_b32 v41, v[32:33], off offset:32
	global_load_b32 v49, v[32:33], off offset:44
	;; [unrolled: 1-line block ×5, first 2 shown]
	scratch_load_b128 v[178:181], off, off offset:292 ; 16-byte Folded Reload
	v_cvt_f32_f16_e64 v206, v38
	s_wait_loadcnt 0xf
	v_and_b32_e32 v205, 0xf0f0f0f, v34
	s_wait_loadcnt 0xe
	v_lshrrev_b32_e32 v176, 4, v42
	v_lshrrev_b32_e32 v34, 4, v34
	v_and_b32_e32 v204, 0xf0f0f0f, v42
	s_wait_loadcnt 0xc
	v_cvt_f32_f16_e64 v196, v44
	s_wait_loadcnt 0xb
	v_cvt_f32_f16_e64 v190, v45
	v_and_b32_e32 v201, 0xf0f0f0f, v176
	scratch_load_b64 v[176:177], off, off offset:260 ; 8-byte Folded Reload
	v_and_b32_e32 v203, 0xf0f0f0f, v34
	s_wait_loadcnt 0x6
	v_and_b32_e32 v199, 0xf0f0f0f, v41
	s_wait_loadcnt 0x4
	;; [unrolled: 2-line block ×3, first 2 shown]
	v_and_b32_e32 v187, 0xf0f0f0f, v118
	v_cvt_f32_f16_e64 v184, v46
	s_wait_loadcnt 0x1
	v_mul_f32_e32 v42, v179, v206
	v_and_b32_e32 v198, 0xf0f0f0f, v43
	v_and_b32_e32 v186, 0xf0f0f0f, v51
	;; [unrolled: 1-line block ×3, first 2 shown]
	s_delay_alu instid0(VALU_DEP_4)
	v_mul_f32_e32 v207, 0x3e000000, v42
	s_wait_loadcnt 0x0
	v_dot4_i32_iu8 v34, v205, v176, 0 neg_lo:[1,1,0]
	v_dot4_i32_iu8 v38, v204, v177, 0 neg_lo:[1,1,0]
	scratch_load_b64 v[176:177], off, off offset:268 ; 8-byte Folded Reload
	v_cvt_f32_i32_e32 v34, v34
	v_cvt_f32_i32_e32 v38, v38
	s_wait_loadcnt 0x0
	v_dot4_i32_iu8 v42, v203, v176, 0 neg_lo:[1,1,0]
	v_dot4_i32_iu8 v176, v201, v177, 0 neg_lo:[1,1,0]
	v_mul_f32_e32 v177, v178, v202
	s_delay_alu instid0(VALU_DEP_3) | instskip(NEXT) | instid1(VALU_DEP_3)
	v_cvt_f32_i32_e32 v42, v42
	v_cvt_f32_i32_e32 v176, v176
	s_delay_alu instid0(VALU_DEP_3)
	v_fma_f32 v208, v177, v34, v207
	v_fma_f32 v209, v177, v38, v207
	v_lshrrev_b32_e32 v38, 4, v43
	v_fma_f32 v210, v177, v42, v207
	v_lshrrev_b32_e32 v42, 4, v41
	v_add_f32_e32 v208, 0, v208
	v_lshrrev_b32_e32 v34, 16, v44
	v_and_b32_e32 v197, 0xf0f0f0f, v38
	v_fmac_f32_e32 v207, v177, v176
	s_delay_alu instid0(VALU_DEP_4)
	v_dual_add_f32 v208, v208, v209 :: v_dual_and_b32 v195, 0xf0f0f0f, v42
	s_clause 0x1
	scratch_load_b64 v[41:42], off, off offset:276
	scratch_load_b128 v[176:179], off, off offset:308
	v_cvt_f32_f16_e64 v200, v34
	v_mul_f32_e32 v43, v180, v196
	v_add_f32_e32 v208, v208, v210
	s_delay_alu instid0(VALU_DEP_1) | instskip(SKIP_4) | instid1(VALU_DEP_3)
	v_add_f32_e32 v207, v208, v207
	s_wait_loadcnt 0x1
	v_dot4_i32_iu8 v34, v198, v41, 0 neg_lo:[1,1,0]
	v_mul_f32_e32 v41, v181, v200
	v_dot4_i32_iu8 v38, v199, v42, 0 neg_lo:[1,1,0]
	v_cvt_f32_i32_e32 v34, v34
	s_delay_alu instid0(VALU_DEP_3) | instskip(SKIP_4) | instid1(VALU_DEP_3)
	v_mul_f32_e32 v211, 0x3e000000, v41
	scratch_load_b64 v[41:42], off, off offset:284 ; 8-byte Folded Reload
	v_cvt_f32_i32_e32 v38, v38
	v_fma_f32 v212, v43, v34, v211
	v_lshrrev_b32_e32 v34, 16, v45
	v_fma_f32 v213, v43, v38, v211
	v_lshrrev_b32_e32 v38, 4, v49
	s_delay_alu instid0(VALU_DEP_4) | instskip(NEXT) | instid1(VALU_DEP_4)
	v_add_f32_e32 v207, v207, v212
	v_cvt_f32_f16_e64 v194, v34
	s_delay_alu instid0(VALU_DEP_3) | instskip(NEXT) | instid1(VALU_DEP_3)
	v_and_b32_e32 v191, 0xf0f0f0f, v38
	v_add_f32_e32 v207, v207, v213
	s_wait_loadcnt 0x0
	v_dot4_i32_iu8 v41, v197, v41, 0 neg_lo:[1,1,0]
	v_dot4_i32_iu8 v42, v195, v42, 0 neg_lo:[1,1,0]
	s_delay_alu instid0(VALU_DEP_2) | instskip(NEXT) | instid1(VALU_DEP_2)
	v_cvt_f32_i32_e32 v41, v41
	v_cvt_f32_i32_e32 v42, v42
	s_delay_alu instid0(VALU_DEP_2) | instskip(SKIP_1) | instid1(VALU_DEP_3)
	v_fma_f32 v214, v43, v41, v211
	v_lshrrev_b32_e32 v41, 4, v50
	v_fmac_f32_e32 v211, v43, v42
	v_cvt_f32_f16_e32 v50, v119
	v_mul_f32_e32 v43, v176, v190
	v_add_f32_e32 v207, v207, v214
	v_and_b32_e32 v189, 0xf0f0f0f, v41
	scratch_load_b64 v[41:42], off, off offset:356 ; 8-byte Folded Reload
	s_wait_loadcnt 0x0
	v_dot4_i32_iu8 v34, v192, v41, 0 neg_lo:[1,1,0]
	v_mul_f32_e32 v41, v177, v194
	v_dot4_i32_iu8 v38, v193, v42, 0 neg_lo:[1,1,0]
	s_delay_alu instid0(VALU_DEP_3) | instskip(NEXT) | instid1(VALU_DEP_3)
	v_cvt_f32_i32_e32 v34, v34
	v_mul_f32_e32 v215, 0x3e000000, v41
	scratch_load_b64 v[41:42], off, off offset:364 ; 8-byte Folded Reload
	v_cvt_f32_i32_e32 v38, v38
	v_fma_f32 v216, v43, v34, v215
	v_lshrrev_b32_e32 v34, 16, v46
	s_delay_alu instid0(VALU_DEP_3) | instskip(SKIP_1) | instid1(VALU_DEP_3)
	v_fma_f32 v217, v43, v38, v215
	v_lshrrev_b32_e32 v38, 4, v51
	v_cvt_f32_f16_e64 v188, v34
	s_delay_alu instid0(VALU_DEP_2) | instskip(SKIP_3) | instid1(VALU_DEP_2)
	v_and_b32_e32 v185, 0xf0f0f0f, v38
	s_wait_loadcnt 0x0
	v_dot4_i32_iu8 v41, v191, v41, 0 neg_lo:[1,1,0]
	v_dot4_i32_iu8 v42, v189, v42, 0 neg_lo:[1,1,0]
	v_cvt_f32_i32_e32 v41, v41
	s_delay_alu instid0(VALU_DEP_2) | instskip(NEXT) | instid1(VALU_DEP_2)
	v_cvt_f32_i32_e32 v42, v42
	v_fma_f32 v218, v43, v41, v215
	v_lshrrev_b32_e32 v41, 4, v118
	s_delay_alu instid0(VALU_DEP_3) | instskip(SKIP_2) | instid1(VALU_DEP_4)
	v_fmac_f32_e32 v215, v43, v42
	v_mul_f32_e32 v43, v178, v184
	v_cvt_f32_f16_e64 v178, v47
	v_and_b32_e32 v182, 0xf0f0f0f, v41
	scratch_load_b64 v[41:42], off, off offset:372 ; 8-byte Folded Reload
	v_add_f32_e32 v207, v207, v211
	s_delay_alu instid0(VALU_DEP_1) | instskip(NEXT) | instid1(VALU_DEP_1)
	v_add_f32_e32 v207, v207, v216
	v_add_f32_e32 v207, v207, v217
	s_delay_alu instid0(VALU_DEP_1) | instskip(SKIP_4) | instid1(VALU_DEP_3)
	v_add_f32_e32 v207, v207, v218
	s_wait_loadcnt 0x0
	v_dot4_i32_iu8 v34, v186, v41, 0 neg_lo:[1,1,0]
	v_mul_f32_e32 v41, v179, v188
	v_dot4_i32_iu8 v38, v187, v42, 0 neg_lo:[1,1,0]
	v_cvt_f32_i32_e32 v34, v34
	s_delay_alu instid0(VALU_DEP_3) | instskip(SKIP_3) | instid1(VALU_DEP_2)
	v_mul_f32_e32 v219, 0x3e000000, v41
	scratch_load_b64 v[41:42], off, off offset:380 ; 8-byte Folded Reload
	v_cvt_f32_i32_e32 v38, v38
	v_fma_f32 v220, v43, v34, v219
	v_fma_f32 v221, v43, v38, v219
	s_wait_loadcnt 0x0
	v_dot4_i32_iu8 v41, v185, v41, 0 neg_lo:[1,1,0]
	v_dot4_i32_iu8 v42, v182, v42, 0 neg_lo:[1,1,0]
	s_delay_alu instid0(VALU_DEP_2) | instskip(NEXT) | instid1(VALU_DEP_2)
	v_cvt_f32_i32_e32 v41, v41
	v_cvt_f32_i32_e32 v42, v42
	s_delay_alu instid0(VALU_DEP_2) | instskip(NEXT) | instid1(VALU_DEP_2)
	v_fma_f32 v222, v43, v41, v219
	v_fmac_f32_e32 v219, v43, v42
	s_clause 0x7
	global_load_b32 v34, v[32:33], off offset:84
	global_load_b32 v38, v[32:33], off offset:92
	;; [unrolled: 1-line block ×8, first 2 shown]
	v_lshrrev_b32_e32 v32, 16, v47
	s_clause 0x2
	scratch_load_b128 v[226:229], off, off offset:324
	scratch_load_b128 v[237:240], off, off offset:340
	scratch_load_b64 v[232:233], off, off offset:428
	v_cvt_f32_f16_e64 v183, v32
	s_wait_loadcnt 0xa
	v_and_b32_e32 v180, 0xf0f0f0f, v34
	s_wait_loadcnt 0x9
	v_lshrrev_b32_e32 v46, 4, v38
	v_lshrrev_b32_e32 v34, 4, v34
	v_and_b32_e32 v181, 0xf0f0f0f, v38
	s_wait_loadcnt 0x8
	v_and_b32_e32 v51, 0xf0f0f0f, v41
	v_and_b32_e32 v177, 0xf0f0f0f, v46
	scratch_load_b64 v[46:47], off, off offset:388 ; 8-byte Folded Reload
	s_wait_loadcnt 0x3
	v_dual_mul_f32 v38, v227, v183 :: v_dual_and_b32 v179, 0xf0f0f0f, v34
	s_delay_alu instid0(VALU_DEP_1)
	v_mul_f32_e32 v223, 0x3e000000, v38
	s_wait_loadcnt 0x0
	v_dot4_i32_iu8 v32, v180, v46, 0 neg_lo:[1,1,0]
	v_dot4_i32_iu8 v34, v181, v47, 0 neg_lo:[1,1,0]
	scratch_load_b64 v[46:47], off, off offset:396 ; 8-byte Folded Reload
	v_cvt_f32_i32_e32 v32, v32
	v_cvt_f32_i32_e32 v34, v34
	s_wait_loadcnt 0x0
	v_dot4_i32_iu8 v38, v179, v46, 0 neg_lo:[1,1,0]
	v_dot4_i32_iu8 v46, v177, v47, 0 neg_lo:[1,1,0]
	v_mul_f32_e32 v47, v226, v178
	s_delay_alu instid0(VALU_DEP_3) | instskip(NEXT) | instid1(VALU_DEP_3)
	v_cvt_f32_i32_e32 v38, v38
	v_cvt_f32_i32_e32 v46, v46
	s_delay_alu instid0(VALU_DEP_3)
	v_fma_f32 v224, v47, v32, v223
	v_fma_f32 v225, v47, v34, v223
	v_lshrrev_b32_e32 v34, 4, v41
	v_fma_f32 v226, v47, v38, v223
	v_fmac_f32_e32 v223, v47, v46
	v_lshrrev_b32_e32 v38, 4, v42
	v_and_b32_e32 v47, 0xf0f0f0f, v42
	scratch_load_b64 v[41:42], off, off offset:404 ; 8-byte Folded Reload
	v_lshrrev_b32_e32 v32, 16, v48
	v_and_b32_e32 v49, 0xf0f0f0f, v34
	v_cvt_f32_f16_e32 v46, v48
	v_and_b32_e32 v48, 0xf0f0f0f, v38
	s_delay_alu instid0(VALU_DEP_4) | instskip(NEXT) | instid1(VALU_DEP_1)
	v_cvt_f32_f16_e32 v118, v32
	v_mul_f32_e32 v38, v229, v118
	s_delay_alu instid0(VALU_DEP_1)
	v_mul_f32_e32 v227, 0x3e000000, v38
	s_wait_loadcnt 0x0
	v_dot4_i32_iu8 v32, v51, v41, 0 neg_lo:[1,1,0]
	v_dot4_i32_iu8 v34, v47, v42, 0 neg_lo:[1,1,0]
	scratch_load_b64 v[41:42], off, off offset:412 ; 8-byte Folded Reload
	v_cvt_f32_i32_e32 v32, v32
	v_cvt_f32_i32_e32 v34, v34
	s_wait_loadcnt 0x0
	v_dot4_i32_iu8 v38, v49, v41, 0 neg_lo:[1,1,0]
	v_dot4_i32_iu8 v41, v48, v42, 0 neg_lo:[1,1,0]
	v_mul_f32_e32 v42, v228, v46
	s_delay_alu instid0(VALU_DEP_3) | instskip(NEXT) | instid1(VALU_DEP_3)
	v_cvt_f32_i32_e32 v38, v38
	v_cvt_f32_i32_e32 v41, v41
	s_delay_alu instid0(VALU_DEP_3)
	v_fma_f32 v228, v42, v32, v227
	v_fma_f32 v229, v42, v34, v227
	v_lshrrev_b32_e32 v32, 16, v119
	v_fma_f32 v230, v42, v38, v227
	v_lshrrev_b32_e32 v34, 4, v43
	v_fmac_f32_e32 v227, v42, v41
	v_lshrrev_b32_e32 v41, 4, v44
	v_cvt_f32_f16_e64 v176, v32
	v_and_b32_e32 v119, 0xf0f0f0f, v43
	v_and_b32_e32 v43, 0xf0f0f0f, v44
	;; [unrolled: 1-line block ×4, first 2 shown]
	scratch_load_b64 v[41:42], off, off offset:420 ; 8-byte Folded Reload
	v_dot4_i32_iu8 v44, v32, v233, 0 neg_lo:[1,1,0]
	s_delay_alu instid0(VALU_DEP_1) | instskip(SKIP_4) | instid1(VALU_DEP_3)
	v_cvt_f32_i32_e32 v44, v44
	s_wait_loadcnt 0x0
	v_dot4_i32_iu8 v34, v119, v41, 0 neg_lo:[1,1,0]
	v_dot4_i32_iu8 v41, v43, v42, 0 neg_lo:[1,1,0]
	v_mul_f32_e32 v42, v238, v176
	v_cvt_f32_i32_e32 v34, v34
	s_delay_alu instid0(VALU_DEP_3) | instskip(NEXT) | instid1(VALU_DEP_3)
	v_cvt_f32_i32_e32 v41, v41
	v_mul_f32_e32 v231, 0x3e000000, v42
	v_dot4_i32_iu8 v42, v38, v232, 0 neg_lo:[1,1,0]
	v_mul_f32_e32 v232, v237, v50
	scratch_load_b64 v[236:237], off, off offset:436 ; 8-byte Folded Reload
	v_cvt_f32_i32_e32 v42, v42
	v_fma_f32 v233, v232, v34, v231
	v_fma_f32 v234, v232, v41, v231
	v_and_b32_e32 v41, 0xf0f0f0f, v33
	v_lshrrev_b32_e32 v34, 16, v37
	v_fma_f32 v235, v232, v42, v231
	v_fmac_f32_e32 v231, v232, v44
	v_lshrrev_b32_e32 v232, 4, v33
	v_cvt_f32_f16_e32 v42, v37
	v_lshrrev_b32_e32 v37, 4, v45
	v_and_b32_e32 v44, 0xf0f0f0f, v45
	v_cvt_f32_f16_e32 v45, v34
	v_and_b32_e32 v33, 0xf0f0f0f, v232
	s_delay_alu instid0(VALU_DEP_4) | instskip(SKIP_1) | instid1(VALU_DEP_1)
	v_dual_mul_f32 v239, v239, v42 :: v_dual_and_b32 v34, 0xf0f0f0f, v37
	v_add_f32_e32 v207, v207, v215
	v_add_f32_e32 v207, v207, v220
	s_delay_alu instid0(VALU_DEP_1) | instskip(NEXT) | instid1(VALU_DEP_1)
	v_add_f32_e32 v207, v207, v221
	v_add_f32_e32 v207, v207, v222
	s_delay_alu instid0(VALU_DEP_1) | instskip(NEXT) | instid1(VALU_DEP_1)
	;; [unrolled: 3-line block ×7, first 2 shown]
	v_add_f32_e32 v207, v207, v234
	v_add_f32_e32 v207, v207, v235
	s_delay_alu instid0(VALU_DEP_1)
	v_add_f32_e32 v207, v207, v231
	s_wait_loadcnt 0x0
	v_dot4_i32_iu8 v232, v41, v237, 0 neg_lo:[1,1,0]
	scratch_load_b64 v[237:238], off, off offset:444 ; 8-byte Folded Reload
	v_dot4_i32_iu8 v37, v44, v236, 0 neg_lo:[1,1,0]
	v_mul_f32_e32 v236, v240, v45
	v_cvt_f32_i32_e32 v232, v232
	s_delay_alu instid0(VALU_DEP_3) | instskip(NEXT) | instid1(VALU_DEP_3)
	v_cvt_f32_i32_e32 v37, v37
	v_mul_f32_e32 v236, 0x3e000000, v236
	s_delay_alu instid0(VALU_DEP_1) | instskip(NEXT) | instid1(VALU_DEP_4)
	v_fma_f32 v37, v239, v37, v236
	v_fma_f32 v232, v239, v232, v236
	s_delay_alu instid0(VALU_DEP_2) | instskip(NEXT) | instid1(VALU_DEP_1)
	v_add_f32_e32 v37, v207, v37
	v_add_f32_e32 v37, v37, v232
	s_wait_loadcnt 0x0
	v_dot4_i32_iu8 v237, v34, v237, 0 neg_lo:[1,1,0]
	v_dot4_i32_iu8 v238, v33, v238, 0 neg_lo:[1,1,0]
	s_delay_alu instid0(VALU_DEP_2) | instskip(NEXT) | instid1(VALU_DEP_2)
	v_cvt_f32_i32_e32 v237, v237
	v_cvt_f32_i32_e32 v238, v238
	s_delay_alu instid0(VALU_DEP_2) | instskip(NEXT) | instid1(VALU_DEP_1)
	v_fma_f32 v237, v239, v237, v236
	v_dual_fmac_f32 v236, v239, v238 :: v_dual_add_f32 v37, v37, v237
	s_delay_alu instid0(VALU_DEP_1)
	v_add_f32_e32 v37, v37, v236
	ds_bpermute_b32 v207, v241, v37
	s_wait_dscnt 0x0
	v_add_f32_e32 v37, v37, v207
	s_wait_alu 0xfffe
	s_cbranch_vccnz .LBB28_29
; %bb.28:                               ;   in Loop: Header=BB28_22 Depth=1
	s_clause 0x1
	scratch_load_b32 v207, off, off offset:20
	scratch_load_b32 v208, off, off offset:24
	s_wait_loadcnt 0x1
	v_add_co_u32 v207, vcc_lo, v207, s71
	s_wait_loadcnt 0x0
	s_wait_alu 0xfffd
	v_add_co_ci_u32_e64 v208, null, s77, v208, vcc_lo
	global_load_u16 v207, v[207:208], off
	scratch_load_b32 v213, off, off offset:652 ; 4-byte Folded Reload
	s_wait_loadcnt 0x0
	v_fma_mix_f32 v37, v213, v207, v37 op_sel_hi:[0,1,0]
	s_branch .LBB28_30
.LBB28_29:                              ;   in Loop: Header=BB28_22 Depth=1
	scratch_load_b32 v213, off, off offset:652 ; 4-byte Folded Reload
.LBB28_30:                              ;   in Loop: Header=BB28_22 Depth=1
	s_clause 0x7
	scratch_store_b32 off, v4, off offset:904
	scratch_store_b32 off, v0, off offset:900
	scratch_store_b32 off, v142, off offset:896
	scratch_store_b32 off, v85, off offset:892
	scratch_store_b32 off, v52, off offset:888
	scratch_store_b32 off, v174, off offset:880
	scratch_store_b32 off, v136, off offset:872
	scratch_store_b32 off, v139, off offset:864
	s_clause 0x1
	scratch_load_b64 v[207:208], off, off offset:452
	scratch_load_b128 v[209:212], off, off offset:492
	v_mov_b32_e32 v142, v5
	s_and_not1_b32 vcc_lo, exec_lo, s12
	s_wait_loadcnt 0x1
	v_dot4_i32_iu8 v205, v205, v207, 0 neg_lo:[1,1,0]
	v_dot4_i32_iu8 v204, v204, v208, 0 neg_lo:[1,1,0]
	scratch_load_b64 v[207:208], off, off offset:460 ; 8-byte Folded Reload
	s_wait_loadcnt 0x1
	v_mul_f32_e32 v206, v210, v206
	v_mul_f32_e32 v202, v209, v202
	v_cvt_f32_i32_e32 v205, v205
	v_cvt_f32_i32_e32 v204, v204
	v_mul_f32_e32 v200, v212, v200
	v_mul_f32_e32 v206, 0x3e000000, v206
	s_delay_alu instid0(VALU_DEP_2) | instskip(NEXT) | instid1(VALU_DEP_2)
	v_mul_f32_e32 v200, 0x3e000000, v200
	v_fma_f32 v205, v202, v205, v206
	v_fma_f32 v204, v202, v204, v206
	s_wait_loadcnt 0x0
	v_dot4_i32_iu8 v203, v203, v207, 0 neg_lo:[1,1,0]
	v_dot4_i32_iu8 v201, v201, v208, 0 neg_lo:[1,1,0]
	scratch_load_b128 v[207:210], off, off offset:508 ; 16-byte Folded Reload
	v_cvt_f32_i32_e32 v203, v203
	v_cvt_f32_i32_e32 v201, v201
	s_delay_alu instid0(VALU_DEP_2) | instskip(NEXT) | instid1(VALU_DEP_2)
	v_fma_f32 v203, v202, v203, v206
	v_fmac_f32_e32 v206, v202, v201
	scratch_load_b64 v[201:202], off, off offset:468 ; 8-byte Folded Reload
	v_mul_f32_e32 v196, v211, v196
	s_wait_loadcnt 0x1
	v_mul_f32_e32 v190, v207, v190
	v_mul_f32_e32 v194, v208, v194
	;; [unrolled: 1-line block ×4, first 2 shown]
	scratch_load_b128 v[207:210], off, off offset:612 ; 16-byte Folded Reload
	v_mul_f32_e32 v194, 0x3e000000, v194
	v_mul_f32_e32 v188, 0x3e000000, v188
	s_wait_loadcnt 0x1
	v_dot4_i32_iu8 v198, v198, v201, 0 neg_lo:[1,1,0]
	v_dot4_i32_iu8 v199, v199, v202, 0 neg_lo:[1,1,0]
	scratch_load_b64 v[201:202], off, off offset:476 ; 8-byte Folded Reload
	v_cvt_f32_i32_e32 v198, v198
	v_cvt_f32_i32_e32 v199, v199
	s_delay_alu instid0(VALU_DEP_2) | instskip(NEXT) | instid1(VALU_DEP_2)
	v_fma_f32 v198, v196, v198, v200
	v_fma_f32 v199, v196, v199, v200
	s_wait_loadcnt 0x1
	v_mul_f32_e32 v46, v209, v46
	v_mul_f32_e32 v118, v210, v118
	s_wait_loadcnt 0x0
	v_dot4_i32_iu8 v197, v197, v201, 0 neg_lo:[1,1,0]
	v_dot4_i32_iu8 v195, v195, v202, 0 neg_lo:[1,1,0]
	s_delay_alu instid0(VALU_DEP_2) | instskip(NEXT) | instid1(VALU_DEP_2)
	v_cvt_f32_i32_e32 v197, v197
	v_cvt_f32_i32_e32 v195, v195
	s_delay_alu instid0(VALU_DEP_2) | instskip(NEXT) | instid1(VALU_DEP_2)
	v_fma_f32 v197, v196, v197, v200
	v_fmac_f32_e32 v200, v196, v195
	scratch_load_b64 v[195:196], off, off offset:484 ; 8-byte Folded Reload
	s_wait_loadcnt 0x0
	v_dot4_i32_iu8 v192, v192, v195, 0 neg_lo:[1,1,0]
	v_dot4_i32_iu8 v193, v193, v196, 0 neg_lo:[1,1,0]
	scratch_load_b64 v[195:196], off, off offset:524 ; 8-byte Folded Reload
	v_cvt_f32_i32_e32 v192, v192
	v_cvt_f32_i32_e32 v193, v193
	s_delay_alu instid0(VALU_DEP_2) | instskip(NEXT) | instid1(VALU_DEP_2)
	v_fma_f32 v192, v190, v192, v194
	v_fma_f32 v193, v190, v193, v194
	s_wait_loadcnt 0x0
	v_dot4_i32_iu8 v191, v191, v195, 0 neg_lo:[1,1,0]
	v_dot4_i32_iu8 v189, v189, v196, 0 neg_lo:[1,1,0]
	s_delay_alu instid0(VALU_DEP_2) | instskip(NEXT) | instid1(VALU_DEP_2)
	v_cvt_f32_i32_e32 v191, v191
	v_cvt_f32_i32_e32 v189, v189
	s_delay_alu instid0(VALU_DEP_2) | instskip(NEXT) | instid1(VALU_DEP_2)
	v_fma_f32 v191, v190, v191, v194
	v_fmac_f32_e32 v194, v190, v189
	scratch_load_b64 v[189:190], off, off offset:532 ; 8-byte Folded Reload
	s_wait_loadcnt 0x0
	v_dot4_i32_iu8 v186, v186, v189, 0 neg_lo:[1,1,0]
	v_dot4_i32_iu8 v187, v187, v190, 0 neg_lo:[1,1,0]
	scratch_load_b64 v[189:190], off, off offset:540 ; 8-byte Folded Reload
	v_cvt_f32_i32_e32 v186, v186
	v_cvt_f32_i32_e32 v187, v187
	s_delay_alu instid0(VALU_DEP_2) | instskip(NEXT) | instid1(VALU_DEP_2)
	v_fma_f32 v186, v184, v186, v188
	v_fma_f32 v187, v184, v187, v188
	s_wait_loadcnt 0x0
	v_dot4_i32_iu8 v185, v185, v189, 0 neg_lo:[1,1,0]
	v_dot4_i32_iu8 v182, v182, v190, 0 neg_lo:[1,1,0]
	scratch_load_b64 v[189:190], off, off offset:548 ; 8-byte Folded Reload
	v_cvt_f32_i32_e32 v185, v185
	v_cvt_f32_i32_e32 v182, v182
	s_delay_alu instid0(VALU_DEP_2) | instskip(NEXT) | instid1(VALU_DEP_2)
	v_fma_f32 v185, v184, v185, v188
	v_fmac_f32_e32 v188, v184, v182
	v_mul_f32_e32 v182, v208, v183
	scratch_load_b64 v[183:184], off, off offset:556 ; 8-byte Folded Reload
	v_mul_f32_e32 v178, v207, v178
	v_mul_f32_e32 v182, 0x3e000000, v182
	s_wait_loadcnt 0x1
	v_dot4_i32_iu8 v180, v180, v189, 0 neg_lo:[1,1,0]
	v_dot4_i32_iu8 v181, v181, v190, 0 neg_lo:[1,1,0]
	s_delay_alu instid0(VALU_DEP_2) | instskip(NEXT) | instid1(VALU_DEP_2)
	v_cvt_f32_i32_e32 v180, v180
	v_cvt_f32_i32_e32 v181, v181
	s_delay_alu instid0(VALU_DEP_2) | instskip(SKIP_4) | instid1(VALU_DEP_3)
	v_fma_f32 v180, v178, v180, v182
	s_wait_loadcnt 0x0
	v_dot4_i32_iu8 v179, v179, v183, 0 neg_lo:[1,1,0]
	v_dot4_i32_iu8 v177, v177, v184, 0 neg_lo:[1,1,0]
	v_fma_f32 v181, v178, v181, v182
	v_cvt_f32_i32_e32 v179, v179
	s_delay_alu instid0(VALU_DEP_3) | instskip(NEXT) | instid1(VALU_DEP_2)
	v_cvt_f32_i32_e32 v177, v177
	v_fma_f32 v179, v178, v179, v182
	s_delay_alu instid0(VALU_DEP_2) | instskip(SKIP_1) | instid1(VALU_DEP_1)
	v_fmac_f32_e32 v182, v178, v177
	v_add_f32_e32 v177, 0, v205
	v_add_f32_e32 v177, v177, v204
	s_delay_alu instid0(VALU_DEP_1) | instskip(NEXT) | instid1(VALU_DEP_1)
	v_add_f32_e32 v177, v177, v203
	v_add_f32_e32 v177, v177, v206
	s_delay_alu instid0(VALU_DEP_1) | instskip(NEXT) | instid1(VALU_DEP_1)
	v_add_f32_e32 v177, v177, v198
	v_add_f32_e32 v177, v177, v199
	s_delay_alu instid0(VALU_DEP_1) | instskip(NEXT) | instid1(VALU_DEP_1)
	v_add_f32_e32 v177, v177, v197
	v_add_f32_e32 v177, v177, v200
	s_delay_alu instid0(VALU_DEP_1) | instskip(NEXT) | instid1(VALU_DEP_1)
	v_add_f32_e32 v177, v177, v192
	v_add_f32_e32 v177, v177, v193
	s_delay_alu instid0(VALU_DEP_1) | instskip(NEXT) | instid1(VALU_DEP_1)
	v_add_f32_e32 v177, v177, v191
	v_add_f32_e32 v177, v177, v194
	s_delay_alu instid0(VALU_DEP_1) | instskip(NEXT) | instid1(VALU_DEP_1)
	v_add_f32_e32 v177, v177, v186
	v_add_f32_e32 v177, v177, v187
	s_delay_alu instid0(VALU_DEP_1) | instskip(NEXT) | instid1(VALU_DEP_1)
	v_add_f32_e32 v177, v177, v185
	v_add_f32_e32 v177, v177, v188
	s_delay_alu instid0(VALU_DEP_1) | instskip(NEXT) | instid1(VALU_DEP_1)
	v_add_f32_e32 v177, v177, v180
	v_add_f32_e32 v177, v177, v181
	s_delay_alu instid0(VALU_DEP_1)
	v_add_f32_e32 v177, v177, v179
	scratch_load_b64 v[178:179], off, off offset:564 ; 8-byte Folded Reload
	v_add_f32_e32 v177, v177, v182
	v_mul_f32_e32 v118, 0x3e000000, v118
	s_wait_loadcnt 0x0
	v_dot4_i32_iu8 v51, v51, v178, 0 neg_lo:[1,1,0]
	v_dot4_i32_iu8 v47, v47, v179, 0 neg_lo:[1,1,0]
	scratch_load_b128 v[179:182], off, off offset:628 ; 16-byte Folded Reload
	v_cvt_f32_i32_e32 v51, v51
	v_cvt_f32_i32_e32 v47, v47
	s_delay_alu instid0(VALU_DEP_2) | instskip(NEXT) | instid1(VALU_DEP_1)
	v_fma_f32 v51, v46, v51, v118
	v_add_f32_e32 v51, v177, v51
	scratch_load_b64 v[177:178], off, off offset:572 ; 8-byte Folded Reload
	v_fma_f32 v47, v46, v47, v118
	s_delay_alu instid0(VALU_DEP_1) | instskip(SKIP_3) | instid1(VALU_DEP_2)
	v_add_f32_e32 v47, v51, v47
	s_wait_loadcnt 0x1
	v_dual_mul_f32 v50, v179, v50 :: v_dual_mul_f32 v45, v182, v45
	v_mul_f32_e32 v176, v180, v176
	v_dual_mul_f32 v42, v181, v42 :: v_dual_mul_f32 v45, 0x3e000000, v45
	s_wait_loadcnt 0x0
	v_dot4_i32_iu8 v49, v49, v177, 0 neg_lo:[1,1,0]
	v_dot4_i32_iu8 v48, v48, v178, 0 neg_lo:[1,1,0]
	scratch_load_b64 v[177:178], off, off offset:580 ; 8-byte Folded Reload
	v_cvt_f32_i32_e32 v49, v49
	v_cvt_f32_i32_e32 v48, v48
	s_delay_alu instid0(VALU_DEP_2) | instskip(NEXT) | instid1(VALU_DEP_2)
	v_fma_f32 v49, v46, v49, v118
	v_fmac_f32_e32 v118, v46, v48
	s_delay_alu instid0(VALU_DEP_2)
	v_add_f32_e32 v46, v47, v49
	scratch_load_b64 v[47:48], off, off offset:588 ; 8-byte Folded Reload
	v_add_f32_e32 v46, v46, v118
	s_wait_loadcnt 0x1
	v_dot4_i32_iu8 v119, v119, v177, 0 neg_lo:[1,1,0]
	v_dot4_i32_iu8 v43, v43, v178, 0 neg_lo:[1,1,0]
	s_delay_alu instid0(VALU_DEP_2) | instskip(SKIP_1) | instid1(VALU_DEP_3)
	v_cvt_f32_i32_e32 v51, v119
	v_mul_f32_e32 v119, 0x3e000000, v176
	v_cvt_f32_i32_e32 v43, v43
	s_delay_alu instid0(VALU_DEP_1)
	v_fma_f32 v43, v50, v43, v119
	s_wait_loadcnt 0x0
	v_dot4_i32_iu8 v38, v38, v47, 0 neg_lo:[1,1,0]
	v_fma_f32 v47, v50, v51, v119
	v_dot4_i32_iu8 v32, v32, v48, 0 neg_lo:[1,1,0]
	scratch_load_b64 v[48:49], off, off offset:596 ; 8-byte Folded Reload
	v_cvt_f32_i32_e32 v38, v38
	v_add_f32_e32 v46, v46, v47
	v_cvt_f32_i32_e32 v32, v32
	s_delay_alu instid0(VALU_DEP_2)
	v_add_f32_e32 v43, v46, v43
	scratch_load_b64 v[46:47], off, off offset:604 ; 8-byte Folded Reload
	v_fma_f32 v38, v50, v38, v119
	v_fmac_f32_e32 v119, v50, v32
	s_clause 0x1f
	scratch_store_b32 off, v53, off offset:1024
	scratch_store_b32 off, v87, off offset:1016
	;; [unrolled: 1-line block ×32, first 2 shown]
	s_clause 0x10
	scratch_store_b32 off, v61, off offset:1008
	scratch_store_b32 off, v62, off offset:1012
	;; [unrolled: 1-line block ×9, first 2 shown]
	scratch_store_b32 off, v250, off
	scratch_store_b32 off, v117, off offset:1100
	scratch_store_b32 off, v242, off offset:4
	;; [unrolled: 1-line block ×7, first 2 shown]
	s_wait_loadcnt 0x1
	v_dot4_i32_iu8 v44, v44, v48, 0 neg_lo:[1,1,0]
	v_dot4_i32_iu8 v41, v41, v49, 0 neg_lo:[1,1,0]
	s_delay_alu instid0(VALU_DEP_2) | instskip(SKIP_3) | instid1(VALU_DEP_2)
	v_cvt_f32_i32_e32 v44, v44
	s_wait_loadcnt 0x0
	v_dot4_i32_iu8 v34, v34, v46, 0 neg_lo:[1,1,0]
	v_dot4_i32_iu8 v33, v33, v47, 0 neg_lo:[1,1,0]
	v_cvt_f32_i32_e32 v34, v34
	s_delay_alu instid0(VALU_DEP_2) | instskip(SKIP_4) | instid1(VALU_DEP_3)
	v_cvt_f32_i32_e32 v33, v33
	v_add_f32_e32 v32, v43, v38
	v_cvt_f32_i32_e32 v38, v41
	v_fma_f32 v41, v42, v44, v45
	v_fma_f32 v34, v42, v34, v45
	v_fma_f32 v38, v42, v38, v45
	v_dual_fmac_f32 v45, v42, v33 :: v_dual_add_f32 v32, v32, v119
	s_delay_alu instid0(VALU_DEP_1) | instskip(NEXT) | instid1(VALU_DEP_1)
	v_add_f32_e32 v32, v32, v41
	v_add_f32_e32 v32, v32, v38
	s_delay_alu instid0(VALU_DEP_1) | instskip(NEXT) | instid1(VALU_DEP_1)
	v_add_f32_e32 v32, v32, v34
	v_add_f32_e32 v32, v32, v45
	ds_bpermute_b32 v33, v241, v32
	s_wait_dscnt 0x0
	v_add_f32_e32 v38, v32, v33
	s_wait_alu 0xfffe
	s_cbranch_vccnz .LBB28_21
; %bb.31:                               ;   in Loop: Header=BB28_22 Depth=1
	v_add_co_u32 v32, vcc_lo, v242, s71
	s_wait_alu 0xfffd
	v_add_co_ci_u32_e64 v33, null, s77, v243, vcc_lo
	global_load_u16 v32, v[32:33], off
	s_wait_loadcnt 0x0
	v_fma_mix_f32 v38, v213, v32, v38 op_sel_hi:[0,1,0]
	s_branch .LBB28_21
.LBB28_32:
	s_clause 0x5
	scratch_load_b32 v119, off, off offset:1172
	scratch_load_b32 v37, off, off offset:1176
	;; [unrolled: 1-line block ×5, first 2 shown]
	scratch_load_b64 v[22:23], off, off offset:644
	v_dual_mov_b32 v55, v36 :: v_dual_mov_b32 v54, v35
	v_mbcnt_lo_u32_b32 v242, -1, 0
.LBB28_33:
	s_cmp_eq_u64 s[60:61], 0
	s_cselect_b32 s1, -1, 0
	s_cmp_lg_u32 s62, 0
	s_cselect_b32 s4, -1, 0
	s_wait_alu 0xfffe
	s_or_b32 s1, s4, s1
	s_wait_alu 0xfffe
	s_nor_b32 s0, s1, s0
	s_wait_alu 0xfffe
	s_and_saveexec_b32 s1, s0
	s_cbranch_execz .LBB28_35
; %bb.34:
	s_ashr_i32 s77, s76, 31
	s_wait_loadcnt 0x4
	v_cmp_eq_u32_e32 vcc_lo, 1, v37
	s_wait_alu 0xfffe
	s_lshl_b64 s[4:5], s[76:77], 2
	v_lshl_add_u32 v9, v37, 4, v127
	s_wait_alu 0xfffe
	s_add_nc_u64 s[4:5], s[60:61], s[4:5]
	s_wait_alu 0xfffd
	v_cndmask_b32_e32 v0, v54, v55, vcc_lo
	s_load_b32 s0, s[4:5], 0x0
	s_delay_alu instid0(VALU_DEP_1) | instskip(SKIP_2) | instid1(VALU_DEP_1)
	v_max_num_f32_e32 v1, v0, v0
	s_wait_kmcnt 0x0
	v_max_num_f32_e64 v2, s0, s0
	v_max_num_f32_e32 v4, v1, v2
	s_delay_alu instid0(VALU_DEP_1) | instskip(NEXT) | instid1(VALU_DEP_1)
	v_sub_f32_e32 v6, s0, v4
	v_mul_f32_e32 v3, 0x3fb8aa3b, v6
	v_sub_f32_e32 v5, v0, v4
	s_delay_alu instid0(VALU_DEP_2) | instskip(NEXT) | instid1(VALU_DEP_2)
	v_rndne_f32_e32 v8, v3
	v_mul_f32_e32 v0, 0x3fb8aa3b, v5
	v_fma_f32 v7, 0x3fb8aa3b, v6, -v3
	v_cmp_ngt_f32_e64 s0, 0xc2ce8ed0, v5
	s_delay_alu instid0(VALU_DEP_3) | instskip(SKIP_1) | instid1(VALU_DEP_4)
	v_fma_f32 v1, 0x3fb8aa3b, v5, -v0
	v_rndne_f32_e32 v2, v0
	v_fmac_f32_e32 v7, 0x32a5705f, v6
	s_delay_alu instid0(VALU_DEP_2) | instskip(SKIP_1) | instid1(VALU_DEP_2)
	v_dual_fmac_f32 v1, 0x32a5705f, v5 :: v_dual_sub_f32 v0, v0, v2
	v_cvt_i32_f32_e32 v2, v2
	v_dual_cndmask_b32 v55, v55, v4 :: v_dual_add_f32 v0, v0, v1
	v_sub_f32_e32 v1, v3, v8
	v_cvt_i32_f32_e32 v8, v8
	s_delay_alu instid0(VALU_DEP_3) | instskip(NEXT) | instid1(VALU_DEP_2)
	v_exp_f32_e32 v0, v0
	v_add_f32_e32 v1, v1, v7
	s_delay_alu instid0(VALU_DEP_1) | instskip(NEXT) | instid1(TRANS32_DEP_2)
	v_exp_f32_e32 v7, v1
	v_ldexp_f32 v0, v0, v2
	s_wait_alu 0xf1ff
	s_delay_alu instid0(VALU_DEP_1) | instskip(SKIP_1) | instid1(TRANS32_DEP_1)
	v_cndmask_b32_e64 v10, 0, v0, s0
	v_cmp_nlt_f32_e64 s0, 0x42b17218, v5
	v_ldexp_f32 v7, v7, v8
	ds_load_b128 v[0:3], v9
	s_wait_alu 0xf1ff
	v_cndmask_b32_e64 v5, 0x7f800000, v10, s0
	v_cmp_ngt_f32_e64 s0, 0xc2ce8ed0, v6
	s_delay_alu instid0(VALU_DEP_2) | instskip(SKIP_1) | instid1(VALU_DEP_2)
	v_cvt_f16_f32_e32 v8, v5
	s_wait_alu 0xf1ff
	v_cndmask_b32_e64 v7, 0, v7, s0
	v_cmp_nlt_f32_e64 s0, 0x42b17218, v6
	s_wait_alu 0xf1ff
	s_delay_alu instid0(VALU_DEP_1) | instskip(SKIP_2) | instid1(VALU_DEP_1)
	v_cndmask_b32_e64 v6, 0x7f800000, v7, s0
	v_cmp_eq_u32_e64 s0, 0, v119
	s_wait_alu 0xf1ff
	v_cndmask_b32_e64 v6, 0, v6, s0
	s_wait_loadcnt 0x0
	v_dual_cndmask_b32 v8, v22, v23 :: v_dual_and_b32 v7, 0xffff, v8
	v_cmp_eq_u32_e64 s0, 0, v37
	s_delay_alu instid0(VALU_DEP_2) | instskip(NEXT) | instid1(VALU_DEP_3)
	v_fmac_f32_e32 v6, v8, v5
	v_mul_u32_u24_e32 v7, 0x10001, v7
	s_wait_alu 0xf1ff
	s_delay_alu instid0(VALU_DEP_3) | instskip(NEXT) | instid1(VALU_DEP_3)
	v_cndmask_b32_e64 v54, v54, v4, s0
	v_cndmask_b32_e32 v23, v23, v6, vcc_lo
	s_wait_dscnt 0x0
	v_pk_mul_f16 v0, v0, v7
	v_pk_mul_f16 v1, v1, v7
	;; [unrolled: 1-line block ×4, first 2 shown]
	v_cndmask_b32_e64 v22, v22, v6, s0
	ds_store_b128 v9, v[0:3]
.LBB28_35:
	s_wait_alu 0xfffe
	s_or_b32 exec_lo, exec_lo, s1
	s_wait_loadcnt 0x2
	v_add_nc_u32_e32 v2, 0x900, v39
	v_add_nc_u32_e32 v8, 0x800, v39
	s_mov_b32 s0, exec_lo
	v_cmpx_eq_u32_e32 0, v37
	s_cbranch_execz .LBB28_37
; %bb.36:
	v_dual_mov_b32 v0, 0xfeffffff :: v_dual_mov_b32 v1, 0
	ds_store_2addr_b32 v8, v0, v0 offset1:32
	ds_store_2addr_b32 v2, v1, v1 offset1:32
.LBB28_37:
	s_wait_alu 0xfffe
	s_or_b32 exec_lo, exec_lo, s0
	v_cmp_eq_u32_e64 s0, 0, v119
	s_wait_storecnt 0x0
	s_wait_loadcnt_dscnt 0x0
	s_barrier_signal -1
	s_barrier_wait -1
	global_inv scope:SCOPE_SE
	s_and_saveexec_b32 s1, s0
; %bb.38:
	v_lshlrev_b32_e32 v0, 2, v37
	s_delay_alu instid0(VALU_DEP_1)
	v_add_nc_u32_e32 v0, 0x800, v0
	ds_store_2addr_b32 v0, v54, v55 offset1:32
; %bb.39:
	s_wait_alu 0xfffe
	s_or_b32 exec_lo, exec_lo, s1
	s_cmp_lt_i32 s94, s72
	s_wait_loadcnt_dscnt 0x0
	s_barrier_signal -1
	s_barrier_wait -1
	global_inv scope:SCOPE_SE
	s_cbranch_scc1 .LBB28_41
; %bb.40:
	s_load_b32 s4, s[2:3], 0xd4
	s_cbranch_execz .LBB28_42
	s_branch .LBB28_49
.LBB28_41:
                                        ; implicit-def: $sgpr4
.LBB28_42:
	ds_load_b32 v0, v8
	v_xor_b32_e32 v1, 16, v242
	v_xor_b32_e32 v4, 8, v242
	;; [unrolled: 1-line block ×4, first 2 shown]
	s_wait_kmcnt 0x0
	s_load_b32 s4, s[2:3], 0xd4
	v_cmp_gt_i32_e32 vcc_lo, 32, v1
	s_wait_alu 0xfffd
	v_dual_cndmask_b32 v1, v242, v1 :: v_dual_lshlrev_b32 v20, 3, v119
	v_cmp_gt_i32_e32 vcc_lo, 32, v4
	s_wait_alu 0xfffd
	s_delay_alu instid0(VALU_DEP_2)
	v_dual_cndmask_b32 v4, v242, v4 :: v_dual_lshlrev_b32 v3, 2, v1
	v_cmp_gt_i32_e32 vcc_lo, 32, v5
	s_wait_dscnt 0x0
	ds_bpermute_b32 v1, v3, v0
	s_wait_alu 0xfffd
	v_dual_max_num_f32 v0, v0, v0 :: v_dual_cndmask_b32 v5, v242, v5
	v_cmp_gt_i32_e32 vcc_lo, 32, v6
	v_lshlrev_b32_e32 v4, 2, v4
	s_wait_alu 0xfffd
	v_cndmask_b32_e32 v6, v242, v6, vcc_lo
	s_delay_alu instid0(VALU_DEP_1) | instskip(SKIP_1) | instid1(VALU_DEP_1)
	v_lshlrev_b32_e32 v7, 2, v6
	v_xor_b32_e32 v6, 1, v242
	v_cmp_gt_i32_e32 vcc_lo, 32, v6
	s_wait_dscnt 0x0
	s_wait_alu 0xfffd
	v_dual_max_num_f32 v1, v1, v1 :: v_dual_cndmask_b32 v6, v242, v6
	s_delay_alu instid0(VALU_DEP_1) | instskip(NEXT) | instid1(VALU_DEP_2)
	v_max_num_f32_e32 v0, v0, v1
	v_lshlrev_b32_e32 v6, 2, v6
	ds_bpermute_b32 v1, v4, v0
	v_lshlrev_b32_e32 v5, 2, v5
	s_wait_dscnt 0x0
	v_max_num_f32_e32 v1, v1, v1
	s_delay_alu instid0(VALU_DEP_1) | instskip(SKIP_3) | instid1(VALU_DEP_1)
	v_max_num_f32_e32 v0, v0, v1
	ds_bpermute_b32 v1, v5, v0
	s_wait_dscnt 0x0
	v_max_num_f32_e32 v1, v1, v1
	v_max_num_f32_e32 v0, v0, v1
	ds_bpermute_b32 v1, v7, v0
	s_wait_dscnt 0x0
	v_max_num_f32_e32 v1, v1, v1
	s_delay_alu instid0(VALU_DEP_1) | instskip(SKIP_3) | instid1(VALU_DEP_1)
	v_max_num_f32_e32 v0, v0, v1
	ds_bpermute_b32 v1, v6, v0
	s_wait_dscnt 0x0
	v_max_num_f32_e32 v1, v1, v1
	v_max_num_f32_e32 v0, v0, v1
	s_delay_alu instid0(VALU_DEP_1) | instskip(NEXT) | instid1(VALU_DEP_1)
	v_sub_f32_e32 v1, v54, v0
	v_mul_f32_e32 v9, 0x3fb8aa3b, v1
	v_cmp_ngt_f32_e32 vcc_lo, 0xc2ce8ed0, v1
	s_delay_alu instid0(VALU_DEP_2) | instskip(SKIP_1) | instid1(VALU_DEP_2)
	v_fma_f32 v10, 0x3fb8aa3b, v1, -v9
	v_rndne_f32_e32 v11, v9
	v_fmamk_f32 v10, v1, 0x32a5705f, v10
	s_delay_alu instid0(VALU_DEP_2) | instskip(NEXT) | instid1(VALU_DEP_1)
	v_sub_f32_e32 v9, v9, v11
	v_add_f32_e32 v9, v9, v10
	v_cvt_i32_f32_e32 v10, v11
	s_delay_alu instid0(VALU_DEP_2) | instskip(NEXT) | instid1(TRANS32_DEP_1)
	v_exp_f32_e32 v9, v9
	v_ldexp_f32 v9, v9, v10
	s_wait_alu 0xfffd
	s_delay_alu instid0(VALU_DEP_1) | instskip(SKIP_2) | instid1(VALU_DEP_2)
	v_cndmask_b32_e32 v9, 0, v9, vcc_lo
	v_cmp_nlt_f32_e32 vcc_lo, 0x42b17218, v1
	s_wait_alu 0xfffd
	v_cndmask_b32_e32 v1, 0x7f800000, v9, vcc_lo
	s_delay_alu instid0(VALU_DEP_1)
	v_mul_f32_e32 v9, v1, v22
	ds_bpermute_b32 v9, v3, v9
	s_wait_dscnt 0x0
	v_fmac_f32_e32 v9, v1, v22
	v_cvt_f16_f32_e32 v1, v1
	ds_bpermute_b32 v10, v4, v9
	v_and_b32_e32 v1, 0xffff, v1
	s_delay_alu instid0(VALU_DEP_1)
	v_mul_u32_u24_e32 v1, 0x10001, v1
	s_wait_dscnt 0x0
	v_add_f32_e32 v9, v9, v10
	ds_bpermute_b32 v10, v5, v9
	s_wait_dscnt 0x0
	v_add_f32_e32 v9, v9, v10
	ds_load_b128 v[10:13], v127
	ds_bpermute_b32 v14, v7, v9
	s_wait_dscnt 0x1
	v_pk_mul_f16 v15, v11, v1
	v_pk_mul_f16 v16, v12, v1
	;; [unrolled: 1-line block ×3, first 2 shown]
	s_wait_dscnt 0x0
	v_add_f32_e32 v18, v9, v14
	v_lshl_add_u32 v9, v37, 2, 0x900
	v_pk_mul_f16 v14, v10, v1
	v_add_nc_u32_e32 v10, v38, v20
	ds_store_b128 v127, v[14:17]
	ds_store_2addr_b64 v10, v[14:15], v[16:17] offset1:32
	ds_bpermute_b32 v19, v6, v18
	s_wait_dscnt 0x0
	v_add_f32_e32 v1, v18, v19
	s_and_saveexec_b32 s1, s0
; %bb.43:
	ds_store_b32 v9, v1
; %bb.44:
	s_wait_alu 0xfffe
	s_or_b32 exec_lo, exec_lo, s1
	s_wait_loadcnt_dscnt 0x0
	s_barrier_signal -1
	s_barrier_wait -1
	global_inv scope:SCOPE_SE
	scratch_load_b32 v19, off, off offset:1140 ; 4-byte Folded Reload
	ds_load_b32 v1, v2
	s_wait_kmcnt 0x0
	s_cmp_eq_u32 s4, 1
	s_mul_i32 s3, s74, s72
	s_cselect_b32 s1, -1, 0
	s_add_co_i32 s3, s3, s94
	s_wait_loadcnt 0x0
	ds_load_u16 v11, v19
	ds_load_u16 v12, v19 offset:1280
	ds_load_u16 v13, v19 offset:768
	;; [unrolled: 1-line block ×3, first 2 shown]
	s_wait_dscnt 0x4
	ds_bpermute_b32 v15, v3, v1
	ds_load_u16 v16, v19 offset:512
	ds_load_u16 v17, v19 offset:1024
	;; [unrolled: 1-line block ×3, first 2 shown]
	s_mul_i32 s3, s3, s73
	s_delay_alu instid0(SALU_CYCLE_1) | instskip(NEXT) | instid1(SALU_CYCLE_1)
	s_add_co_i32 s3, s3, s76
	s_mul_i32 s5, s4, s3
	s_wait_alu 0xfffe
	s_add_co_i32 s5, s5, s62
	s_wait_dscnt 0x7
	v_cvt_f32_f16_e32 v11, v11
	s_wait_dscnt 0x6
	v_cvt_f32_f16_e32 v12, v12
	;; [unrolled: 2-line block ×3, first 2 shown]
	v_add_f32_e32 v1, v1, v15
	v_add_f32_e32 v11, 0, v11
	s_wait_dscnt 0x1
	v_cvt_f32_f16_e32 v17, v17
	s_wait_dscnt 0x0
	v_cvt_f32_f16_e32 v18, v18
	v_cvt_f32_f16_e32 v14, v14
	ds_bpermute_b32 v15, v4, v1
	s_wait_dscnt 0x0
	v_add_f32_e32 v1, v1, v15
	ds_bpermute_b32 v15, v5, v1
	s_wait_dscnt 0x0
	v_add_f32_e32 v1, v1, v15
	;; [unrolled: 3-line block ×3, first 2 shown]
	ds_bpermute_b32 v15, v6, v1
	v_add_f32_e32 v11, v11, v16
	ds_load_u16 v16, v19 offset:1792
	s_wait_dscnt 0x1
	v_dual_add_f32 v22, v1, v15 :: v_dual_add_f32 v11, v11, v17
	v_cvt_f32_f16_e32 v1, v13
	s_delay_alu instid0(VALU_DEP_2) | instskip(SKIP_3) | instid1(VALU_DEP_3)
	v_add_f32_e32 v17, v11, v18
	v_add_f32_e32 v11, 0, v14
	s_wait_dscnt 0x0
	v_cvt_f32_f16_e32 v14, v16
	v_div_scale_f32 v13, null, v22, v22, v17
	s_delay_alu instid0(VALU_DEP_3) | instskip(SKIP_1) | instid1(VALU_DEP_3)
	v_add_f32_e32 v1, v11, v1
	v_div_scale_f32 v15, vcc_lo, v17, v22, v17
	v_rcp_f32_e32 v11, v13
	s_delay_alu instid0(VALU_DEP_2) | instskip(NEXT) | instid1(TRANS32_DEP_1)
	v_add_f32_e32 v1, v1, v12
	v_fma_f32 v12, -v13, v11, 1.0
	s_delay_alu instid0(VALU_DEP_1) | instskip(NEXT) | instid1(VALU_DEP_1)
	v_fmac_f32_e32 v11, v12, v11
	v_dual_mul_f32 v12, v15, v11 :: v_dual_add_f32 v1, v1, v14
	s_delay_alu instid0(VALU_DEP_1) | instskip(NEXT) | instid1(VALU_DEP_2)
	v_fma_f32 v18, -v13, v12, v15
	v_div_scale_f32 v14, null, v22, v22, v1
	s_delay_alu instid0(VALU_DEP_2) | instskip(NEXT) | instid1(VALU_DEP_2)
	v_fmac_f32_e32 v12, v18, v11
	v_rcp_f32_e32 v16, v14
	v_div_scale_f32 v18, s2, v1, v22, v1
	s_delay_alu instid0(VALU_DEP_2) | instskip(SKIP_1) | instid1(VALU_DEP_1)
	v_fma_f32 v13, -v13, v12, v15
	s_wait_alu 0xfffd
	v_div_fmas_f32 v11, v13, v11, v12
	s_delay_alu instid0(TRANS32_DEP_1) | instskip(SKIP_2) | instid1(VALU_DEP_2)
	v_fma_f32 v19, -v14, v16, 1.0
	s_mov_b32 vcc_lo, s2
	s_or_b32 s2, s94, 1
	v_div_fixup_f32 v13, v11, v22, v17
	s_delay_alu instid0(VALU_DEP_2)
	v_fmac_f32_e32 v16, v19, v16
	s_wait_alu 0xfffe
	v_lshl_or_b32 v11, s5, 8, v21
	s_cmp_ge_i32 s2, s72
	v_cndmask_b32_e64 v13, v17, v13, s1
	v_mul_f32_e32 v15, v18, v16
	s_delay_alu instid0(VALU_DEP_1) | instskip(NEXT) | instid1(VALU_DEP_1)
	v_fma_f32 v12, -v14, v15, v18
	v_dual_fmac_f32 v15, v12, v16 :: v_dual_mov_b32 v12, 0
	s_delay_alu instid0(VALU_DEP_1) | instskip(NEXT) | instid1(VALU_DEP_2)
	v_fma_f32 v14, -v14, v15, v18
	v_lshlrev_b64_e32 v[11:12], 2, v[11:12]
	s_delay_alu instid0(VALU_DEP_2) | instskip(NEXT) | instid1(VALU_DEP_2)
	v_div_fmas_f32 v14, v14, v16, v15
	v_add_co_u32 v11, vcc_lo, s64, v11
	s_wait_alu 0xfffd
	s_delay_alu instid0(VALU_DEP_3) | instskip(NEXT) | instid1(VALU_DEP_3)
	v_add_co_ci_u32_e64 v12, null, s65, v12, vcc_lo
	v_div_fixup_f32 v14, v14, v22, v1
	s_delay_alu instid0(VALU_DEP_1)
	v_cndmask_b32_e64 v14, v1, v14, s1
	v_mov_b32_e32 v1, v55
	s_clause 0x1
	global_store_b32 v[11:12], v13, off
	global_store_b32 v[11:12], v14, off offset:512
	s_wait_storecnt 0x0
	s_barrier_signal -1
	s_barrier_wait -1
	global_inv scope:SCOPE_SE
	s_cbranch_scc1 .LBB28_48
; %bb.45:
	ds_load_b32 v1, v8 offset:128
	s_wait_dscnt 0x0
	ds_bpermute_b32 v8, v3, v1
	s_wait_dscnt 0x0
	v_dual_max_num_f32 v1, v1, v1 :: v_dual_max_num_f32 v8, v8, v8
	s_delay_alu instid0(VALU_DEP_1) | instskip(SKIP_3) | instid1(VALU_DEP_1)
	v_max_num_f32_e32 v1, v1, v8
	ds_bpermute_b32 v8, v4, v1
	s_wait_dscnt 0x0
	v_max_num_f32_e32 v8, v8, v8
	v_max_num_f32_e32 v1, v1, v8
	ds_bpermute_b32 v8, v5, v1
	s_wait_dscnt 0x0
	v_max_num_f32_e32 v8, v8, v8
	s_delay_alu instid0(VALU_DEP_1) | instskip(SKIP_3) | instid1(VALU_DEP_1)
	v_max_num_f32_e32 v1, v1, v8
	ds_bpermute_b32 v8, v7, v1
	s_wait_dscnt 0x0
	v_max_num_f32_e32 v8, v8, v8
	v_max_num_f32_e32 v1, v1, v8
	ds_bpermute_b32 v8, v6, v1
	s_wait_dscnt 0x0
	v_max_num_f32_e32 v8, v8, v8
	s_delay_alu instid0(VALU_DEP_1) | instskip(NEXT) | instid1(VALU_DEP_1)
	v_max_num_f32_e32 v1, v1, v8
	v_sub_f32_e32 v8, v55, v1
	s_delay_alu instid0(VALU_DEP_1) | instskip(SKIP_1) | instid1(VALU_DEP_2)
	v_mul_f32_e32 v11, 0x3fb8aa3b, v8
	v_cmp_ngt_f32_e32 vcc_lo, 0xc2ce8ed0, v8
	v_fma_f32 v12, 0x3fb8aa3b, v8, -v11
	v_rndne_f32_e32 v13, v11
	s_delay_alu instid0(VALU_DEP_1) | instskip(NEXT) | instid1(VALU_DEP_1)
	v_dual_fmamk_f32 v12, v8, 0x32a5705f, v12 :: v_dual_sub_f32 v11, v11, v13
	v_add_f32_e32 v11, v11, v12
	v_cvt_i32_f32_e32 v12, v13
	s_delay_alu instid0(VALU_DEP_2) | instskip(NEXT) | instid1(TRANS32_DEP_1)
	v_exp_f32_e32 v11, v11
	v_ldexp_f32 v11, v11, v12
	s_wait_alu 0xfffd
	s_delay_alu instid0(VALU_DEP_1) | instskip(SKIP_2) | instid1(VALU_DEP_2)
	v_cndmask_b32_e32 v11, 0, v11, vcc_lo
	v_cmp_nlt_f32_e32 vcc_lo, 0x42b17218, v8
	s_wait_alu 0xfffd
	v_cndmask_b32_e32 v8, 0x7f800000, v11, vcc_lo
	s_delay_alu instid0(VALU_DEP_1)
	v_mul_f32_e32 v11, v8, v23
	ds_bpermute_b32 v11, v3, v11
	s_wait_dscnt 0x0
	v_fmac_f32_e32 v11, v8, v23
	v_cvt_f16_f32_e32 v8, v8
	ds_bpermute_b32 v12, v4, v11
	v_and_b32_e32 v8, 0xffff, v8
	s_delay_alu instid0(VALU_DEP_1)
	v_mul_u32_u24_e32 v8, 0x10001, v8
	s_wait_dscnt 0x0
	v_add_f32_e32 v11, v11, v12
	ds_bpermute_b32 v12, v5, v11
	s_wait_dscnt 0x0
	v_add_f32_e32 v15, v11, v12
	ds_load_b128 v[11:14], v127 offset:16
	ds_bpermute_b32 v16, v7, v15
	s_wait_dscnt 0x1
	v_pk_mul_f16 v11, v11, v8
	v_pk_mul_f16 v12, v12, v8
	;; [unrolled: 1-line block ×4, first 2 shown]
	s_wait_dscnt 0x0
	v_add_f32_e32 v15, v15, v16
	ds_store_b128 v127, v[11:14] offset:16
	ds_store_2addr_b64 v10, v[11:12], v[13:14] offset1:32
	ds_bpermute_b32 v16, v6, v15
	s_wait_dscnt 0x0
	v_add_f32_e32 v8, v15, v16
	s_and_saveexec_b32 s2, s0
; %bb.46:
	ds_store_b32 v9, v8 offset:128
; %bb.47:
	s_or_b32 exec_lo, exec_lo, s2
	s_wait_loadcnt_dscnt 0x0
	s_barrier_signal -1
	s_barrier_wait -1
	global_inv scope:SCOPE_SE
	scratch_load_b32 v12, off, off offset:1140 th:TH_LOAD_LU ; 4-byte Folded Reload
	ds_load_b32 v2, v2 offset:128
	s_add_co_i32 s3, s3, s73
	s_wait_loadcnt 0x0
	ds_load_u16 v8, v12
	ds_load_u16 v9, v12 offset:1280
	ds_load_u16 v10, v12 offset:768
	;; [unrolled: 1-line block ×3, first 2 shown]
	s_wait_dscnt 0x4
	ds_bpermute_b32 v3, v3, v2
	s_mul_i32 s2, s4, s3
	s_delay_alu instid0(SALU_CYCLE_1)
	s_add_co_i32 s2, s2, s62
	s_wait_dscnt 0x4
	v_cvt_f32_f16_e32 v8, v8
	s_wait_dscnt 0x2
	v_cvt_f32_f16_e32 v10, v10
	s_wait_dscnt 0x1
	v_cvt_f32_f16_e32 v11, v11
	s_delay_alu instid0(VALU_DEP_1)
	v_dual_add_f32 v8, 0, v8 :: v_dual_add_f32 v11, 0, v11
	s_wait_dscnt 0x0
	v_add_f32_e32 v2, v2, v3
	ds_bpermute_b32 v3, v4, v2
	s_wait_dscnt 0x0
	v_add_f32_e32 v2, v2, v3
	ds_bpermute_b32 v3, v5, v2
	;; [unrolled: 3-line block ×3, first 2 shown]
	ds_load_u16 v4, v12 offset:512
	ds_load_u16 v5, v12 offset:1024
	ds_load_u16 v7, v12 offset:1536
	s_wait_dscnt 0x2
	v_cvt_f32_f16_e32 v4, v4
	v_add_f32_e32 v2, v2, v3
	ds_load_u16 v3, v12 offset:1792
	s_wait_dscnt 0x2
	v_cvt_f32_f16_e32 v5, v5
	s_wait_dscnt 0x1
	v_cvt_f32_f16_e32 v7, v7
	ds_bpermute_b32 v6, v6, v2
	v_add_f32_e32 v4, v8, v4
	v_cvt_f32_f16_e32 v8, v9
	v_add_f32_e32 v9, v11, v10
	s_wait_dscnt 0x1
	v_cvt_f32_f16_e32 v3, v3
	s_wait_dscnt 0x0
	v_dual_add_f32 v23, v2, v6 :: v_dual_add_f32 v4, v4, v5
	v_add_f32_e32 v5, v9, v8
	s_delay_alu instid0(VALU_DEP_1) | instskip(NEXT) | instid1(VALU_DEP_3)
	v_add_f32_e32 v5, v5, v3
	v_add_f32_e32 v4, v4, v7
	s_delay_alu instid0(VALU_DEP_2) | instskip(NEXT) | instid1(VALU_DEP_2)
	v_div_scale_f32 v6, null, v23, v23, v5
	v_div_scale_f32 v2, null, v23, v23, v4
	v_div_scale_f32 v10, vcc_lo, v4, v23, v4
	s_delay_alu instid0(VALU_DEP_3) | instskip(NEXT) | instid1(VALU_DEP_2)
	v_rcp_f32_e32 v8, v6
	v_rcp_f32_e32 v7, v2
	v_div_scale_f32 v11, s0, v5, v23, v5
	s_delay_alu instid0(TRANS32_DEP_2) | instskip(NEXT) | instid1(TRANS32_DEP_1)
	v_fma_f32 v9, -v6, v8, 1.0
	v_fma_f32 v3, -v2, v7, 1.0
	s_delay_alu instid0(VALU_DEP_1) | instskip(NEXT) | instid1(VALU_DEP_1)
	v_dual_fmac_f32 v8, v9, v8 :: v_dual_fmac_f32 v7, v3, v7
	v_dual_mul_f32 v12, v11, v8 :: v_dual_mul_f32 v9, v10, v7
	s_delay_alu instid0(VALU_DEP_1) | instskip(NEXT) | instid1(VALU_DEP_2)
	v_fma_f32 v13, -v6, v12, v11
	v_fma_f32 v3, -v2, v9, v10
	s_delay_alu instid0(VALU_DEP_1) | instskip(SKIP_1) | instid1(VALU_DEP_2)
	v_dual_fmac_f32 v12, v13, v8 :: v_dual_fmac_f32 v9, v3, v7
	v_mov_b32_e32 v3, 0
	v_fma_f32 v6, -v6, v12, v11
	s_delay_alu instid0(VALU_DEP_3) | instskip(SKIP_1) | instid1(VALU_DEP_1)
	v_fma_f32 v2, -v2, v9, v10
	s_wait_alu 0xfffd
	v_div_fmas_f32 v7, v2, v7, v9
	v_lshl_or_b32 v2, s2, 8, v21
	s_mov_b32 vcc_lo, s0
	s_wait_alu 0xfffe
	v_div_fmas_f32 v6, v6, v8, v12
	v_div_fixup_f32 v7, v7, v23, v4
	v_lshlrev_b64_e32 v[2:3], 2, v[2:3]
	s_delay_alu instid0(VALU_DEP_3) | instskip(NEXT) | instid1(VALU_DEP_3)
	v_div_fixup_f32 v6, v6, v23, v5
	v_cndmask_b32_e64 v4, v4, v7, s1
	s_delay_alu instid0(VALU_DEP_3) | instskip(SKIP_1) | instid1(VALU_DEP_4)
	v_add_co_u32 v2, vcc_lo, s64, v2
	s_wait_alu 0xfffd
	v_add_co_ci_u32_e64 v3, null, s65, v3, vcc_lo
	v_cndmask_b32_e64 v5, v5, v6, s1
	s_clause 0x1
	global_store_b32 v[2:3], v4, off
	global_store_b32 v[2:3], v5, off offset:512
.LBB28_48:
	v_dual_mov_b32 v55, v1 :: v_dual_mov_b32 v54, v0
.LBB28_49:
	v_or_b32_e32 v0, s94, v119
	v_cmp_gt_u32_e32 vcc_lo, 2, v21
	s_wait_kmcnt 0x0
	s_cmp_lg_u32 s4, 1
	s_cselect_b32 s1, -1, 0
	v_cmp_gt_i32_e64 s0, s72, v0
	s_wait_alu 0xfffe
	s_and_b32 s1, s1, vcc_lo
	s_wait_alu 0xfffe
	s_and_b32 s0, s1, s0
	s_wait_alu 0xfffe
	s_and_saveexec_b32 s1, s0
	s_cbranch_execz .LBB28_51
; %bb.50:
	v_mad_co_u64_u32 v[0:1], null, s74, s72, v[0:1]
	v_cmp_eq_u32_e32 vcc_lo, 1, v21
	s_wait_alu 0xfffd
	v_cndmask_b32_e32 v3, v22, v23, vcc_lo
	s_delay_alu instid0(VALU_DEP_3) | instskip(SKIP_1) | instid1(VALU_DEP_2)
	v_mad_co_u64_u32 v[0:1], null, v0, s73, s[76:77]
	v_cndmask_b32_e32 v2, v54, v55, vcc_lo
	v_mad_co_u64_u32 v[0:1], null, s4, v0, s[62:63]
	v_mov_b32_e32 v1, 0
	s_delay_alu instid0(VALU_DEP_1) | instskip(NEXT) | instid1(VALU_DEP_1)
	v_lshlrev_b64_e32 v[0:1], 3, v[0:1]
	v_add_co_u32 v0, vcc_lo, s66, v0
	s_wait_alu 0xfffd
	s_delay_alu instid0(VALU_DEP_2)
	v_add_co_ci_u32_e64 v1, null, s67, v1, vcc_lo
	global_store_b64 v[0:1], v[2:3], off
.LBB28_51:
	s_nop 0
	s_sendmsg sendmsg(MSG_DEALLOC_VGPRS)
	s_endpgm
	.section	.rodata,"a",@progbits
	.p2align	6, 0x0
	.amdhsa_kernel _ZL18flash_attn_ext_vecILi256ELi2EL9ggml_type3ELS0_2ELb0EEvPKcS2_S2_S2_S2_PKiPfP15HIP_vector_typeIfLj2EEffffjfiS6_IjLj3EEiiiiiiiiiiiliiliiiiil
		.amdhsa_group_segment_fixed_size 6656
		.amdhsa_private_segment_fixed_size 1196
		.amdhsa_kernarg_size 464
		.amdhsa_user_sgpr_count 4
		.amdhsa_user_sgpr_dispatch_ptr 1
		.amdhsa_user_sgpr_queue_ptr 0
		.amdhsa_user_sgpr_kernarg_segment_ptr 1
		.amdhsa_user_sgpr_dispatch_id 0
		.amdhsa_user_sgpr_private_segment_size 0
		.amdhsa_wavefront_size32 1
		.amdhsa_uses_dynamic_stack 0
		.amdhsa_enable_private_segment 1
		.amdhsa_system_sgpr_workgroup_id_x 1
		.amdhsa_system_sgpr_workgroup_id_y 1
		.amdhsa_system_sgpr_workgroup_id_z 1
		.amdhsa_system_sgpr_workgroup_info 0
		.amdhsa_system_vgpr_workitem_id 2
		.amdhsa_next_free_vgpr 256
		.amdhsa_next_free_sgpr 97
		.amdhsa_reserve_vcc 1
		.amdhsa_float_round_mode_32 0
		.amdhsa_float_round_mode_16_64 0
		.amdhsa_float_denorm_mode_32 3
		.amdhsa_float_denorm_mode_16_64 3
		.amdhsa_fp16_overflow 0
		.amdhsa_workgroup_processor_mode 1
		.amdhsa_memory_ordered 1
		.amdhsa_forward_progress 1
		.amdhsa_inst_pref_size 255
		.amdhsa_round_robin_scheduling 0
		.amdhsa_exception_fp_ieee_invalid_op 0
		.amdhsa_exception_fp_denorm_src 0
		.amdhsa_exception_fp_ieee_div_zero 0
		.amdhsa_exception_fp_ieee_overflow 0
		.amdhsa_exception_fp_ieee_underflow 0
		.amdhsa_exception_fp_ieee_inexact 0
		.amdhsa_exception_int_div_zero 0
	.end_amdhsa_kernel
	.section	.text._ZL18flash_attn_ext_vecILi256ELi2EL9ggml_type3ELS0_2ELb0EEvPKcS2_S2_S2_S2_PKiPfP15HIP_vector_typeIfLj2EEffffjfiS6_IjLj3EEiiiiiiiiiiiliiliiiiil,"axG",@progbits,_ZL18flash_attn_ext_vecILi256ELi2EL9ggml_type3ELS0_2ELb0EEvPKcS2_S2_S2_S2_PKiPfP15HIP_vector_typeIfLj2EEffffjfiS6_IjLj3EEiiiiiiiiiiiliiliiiiil,comdat
.Lfunc_end28:
	.size	_ZL18flash_attn_ext_vecILi256ELi2EL9ggml_type3ELS0_2ELb0EEvPKcS2_S2_S2_S2_PKiPfP15HIP_vector_typeIfLj2EEffffjfiS6_IjLj3EEiiiiiiiiiiiliiliiiiil, .Lfunc_end28-_ZL18flash_attn_ext_vecILi256ELi2EL9ggml_type3ELS0_2ELb0EEvPKcS2_S2_S2_S2_PKiPfP15HIP_vector_typeIfLj2EEffffjfiS6_IjLj3EEiiiiiiiiiiiliiliiiiil
                                        ; -- End function
	.set _ZL18flash_attn_ext_vecILi256ELi2EL9ggml_type3ELS0_2ELb0EEvPKcS2_S2_S2_S2_PKiPfP15HIP_vector_typeIfLj2EEffffjfiS6_IjLj3EEiiiiiiiiiiiliiliiiiil.num_vgpr, 256
	.set _ZL18flash_attn_ext_vecILi256ELi2EL9ggml_type3ELS0_2ELb0EEvPKcS2_S2_S2_S2_PKiPfP15HIP_vector_typeIfLj2EEffffjfiS6_IjLj3EEiiiiiiiiiiiliiliiiiil.num_agpr, 0
	.set _ZL18flash_attn_ext_vecILi256ELi2EL9ggml_type3ELS0_2ELb0EEvPKcS2_S2_S2_S2_PKiPfP15HIP_vector_typeIfLj2EEffffjfiS6_IjLj3EEiiiiiiiiiiiliiliiiiil.numbered_sgpr, 97
	.set _ZL18flash_attn_ext_vecILi256ELi2EL9ggml_type3ELS0_2ELb0EEvPKcS2_S2_S2_S2_PKiPfP15HIP_vector_typeIfLj2EEffffjfiS6_IjLj3EEiiiiiiiiiiiliiliiiiil.num_named_barrier, 0
	.set _ZL18flash_attn_ext_vecILi256ELi2EL9ggml_type3ELS0_2ELb0EEvPKcS2_S2_S2_S2_PKiPfP15HIP_vector_typeIfLj2EEffffjfiS6_IjLj3EEiiiiiiiiiiiliiliiiiil.private_seg_size, 1196
	.set _ZL18flash_attn_ext_vecILi256ELi2EL9ggml_type3ELS0_2ELb0EEvPKcS2_S2_S2_S2_PKiPfP15HIP_vector_typeIfLj2EEffffjfiS6_IjLj3EEiiiiiiiiiiiliiliiiiil.uses_vcc, 1
	.set _ZL18flash_attn_ext_vecILi256ELi2EL9ggml_type3ELS0_2ELb0EEvPKcS2_S2_S2_S2_PKiPfP15HIP_vector_typeIfLj2EEffffjfiS6_IjLj3EEiiiiiiiiiiiliiliiiiil.uses_flat_scratch, 1
	.set _ZL18flash_attn_ext_vecILi256ELi2EL9ggml_type3ELS0_2ELb0EEvPKcS2_S2_S2_S2_PKiPfP15HIP_vector_typeIfLj2EEffffjfiS6_IjLj3EEiiiiiiiiiiiliiliiiiil.has_dyn_sized_stack, 0
	.set _ZL18flash_attn_ext_vecILi256ELi2EL9ggml_type3ELS0_2ELb0EEvPKcS2_S2_S2_S2_PKiPfP15HIP_vector_typeIfLj2EEffffjfiS6_IjLj3EEiiiiiiiiiiiliiliiiiil.has_recursion, 0
	.set _ZL18flash_attn_ext_vecILi256ELi2EL9ggml_type3ELS0_2ELb0EEvPKcS2_S2_S2_S2_PKiPfP15HIP_vector_typeIfLj2EEffffjfiS6_IjLj3EEiiiiiiiiiiiliiliiiiil.has_indirect_call, 0
	.section	.AMDGPU.csdata,"",@progbits
; Kernel info:
; codeLenInByte = 61168
; TotalNumSgprs: 99
; NumVgprs: 256
; ScratchSize: 1196
; MemoryBound: 0
; FloatMode: 240
; IeeeMode: 1
; LDSByteSize: 6656 bytes/workgroup (compile time only)
; SGPRBlocks: 0
; VGPRBlocks: 31
; NumSGPRsForWavesPerEU: 99
; NumVGPRsForWavesPerEU: 256
; Occupancy: 5
; WaveLimiterHint : 0
; COMPUTE_PGM_RSRC2:SCRATCH_EN: 1
; COMPUTE_PGM_RSRC2:USER_SGPR: 4
; COMPUTE_PGM_RSRC2:TRAP_HANDLER: 0
; COMPUTE_PGM_RSRC2:TGID_X_EN: 1
; COMPUTE_PGM_RSRC2:TGID_Y_EN: 1
; COMPUTE_PGM_RSRC2:TGID_Z_EN: 1
; COMPUTE_PGM_RSRC2:TIDIG_COMP_CNT: 2
	.section	.text._ZL33flash_attn_stream_k_fixup_uniformILi256ELi2ELi1EEvPfPK15HIP_vector_typeIfLj2EEiiiiiiS1_IjLj3EES5_S5_,"axG",@progbits,_ZL33flash_attn_stream_k_fixup_uniformILi256ELi2ELi1EEvPfPK15HIP_vector_typeIfLj2EEiiiiiiS1_IjLj3EES5_S5_,comdat
	.globl	_ZL33flash_attn_stream_k_fixup_uniformILi256ELi2ELi1EEvPfPK15HIP_vector_typeIfLj2EEiiiiiiS1_IjLj3EES5_S5_ ; -- Begin function _ZL33flash_attn_stream_k_fixup_uniformILi256ELi2ELi1EEvPfPK15HIP_vector_typeIfLj2EEiiiiiiS1_IjLj3EES5_S5_
	.p2align	8
	.type	_ZL33flash_attn_stream_k_fixup_uniformILi256ELi2ELi1EEvPfPK15HIP_vector_typeIfLj2EEiiiiiiS1_IjLj3EES5_S5_,@function
_ZL33flash_attn_stream_k_fixup_uniformILi256ELi2ELi1EEvPfPK15HIP_vector_typeIfLj2EEiiiiiiS1_IjLj3EES5_S5_: ; @_ZL33flash_attn_stream_k_fixup_uniformILi256ELi2ELi1EEvPfPK15HIP_vector_typeIfLj2EEiiiiiiS1_IjLj3EES5_S5_
; %bb.0:
	s_clause 0x1
	s_load_b256 s[4:11], s[0:1], 0x1c
	s_load_b128 s[12:15], s[0:1], 0x3c
	s_wait_kmcnt 0x0
	s_mul_hi_u32 s2, s7, ttmp9
	s_delay_alu instid0(SALU_CYCLE_1) | instskip(NEXT) | instid1(SALU_CYCLE_1)
	s_add_co_i32 s2, ttmp9, s2
	s_lshr_b32 s2, s2, s8
	s_delay_alu instid0(SALU_CYCLE_1) | instskip(SKIP_2) | instid1(SALU_CYCLE_1)
	s_mul_i32 s3, s2, s9
	s_load_b64 s[8:9], s[0:1], 0x10
	s_sub_co_i32 s7, ttmp9, s3
	s_mul_hi_u32 s3, s7, s10
	s_delay_alu instid0(SALU_CYCLE_1) | instskip(NEXT) | instid1(SALU_CYCLE_1)
	s_add_co_i32 s3, s7, s3
	s_lshr_b32 s3, s3, s11
	s_delay_alu instid0(SALU_CYCLE_1) | instskip(NEXT) | instid1(SALU_CYCLE_1)
	s_mul_i32 s10, s3, s12
	s_sub_co_i32 s7, s7, s10
	s_delay_alu instid0(SALU_CYCLE_1) | instskip(NEXT) | instid1(SALU_CYCLE_1)
	s_mul_hi_u32 s10, s7, s13
	s_add_co_i32 s10, s7, s10
	s_delay_alu instid0(SALU_CYCLE_1) | instskip(NEXT) | instid1(SALU_CYCLE_1)
	s_lshr_b32 s11, s10, s14
	s_mul_i32 s10, s11, s15
	s_delay_alu instid0(SALU_CYCLE_1) | instskip(SKIP_2) | instid1(SALU_CYCLE_1)
	s_sub_co_i32 s12, s7, s10
	s_and_b32 s7, ttmp7, 0xffff
	s_lshl_b32 s10, s12, 1
	s_add_co_i32 s13, s10, s7
	s_lshr_b32 s10, ttmp7, 16
	s_wait_kmcnt 0x0
	s_cmp_lt_i32 s13, s8
	s_cselect_b32 s13, -1, 0
	s_add_co_i32 s14, s11, s10
	s_delay_alu instid0(SALU_CYCLE_1) | instskip(SKIP_1) | instid1(SALU_CYCLE_1)
	s_cmp_lt_i32 s14, s5
	s_cselect_b32 s14, -1, 0
	s_and_b32 s13, s13, s14
	s_delay_alu instid0(SALU_CYCLE_1)
	s_and_not1_b32 vcc_lo, exec_lo, s13
	s_cbranch_vccnz .LBB29_6
; %bb.1:
	s_mul_i32 s2, s2, s8
	s_mul_i32 s5, s3, s5
	s_add_co_i32 s2, s2, s7
	s_delay_alu instid0(SALU_CYCLE_1) | instskip(NEXT) | instid1(SALU_CYCLE_1)
	s_mul_i32 s2, s2, s9
	s_add_co_i32 s8, s2, s10
	s_load_b128 s[0:3], s[0:1], 0x0
	s_add_co_i32 s5, s8, s5
	s_mul_i32 s8, s9, s12
	s_add_co_i32 s5, s5, s11
	s_lshl_b32 s8, s8, 9
	s_lshl_b32 s5, s5, 8
	s_add_co_i32 s9, s7, s10
	s_add_co_i32 s8, s8, s5
	s_delay_alu instid0(SALU_CYCLE_1) | instskip(SKIP_3) | instid1(SALU_CYCLE_1)
	v_or_b32_e32 v1, s8, v0
	s_mul_i32 s8, s6, ttmp9
	s_wait_alu 0xfffe
	s_add_co_i32 s5, s8, s6
	s_add_co_i32 s7, s5, -2
	v_ashrrev_i32_e32 v2, 31, v1
	s_delay_alu instid0(VALU_DEP_1) | instskip(SKIP_1) | instid1(VALU_DEP_1)
	v_lshlrev_b64_e32 v[1:2], 2, v[1:2]
	s_wait_kmcnt 0x0
	v_add_co_u32 v1, vcc_lo, s0, v1
	s_delay_alu instid0(VALU_DEP_1)
	v_add_co_ci_u32_e64 v2, null, s1, v2, vcc_lo
	s_lshl_b32 s0, s5, 1
	s_wait_alu 0xfffe
	s_add_co_i32 s0, s9, s0
	global_load_b32 v5, v[1:2], off
	s_wait_alu 0xfffe
	s_add_co_i32 s0, s0, -2
	s_wait_alu 0xfffe
	s_ashr_i32 s1, s0, 31
	s_wait_alu 0xfffe
	s_lshl_b64 s[0:1], s[0:1], 3
	s_cmp_lt_i32 s7, s8
	s_wait_alu 0xfffe
	s_add_nc_u64 s[0:1], s[2:3], s[0:1]
	s_load_b32 s10, s[0:1], 0x4
	s_cbranch_scc1 .LBB29_4
; %bb.2:
	s_load_b32 s0, s[0:1], 0x0
	s_add_co_i32 s7, ttmp9, 1
	s_wait_kmcnt 0x0
	v_mov_b32_e32 v6, s10
	s_mul_i32 s1, s6, s7
	s_lshl_b32 s7, s9, 8
	s_wait_alu 0xfffe
	s_lshl_b32 s11, s1, 9
	s_lshl_b32 s6, s4, 3
	s_wait_alu 0xfffe
	s_add_co_i32 s11, s7, s11
	s_lshl_b32 s1, s1, 1
	s_wait_alu 0xfffe
	v_or_b32_e32 v0, s11, v0
	s_ashr_i32 s7, s6, 31
	s_add_co_i32 s1, s9, s1
	s_lshl_b32 s4, s4, 1
	s_lshl_b64 s[6:7], s[6:7], 2
	v_add_nc_u32_e32 v3, 0xfffffc00, v0
	s_wait_alu 0xfffe
	s_add_co_i32 s4, s1, s4
	s_add_nc_u64 s[6:7], s[2:3], s[6:7]
	s_add_co_i32 s1, s5, -1
	s_add_co_i32 s4, s4, -4
.LBB29_3:                               ; =>This Inner Loop Header: Depth=1
	v_ashrrev_i32_e32 v4, 31, v3
	s_ashr_i32 s5, s4, 31
	v_mov_b32_e32 v10, v6
	s_lshl_b64 s[10:11], s[4:5], 3
	s_wait_loadcnt 0x0
	v_mov_b32_e32 v9, v5
	v_lshlrev_b64_e32 v[7:8], 2, v[3:4]
	s_wait_alu 0xfffe
	s_add_nc_u64 s[10:11], s[2:3], s[10:11]
	v_max_num_f32_e64 v4, s0, s0
	s_load_b64 s[10:11], s[10:11], 0x0
	v_add_nc_u32_e32 v3, 0xfffffe00, v3
	v_add_co_u32 v7, vcc_lo, s6, v7
	s_wait_alu 0xfffd
	v_add_co_ci_u32_e64 v8, null, s7, v8, vcc_lo
	v_readfirstlane_b32 s5, v4
	global_load_b32 v0, v[7:8], off
	s_wait_kmcnt 0x0
	v_max_num_f32_e64 v4, s10, s10
	s_delay_alu instid0(VALU_DEP_1) | instskip(SKIP_1) | instid1(SALU_CYCLE_3)
	v_readfirstlane_b32 s9, v4
	s_max_num_f32 s5, s5, s9
	s_sub_f32 s0, s0, s5
	s_sub_f32 s9, s10, s5
	s_wait_alu 0xfffe
	s_delay_alu instid0(SALU_CYCLE_1) | instskip(NEXT) | instid1(SALU_CYCLE_1)
	s_mul_f32 s10, s0, 0x3fb8aa3b
	s_mul_f32 s12, s9, 0x3fb8aa3b
	s_wait_alu 0xfffe
	s_delay_alu instid0(SALU_CYCLE_1)
	s_xor_b32 s13, s10, 0x80000000
	s_rndne_f32 s14, s10
	s_fmamk_f32 s13, s0, 0x3fb8aa3b, s13
	s_cmp_nlt_f32 s0, 0xc2ce8ed0
	s_rndne_f32 s15, s12
	s_wait_alu 0xfffe
	s_sub_f32 s10, s10, s14
	s_fmamk_f32 s13, s0, 0x32a5705f, s13
	s_cvt_i32_f32 s14, s14
	s_cselect_b32 vcc_lo, -1, 0
	s_cmp_ngt_f32 s0, 0x42b17218
	s_wait_alu 0xfffe
	s_add_f32 s10, s10, s13
	s_sub_f32 s13, s12, s15
	s_wait_alu 0xfffe
	s_delay_alu instid0(SALU_CYCLE_1) | instskip(SKIP_1) | instid1(TRANS32_DEP_1)
	v_s_exp_f32 s10, s10
	s_wait_alu 0xf1ff
	v_ldexp_f32 v4, s10, s14
	s_cvt_i32_f32 s10, s15
	s_delay_alu instid0(VALU_DEP_1) | instskip(SKIP_3) | instid1(VALU_DEP_1)
	v_cndmask_b32_e32 v4, 0, v4, vcc_lo
	s_cselect_b32 vcc_lo, -1, 0
	s_cmp_ge_f32 s0, 0xc1a00000
	s_wait_alu 0xfffe
	v_cndmask_b32_e32 v4, 0x7f800000, v4, vcc_lo
	s_cselect_b32 vcc_lo, -1, 0
	s_xor_b32 s0, s12, 0x80000000
	s_cmp_nlt_f32 s9, 0xc2ce8ed0
	s_wait_alu 0xfffe
	s_fmamk_f32 s0, s9, 0x3fb8aa3b, s0
	s_wait_alu 0xfffe
	s_delay_alu instid0(SALU_CYCLE_2) | instskip(SKIP_1) | instid1(SALU_CYCLE_2)
	s_fmamk_f32 s0, s9, 0x32a5705f, s0
	s_wait_alu 0xfffe
	s_add_f32 s0, s13, s0
	s_wait_alu 0xfffe
	s_delay_alu instid0(SALU_CYCLE_2) | instskip(SKIP_1) | instid1(TRANS32_DEP_1)
	v_s_exp_f32 s0, s0
	s_wait_alu 0xf1ff
	v_ldexp_f32 v7, s0, s10
	s_cselect_b32 s0, -1, 0
	s_cmp_ngt_f32 s9, 0x42b17218
	s_wait_alu 0xfffe
	s_delay_alu instid0(VALU_DEP_1) | instskip(SKIP_3) | instid1(VALU_DEP_1)
	v_cndmask_b32_e64 v7, 0, v7, s0
	s_cselect_b32 s0, -1, 0
	s_cmp_ge_f32 s9, 0xc1a00000
	s_wait_alu 0xfffe
	v_cndmask_b32_e64 v7, 0x7f800000, v7, s0
	s_cselect_b32 s0, -1, 0
	s_add_co_i32 s1, s1, -1
	s_add_co_i32 s4, s4, -2
	s_wait_alu 0xfffe
	s_cmp_le_i32 s1, s8
	v_cndmask_b32_e64 v7, 0, v7, s0
	s_mov_b32 s0, s5
	s_wait_loadcnt 0x0
	s_delay_alu instid0(VALU_DEP_1) | instskip(NEXT) | instid1(VALU_DEP_1)
	v_dual_mul_f32 v5, v0, v7 :: v_dual_cndmask_b32 v4, 0, v4
	v_dual_mul_f32 v8, s11, v7 :: v_dual_fmac_f32 v5, v9, v4
	s_delay_alu instid0(VALU_DEP_1) | instskip(NEXT) | instid1(VALU_DEP_1)
	v_mov_b32_e32 v6, v8
	v_fmac_f32_e32 v6, v10, v4
	s_cbranch_scc0 .LBB29_3
	s_branch .LBB29_5
.LBB29_4:
	s_wait_kmcnt 0x0
	v_mov_b32_e32 v6, s10
.LBB29_5:
	s_wait_loadcnt 0x0
	s_delay_alu instid0(VALU_DEP_1) | instskip(NEXT) | instid1(VALU_DEP_1)
	v_div_scale_f32 v0, null, v6, v6, v5
	v_rcp_f32_e32 v3, v0
	s_delay_alu instid0(TRANS32_DEP_1) | instskip(NEXT) | instid1(VALU_DEP_1)
	v_fma_f32 v4, -v0, v3, 1.0
	v_fmac_f32_e32 v3, v4, v3
	v_div_scale_f32 v4, vcc_lo, v5, v6, v5
	s_delay_alu instid0(VALU_DEP_1) | instskip(NEXT) | instid1(VALU_DEP_1)
	v_mul_f32_e32 v7, v4, v3
	v_fma_f32 v8, -v0, v7, v4
	s_delay_alu instid0(VALU_DEP_1) | instskip(NEXT) | instid1(VALU_DEP_1)
	v_fmac_f32_e32 v7, v8, v3
	v_fma_f32 v0, -v0, v7, v4
	s_wait_alu 0xfffd
	s_delay_alu instid0(VALU_DEP_1) | instskip(NEXT) | instid1(VALU_DEP_1)
	v_div_fmas_f32 v0, v0, v3, v7
	v_div_fixup_f32 v0, v0, v6, v5
	global_store_b32 v[1:2], v0, off
.LBB29_6:
	s_endpgm
	.section	.rodata,"a",@progbits
	.p2align	6, 0x0
	.amdhsa_kernel _ZL33flash_attn_stream_k_fixup_uniformILi256ELi2ELi1EEvPfPK15HIP_vector_typeIfLj2EEiiiiiiS1_IjLj3EES5_S5_
		.amdhsa_group_segment_fixed_size 0
		.amdhsa_private_segment_fixed_size 0
		.amdhsa_kernarg_size 76
		.amdhsa_user_sgpr_count 2
		.amdhsa_user_sgpr_dispatch_ptr 0
		.amdhsa_user_sgpr_queue_ptr 0
		.amdhsa_user_sgpr_kernarg_segment_ptr 1
		.amdhsa_user_sgpr_dispatch_id 0
		.amdhsa_user_sgpr_private_segment_size 0
		.amdhsa_wavefront_size32 1
		.amdhsa_uses_dynamic_stack 0
		.amdhsa_enable_private_segment 0
		.amdhsa_system_sgpr_workgroup_id_x 1
		.amdhsa_system_sgpr_workgroup_id_y 1
		.amdhsa_system_sgpr_workgroup_id_z 1
		.amdhsa_system_sgpr_workgroup_info 0
		.amdhsa_system_vgpr_workitem_id 0
		.amdhsa_next_free_vgpr 11
		.amdhsa_next_free_sgpr 16
		.amdhsa_reserve_vcc 1
		.amdhsa_float_round_mode_32 0
		.amdhsa_float_round_mode_16_64 0
		.amdhsa_float_denorm_mode_32 3
		.amdhsa_float_denorm_mode_16_64 3
		.amdhsa_fp16_overflow 0
		.amdhsa_workgroup_processor_mode 1
		.amdhsa_memory_ordered 1
		.amdhsa_forward_progress 1
		.amdhsa_inst_pref_size 9
		.amdhsa_round_robin_scheduling 0
		.amdhsa_exception_fp_ieee_invalid_op 0
		.amdhsa_exception_fp_denorm_src 0
		.amdhsa_exception_fp_ieee_div_zero 0
		.amdhsa_exception_fp_ieee_overflow 0
		.amdhsa_exception_fp_ieee_underflow 0
		.amdhsa_exception_fp_ieee_inexact 0
		.amdhsa_exception_int_div_zero 0
	.end_amdhsa_kernel
	.section	.text._ZL33flash_attn_stream_k_fixup_uniformILi256ELi2ELi1EEvPfPK15HIP_vector_typeIfLj2EEiiiiiiS1_IjLj3EES5_S5_,"axG",@progbits,_ZL33flash_attn_stream_k_fixup_uniformILi256ELi2ELi1EEvPfPK15HIP_vector_typeIfLj2EEiiiiiiS1_IjLj3EES5_S5_,comdat
.Lfunc_end29:
	.size	_ZL33flash_attn_stream_k_fixup_uniformILi256ELi2ELi1EEvPfPK15HIP_vector_typeIfLj2EEiiiiiiS1_IjLj3EES5_S5_, .Lfunc_end29-_ZL33flash_attn_stream_k_fixup_uniformILi256ELi2ELi1EEvPfPK15HIP_vector_typeIfLj2EEiiiiiiS1_IjLj3EES5_S5_
                                        ; -- End function
	.set _ZL33flash_attn_stream_k_fixup_uniformILi256ELi2ELi1EEvPfPK15HIP_vector_typeIfLj2EEiiiiiiS1_IjLj3EES5_S5_.num_vgpr, 11
	.set _ZL33flash_attn_stream_k_fixup_uniformILi256ELi2ELi1EEvPfPK15HIP_vector_typeIfLj2EEiiiiiiS1_IjLj3EES5_S5_.num_agpr, 0
	.set _ZL33flash_attn_stream_k_fixup_uniformILi256ELi2ELi1EEvPfPK15HIP_vector_typeIfLj2EEiiiiiiS1_IjLj3EES5_S5_.numbered_sgpr, 16
	.set _ZL33flash_attn_stream_k_fixup_uniformILi256ELi2ELi1EEvPfPK15HIP_vector_typeIfLj2EEiiiiiiS1_IjLj3EES5_S5_.num_named_barrier, 0
	.set _ZL33flash_attn_stream_k_fixup_uniformILi256ELi2ELi1EEvPfPK15HIP_vector_typeIfLj2EEiiiiiiS1_IjLj3EES5_S5_.private_seg_size, 0
	.set _ZL33flash_attn_stream_k_fixup_uniformILi256ELi2ELi1EEvPfPK15HIP_vector_typeIfLj2EEiiiiiiS1_IjLj3EES5_S5_.uses_vcc, 1
	.set _ZL33flash_attn_stream_k_fixup_uniformILi256ELi2ELi1EEvPfPK15HIP_vector_typeIfLj2EEiiiiiiS1_IjLj3EES5_S5_.uses_flat_scratch, 0
	.set _ZL33flash_attn_stream_k_fixup_uniformILi256ELi2ELi1EEvPfPK15HIP_vector_typeIfLj2EEiiiiiiS1_IjLj3EES5_S5_.has_dyn_sized_stack, 0
	.set _ZL33flash_attn_stream_k_fixup_uniformILi256ELi2ELi1EEvPfPK15HIP_vector_typeIfLj2EEiiiiiiS1_IjLj3EES5_S5_.has_recursion, 0
	.set _ZL33flash_attn_stream_k_fixup_uniformILi256ELi2ELi1EEvPfPK15HIP_vector_typeIfLj2EEiiiiiiS1_IjLj3EES5_S5_.has_indirect_call, 0
	.section	.AMDGPU.csdata,"",@progbits
; Kernel info:
; codeLenInByte = 1120
; TotalNumSgprs: 18
; NumVgprs: 11
; ScratchSize: 0
; MemoryBound: 0
; FloatMode: 240
; IeeeMode: 1
; LDSByteSize: 0 bytes/workgroup (compile time only)
; SGPRBlocks: 0
; VGPRBlocks: 1
; NumSGPRsForWavesPerEU: 18
; NumVGPRsForWavesPerEU: 11
; Occupancy: 16
; WaveLimiterHint : 0
; COMPUTE_PGM_RSRC2:SCRATCH_EN: 0
; COMPUTE_PGM_RSRC2:USER_SGPR: 2
; COMPUTE_PGM_RSRC2:TRAP_HANDLER: 0
; COMPUTE_PGM_RSRC2:TGID_X_EN: 1
; COMPUTE_PGM_RSRC2:TGID_Y_EN: 1
; COMPUTE_PGM_RSRC2:TGID_Z_EN: 1
; COMPUTE_PGM_RSRC2:TIDIG_COMP_CNT: 0
	.section	.text._ZL33flash_attn_stream_k_fixup_generalILi256ELi2ELi1EEvPfPK15HIP_vector_typeIfLj2EEiiiiS1_IjLj3EES5_S5_S5_,"axG",@progbits,_ZL33flash_attn_stream_k_fixup_generalILi256ELi2ELi1EEvPfPK15HIP_vector_typeIfLj2EEiiiiS1_IjLj3EES5_S5_S5_,comdat
	.globl	_ZL33flash_attn_stream_k_fixup_generalILi256ELi2ELi1EEvPfPK15HIP_vector_typeIfLj2EEiiiiS1_IjLj3EES5_S5_S5_ ; -- Begin function _ZL33flash_attn_stream_k_fixup_generalILi256ELi2ELi1EEvPfPK15HIP_vector_typeIfLj2EEiiiiS1_IjLj3EES5_S5_S5_
	.p2align	8
	.type	_ZL33flash_attn_stream_k_fixup_generalILi256ELi2ELi1EEvPfPK15HIP_vector_typeIfLj2EEiiiiS1_IjLj3EES5_S5_S5_,@function
_ZL33flash_attn_stream_k_fixup_generalILi256ELi2ELi1EEvPfPK15HIP_vector_typeIfLj2EEiiiiS1_IjLj3EES5_S5_S5_: ; @_ZL33flash_attn_stream_k_fixup_generalILi256ELi2ELi1EEvPfPK15HIP_vector_typeIfLj2EEiiiiS1_IjLj3EES5_S5_S5_
; %bb.0:
	s_clause 0x1
	s_load_b128 s[4:7], s[0:1], 0x10
	s_load_b32 s16, s[0:1], 0x50
	s_mov_b32 s2, ttmp9
	s_ashr_i32 s3, ttmp9, 31
	s_mov_b32 s17, 0
	s_delay_alu instid0(SALU_CYCLE_1) | instskip(SKIP_3) | instid1(SALU_CYCLE_1)
	s_mov_b32 s8, s17
	s_wait_kmcnt 0x0
	s_ashr_i32 s19, s7, 31
	s_mov_b32 s18, s7
	s_mul_u64 s[2:3], s[18:19], s[2:3]
	s_delay_alu instid0(SALU_CYCLE_1) | instskip(NEXT) | instid1(SALU_CYCLE_1)
	s_mov_b32 s9, s3
	s_cmp_lg_u64 s[8:9], 0
	s_cbranch_scc0 .LBB30_21
; %bb.1:
	s_add_nc_u64 s[8:9], s[16:17], 0
	s_mov_b32 s15, s17
	s_xor_b64 s[8:9], s[8:9], 0
	s_mov_b32 s23, s17
	s_cvt_f32_u32 s7, s8
	s_cvt_f32_u32 s10, s9
	s_sub_nc_u64 s[12:13], 0, s[8:9]
	s_delay_alu instid0(SALU_CYCLE_2) | instskip(NEXT) | instid1(SALU_CYCLE_3)
	s_fmamk_f32 s7, s10, 0x4f800000, s7
	v_s_rcp_f32 s7, s7
	s_delay_alu instid0(TRANS32_DEP_1) | instskip(SKIP_1) | instid1(SALU_CYCLE_2)
	s_mul_f32 s7, s7, 0x5f7ffffc
	s_wait_alu 0xfffe
	s_mul_f32 s10, s7, 0x2f800000
	s_delay_alu instid0(SALU_CYCLE_3) | instskip(NEXT) | instid1(SALU_CYCLE_3)
	s_trunc_f32 s10, s10
	s_fmamk_f32 s7, s10, 0xcf800000, s7
	s_cvt_u32_f32 s11, s10
	s_wait_alu 0xfffe
	s_delay_alu instid0(SALU_CYCLE_1) | instskip(NEXT) | instid1(SALU_CYCLE_3)
	s_cvt_u32_f32 s10, s7
	s_mul_u64 s[20:21], s[12:13], s[10:11]
	s_delay_alu instid0(SALU_CYCLE_1)
	s_mul_hi_u32 s25, s10, s21
	s_mul_i32 s24, s10, s21
	s_mul_hi_u32 s14, s10, s20
	s_mul_i32 s22, s11, s20
	s_add_nc_u64 s[14:15], s[14:15], s[24:25]
	s_mul_hi_u32 s7, s11, s20
	s_mul_hi_u32 s26, s11, s21
	s_add_co_u32 s14, s14, s22
	s_wait_alu 0xfffe
	s_add_co_ci_u32 s22, s15, s7
	s_mul_i32 s20, s11, s21
	s_add_co_ci_u32 s21, s26, 0
	s_delay_alu instid0(SALU_CYCLE_1)
	s_add_nc_u64 s[14:15], s[22:23], s[20:21]
	s_mov_b32 s21, s17
	s_add_co_u32 s10, s10, s14
	s_cselect_b32 s7, -1, 0
	s_wait_alu 0xfffe
	s_cmp_lg_u32 s7, 0
	s_add_co_ci_u32 s11, s11, s15
	s_mov_b32 s15, s17
	s_mul_u64 s[12:13], s[12:13], s[10:11]
	s_delay_alu instid0(SALU_CYCLE_1)
	s_mul_hi_u32 s23, s10, s13
	s_mul_i32 s22, s10, s13
	s_mul_hi_u32 s14, s10, s12
	s_mul_i32 s20, s11, s12
	s_add_nc_u64 s[14:15], s[14:15], s[22:23]
	s_mul_hi_u32 s7, s11, s12
	s_mul_hi_u32 s24, s11, s13
	s_mul_i32 s12, s11, s13
	s_add_co_u32 s13, s14, s20
	s_wait_alu 0xfffe
	s_add_co_ci_u32 s20, s15, s7
	s_add_co_ci_u32 s13, s24, 0
	s_mov_b32 s15, s17
	s_add_nc_u64 s[12:13], s[20:21], s[12:13]
	s_delay_alu instid0(SALU_CYCLE_1) | instskip(SKIP_1) | instid1(SALU_CYCLE_1)
	s_add_co_u32 s7, s10, s12
	s_cselect_b32 s10, -1, 0
	s_cmp_lg_u32 s10, 0
	s_add_co_ci_u32 s20, s11, s13
	s_ashr_i32 s10, s3, 31
	s_delay_alu instid0(SALU_CYCLE_1) | instskip(NEXT) | instid1(SALU_CYCLE_1)
	s_mov_b32 s11, s10
	s_add_nc_u64 s[12:13], s[2:3], s[10:11]
	s_delay_alu instid0(SALU_CYCLE_1) | instskip(NEXT) | instid1(SALU_CYCLE_1)
	s_xor_b64 s[12:13], s[12:13], s[10:11]
	s_mul_hi_u32 s23, s12, s20
	s_mul_i32 s22, s12, s20
	s_wait_alu 0xfffe
	s_mul_hi_u32 s14, s12, s7
	s_mul_hi_u32 s24, s13, s7
	s_mul_i32 s7, s13, s7
	s_add_nc_u64 s[14:15], s[14:15], s[22:23]
	s_mul_hi_u32 s3, s13, s20
	s_wait_alu 0xfffe
	s_add_co_u32 s7, s14, s7
	s_mul_i32 s22, s13, s20
	s_add_co_ci_u32 s20, s15, s24
	s_add_co_ci_u32 s23, s3, 0
	s_delay_alu instid0(SALU_CYCLE_1) | instskip(NEXT) | instid1(SALU_CYCLE_1)
	s_add_nc_u64 s[14:15], s[20:21], s[22:23]
	s_mul_u64 s[20:21], s[8:9], s[14:15]
	s_delay_alu instid0(SALU_CYCLE_1)
	s_sub_co_u32 s3, s12, s20
	s_cselect_b32 s7, -1, 0
	s_sub_co_i32 s12, s13, s21
	s_wait_alu 0xfffe
	s_cmp_lg_u32 s7, 0
	s_sub_co_ci_u32 s12, s12, s9
	s_sub_co_u32 s20, s3, s8
	s_cselect_b32 s22, -1, 0
	s_delay_alu instid0(SALU_CYCLE_1) | instskip(SKIP_2) | instid1(SALU_CYCLE_1)
	s_cmp_lg_u32 s22, 0
	s_add_nc_u64 s[22:23], s[14:15], 1
	s_sub_co_ci_u32 s12, s12, 0
	s_cmp_ge_u32 s12, s9
	s_cselect_b32 s24, -1, 0
	s_cmp_ge_u32 s20, s8
	s_cselect_b32 s20, -1, 0
	s_cmp_eq_u32 s12, s9
	s_cselect_b32 s12, s20, s24
	s_add_nc_u64 s[24:25], s[14:15], 2
	s_cmp_lg_u32 s12, 0
	s_cselect_b32 s12, s24, s22
	s_cselect_b32 s20, s25, s23
	s_cmp_lg_u32 s7, 0
	s_sub_co_ci_u32 s7, s13, s21
	s_wait_alu 0xfffe
	s_cmp_ge_u32 s7, s9
	s_cselect_b32 s13, -1, 0
	s_cmp_ge_u32 s3, s8
	s_cselect_b32 s3, -1, 0
	s_cmp_eq_u32 s7, s9
	s_cselect_b32 s3, s3, s13
	s_delay_alu instid0(SALU_CYCLE_1) | instskip(SKIP_4) | instid1(SALU_CYCLE_1)
	s_cmp_lg_u32 s3, 0
	s_mov_b32 s3, s17
	s_cselect_b32 s9, s20, s15
	s_cselect_b32 s8, s12, s14
	s_xor_b64 s[10:11], s[10:11], 0
	s_xor_b64 s[8:9], s[8:9], s[10:11]
	s_delay_alu instid0(SALU_CYCLE_1)
	s_sub_nc_u64 s[20:21], s[8:9], s[10:11]
	s_and_not1_b32 vcc_lo, exec_lo, s3
	s_cbranch_vccnz .LBB30_3
.LBB30_2:
	v_cvt_f32_u32_e32 v1, s16
	s_sub_co_i32 s7, 0, s16
	s_delay_alu instid0(VALU_DEP_1) | instskip(NEXT) | instid1(TRANS32_DEP_1)
	v_rcp_iflag_f32_e32 v1, v1
	v_mul_f32_e32 v1, 0x4f7ffffe, v1
	s_delay_alu instid0(VALU_DEP_1) | instskip(NEXT) | instid1(VALU_DEP_1)
	v_cvt_u32_f32_e32 v1, v1
	v_readfirstlane_b32 s3, v1
	s_wait_alu 0xfffe
	s_mul_i32 s7, s7, s3
	s_wait_alu 0xfffe
	s_mul_hi_u32 s7, s3, s7
	s_wait_alu 0xfffe
	s_add_co_i32 s3, s3, s7
	s_delay_alu instid0(SALU_CYCLE_1) | instskip(NEXT) | instid1(SALU_CYCLE_1)
	s_mul_hi_u32 s3, s2, s3
	s_mul_i32 s7, s3, s16
	s_wait_alu 0xfffe
	s_sub_co_i32 s2, s2, s7
	s_add_co_i32 s7, s3, 1
	s_sub_co_i32 s8, s2, s16
	s_cmp_ge_u32 s2, s16
	s_wait_alu 0xfffe
	s_cselect_b32 s3, s7, s3
	s_cselect_b32 s2, s8, s2
	s_add_co_i32 s7, s3, 1
	s_cmp_ge_u32 s2, s16
	s_wait_alu 0xfffe
	s_cselect_b32 s20, s7, s3
.LBB30_3:
	s_add_co_i32 s2, ttmp9, 1
	s_mov_b32 s8, 0
	s_ashr_i32 s3, s2, 31
	s_delay_alu instid0(SALU_CYCLE_1) | instskip(NEXT) | instid1(SALU_CYCLE_1)
	s_mul_u64 s[2:3], s[18:19], s[2:3]
	s_mov_b32 s9, s3
	s_delay_alu instid0(SALU_CYCLE_1)
	s_cmp_lg_u64 s[8:9], 0
	s_cbranch_scc0 .LBB30_22
; %bb.4:
	s_add_nc_u64 s[10:11], s[16:17], 0
	s_mov_b32 s23, s8
	s_xor_b64 s[10:11], s[10:11], 0
	s_mov_b32 s27, s8
	s_cvt_f32_u32 s7, s10
	s_cvt_f32_u32 s9, s11
	s_sub_nc_u64 s[14:15], 0, s[10:11]
	s_wait_alu 0xfffe
	s_delay_alu instid0(SALU_CYCLE_1) | instskip(SKIP_1) | instid1(SALU_CYCLE_2)
	s_fmamk_f32 s7, s9, 0x4f800000, s7
	s_wait_alu 0xfffe
	v_s_rcp_f32 s7, s7
	s_delay_alu instid0(TRANS32_DEP_1) | instskip(SKIP_1) | instid1(SALU_CYCLE_2)
	s_mul_f32 s7, s7, 0x5f7ffffc
	s_wait_alu 0xfffe
	s_mul_f32 s9, s7, 0x2f800000
	s_delay_alu instid0(SALU_CYCLE_3) | instskip(NEXT) | instid1(SALU_CYCLE_3)
	s_trunc_f32 s9, s9
	s_fmamk_f32 s7, s9, 0xcf800000, s7
	s_cvt_u32_f32 s13, s9
	s_wait_alu 0xfffe
	s_delay_alu instid0(SALU_CYCLE_1) | instskip(NEXT) | instid1(SALU_CYCLE_3)
	s_cvt_u32_f32 s12, s7
	s_mul_u64 s[24:25], s[14:15], s[12:13]
	s_delay_alu instid0(SALU_CYCLE_1)
	s_mul_hi_u32 s29, s12, s25
	s_mul_i32 s28, s12, s25
	s_mul_hi_u32 s22, s12, s24
	s_mul_i32 s9, s13, s24
	s_add_nc_u64 s[22:23], s[22:23], s[28:29]
	s_mul_hi_u32 s7, s13, s24
	s_mul_hi_u32 s21, s13, s25
	s_add_co_u32 s9, s22, s9
	s_wait_alu 0xfffe
	s_add_co_ci_u32 s26, s23, s7
	s_mul_i32 s24, s13, s25
	s_add_co_ci_u32 s25, s21, 0
	s_delay_alu instid0(SALU_CYCLE_1)
	s_add_nc_u64 s[22:23], s[26:27], s[24:25]
	s_mov_b32 s25, s8
	s_add_co_u32 s12, s12, s22
	s_cselect_b32 s7, -1, 0
	s_wait_alu 0xfffe
	s_cmp_lg_u32 s7, 0
	s_add_co_ci_u32 s13, s13, s23
	s_mov_b32 s23, s8
	s_mul_u64 s[14:15], s[14:15], s[12:13]
	s_delay_alu instid0(SALU_CYCLE_1)
	s_mul_hi_u32 s27, s12, s15
	s_mul_i32 s26, s12, s15
	s_mul_hi_u32 s22, s12, s14
	s_mul_i32 s9, s13, s14
	s_add_nc_u64 s[22:23], s[22:23], s[26:27]
	s_mul_hi_u32 s7, s13, s14
	s_mul_hi_u32 s21, s13, s15
	s_add_co_u32 s9, s22, s9
	s_wait_alu 0xfffe
	s_add_co_ci_u32 s24, s23, s7
	s_mul_i32 s14, s13, s15
	s_add_co_ci_u32 s15, s21, 0
	s_mov_b32 s23, s8
	s_add_nc_u64 s[14:15], s[24:25], s[14:15]
	s_delay_alu instid0(SALU_CYCLE_1) | instskip(SKIP_1) | instid1(SALU_CYCLE_1)
	s_add_co_u32 s7, s12, s14
	s_cselect_b32 s9, -1, 0
	s_cmp_lg_u32 s9, 0
	s_add_co_ci_u32 s9, s13, s15
	s_ashr_i32 s12, s3, 31
	s_delay_alu instid0(SALU_CYCLE_1) | instskip(NEXT) | instid1(SALU_CYCLE_1)
	s_mov_b32 s13, s12
	s_add_nc_u64 s[14:15], s[2:3], s[12:13]
	s_delay_alu instid0(SALU_CYCLE_1) | instskip(NEXT) | instid1(SALU_CYCLE_1)
	s_xor_b64 s[14:15], s[14:15], s[12:13]
	s_mul_hi_u32 s27, s14, s9
	s_mul_i32 s26, s14, s9
	s_wait_alu 0xfffe
	s_mul_hi_u32 s22, s14, s7
	s_mul_hi_u32 s21, s15, s7
	s_mul_i32 s7, s15, s7
	s_add_nc_u64 s[22:23], s[22:23], s[26:27]
	s_mul_hi_u32 s3, s15, s9
	s_wait_alu 0xfffe
	s_add_co_u32 s7, s22, s7
	s_add_co_ci_u32 s24, s23, s21
	s_mul_i32 s26, s15, s9
	s_add_co_ci_u32 s27, s3, 0
	s_delay_alu instid0(SALU_CYCLE_1) | instskip(NEXT) | instid1(SALU_CYCLE_1)
	s_add_nc_u64 s[22:23], s[24:25], s[26:27]
	s_mul_u64 s[24:25], s[10:11], s[22:23]
	s_add_nc_u64 s[26:27], s[22:23], 1
	s_sub_co_u32 s3, s14, s24
	s_cselect_b32 s7, -1, 0
	s_sub_co_i32 s9, s15, s25
	s_wait_alu 0xfffe
	s_cmp_lg_u32 s7, 0
	s_add_nc_u64 s[28:29], s[22:23], 2
	s_sub_co_ci_u32 s9, s9, s11
	s_sub_co_u32 s14, s3, s10
	s_cselect_b32 s21, -1, 0
	s_delay_alu instid0(SALU_CYCLE_1) | instskip(SKIP_1) | instid1(SALU_CYCLE_1)
	s_cmp_lg_u32 s21, 0
	s_sub_co_ci_u32 s9, s9, 0
	s_cmp_ge_u32 s9, s11
	s_cselect_b32 s21, -1, 0
	s_cmp_ge_u32 s14, s10
	s_cselect_b32 s14, -1, 0
	s_cmp_eq_u32 s9, s11
	s_cselect_b32 s9, s14, s21
	s_delay_alu instid0(SALU_CYCLE_1)
	s_cmp_lg_u32 s9, 0
	s_cselect_b32 s9, s28, s26
	s_cselect_b32 s14, s29, s27
	s_cmp_lg_u32 s7, 0
	s_sub_co_ci_u32 s7, s15, s25
	s_wait_alu 0xfffe
	s_cmp_ge_u32 s7, s11
	s_cselect_b32 s15, -1, 0
	s_cmp_ge_u32 s3, s10
	s_cselect_b32 s3, -1, 0
	s_cmp_eq_u32 s7, s11
	s_cselect_b32 s3, s3, s15
	s_delay_alu instid0(SALU_CYCLE_1) | instskip(SKIP_3) | instid1(SALU_CYCLE_1)
	s_cmp_lg_u32 s3, 0
	s_cselect_b32 s11, s14, s23
	s_cselect_b32 s10, s9, s22
	s_xor_b64 s[12:13], s[12:13], 0
	s_xor_b64 s[10:11], s[10:11], s[12:13]
	s_delay_alu instid0(SALU_CYCLE_1)
	s_sub_nc_u64 s[10:11], s[10:11], s[12:13]
	s_load_b96 s[12:14], s[0:1], 0x44
	s_and_not1_b32 vcc_lo, exec_lo, s8
	s_cbranch_vccnz .LBB30_6
.LBB30_5:
	v_cvt_f32_u32_e32 v1, s16
	s_sub_co_i32 s7, 0, s16
	s_delay_alu instid0(VALU_DEP_1) | instskip(NEXT) | instid1(TRANS32_DEP_1)
	v_rcp_iflag_f32_e32 v1, v1
	v_mul_f32_e32 v1, 0x4f7ffffe, v1
	s_delay_alu instid0(VALU_DEP_1) | instskip(NEXT) | instid1(VALU_DEP_1)
	v_cvt_u32_f32_e32 v1, v1
	v_readfirstlane_b32 s3, v1
	s_wait_alu 0xfffe
	s_mul_i32 s7, s7, s3
	s_wait_alu 0xfffe
	s_mul_hi_u32 s7, s3, s7
	s_wait_alu 0xfffe
	s_add_co_i32 s3, s3, s7
	s_delay_alu instid0(SALU_CYCLE_1) | instskip(NEXT) | instid1(SALU_CYCLE_1)
	s_mul_hi_u32 s3, s2, s3
	s_mul_i32 s7, s3, s16
	s_wait_alu 0xfffe
	s_sub_co_i32 s2, s2, s7
	s_add_co_i32 s7, s3, 1
	s_sub_co_i32 s8, s2, s16
	s_cmp_ge_u32 s2, s16
	s_wait_alu 0xfffe
	s_cselect_b32 s3, s7, s3
	s_cselect_b32 s2, s8, s2
	s_add_co_i32 s7, s3, 1
	s_cmp_ge_u32 s2, s16
	s_wait_alu 0xfffe
	s_cselect_b32 s10, s7, s3
.LBB30_6:
	s_mov_b32 s21, 0
	s_wait_kmcnt 0x0
	s_mov_b32 s22, s12
	s_mov_b32 s23, s21
	s_cmp_eq_u32 s20, s10
	s_mul_u64 s[2:3], s[20:21], s[22:23]
	s_cselect_b32 s7, -1, 0
	s_add_co_i32 s2, s3, s20
	s_mov_b32 s11, s21
	s_lshr_b32 s12, s2, s13
	s_mul_u64 s[2:3], s[10:11], s[22:23]
	s_mul_i32 s2, s12, s14
	s_delay_alu instid0(SALU_CYCLE_1) | instskip(SKIP_2) | instid1(SALU_CYCLE_1)
	s_cmp_eq_u32 s2, s20
	s_cselect_b32 s2, -1, 0
	s_add_co_i32 s3, s3, s10
	s_lshr_b32 s3, s3, s13
	s_delay_alu instid0(SALU_CYCLE_1)
	s_cmp_eq_u32 s12, s3
	s_mul_i32 s3, s3, s14
	s_cselect_b32 s8, -1, 0
	s_cmp_lg_u32 s3, s10
	s_cselect_b32 s3, -1, 0
	s_wait_alu 0xfffe
	s_or_b32 s2, s7, s2
	s_and_b32 s3, s8, s3
	s_delay_alu instid0(SALU_CYCLE_1) | instskip(NEXT) | instid1(SALU_CYCLE_1)
	s_or_b32 s2, s2, s3
	s_and_b32 vcc_lo, exec_lo, s2
	s_cbranch_vccnz .LBB30_24
; %bb.7:
	s_load_b256 s[24:31], s[0:1], 0x20
	s_mov_b32 s3, s21
	s_and_b32 s15, ttmp7, 0xffff
	s_wait_kmcnt 0x0
	s_mov_b32 s2, s24
	s_delay_alu instid0(SALU_CYCLE_1) | instskip(NEXT) | instid1(SALU_CYCLE_1)
	s_mul_u64 s[2:3], s[20:21], s[2:3]
	s_add_co_i32 s2, s3, s20
	s_delay_alu instid0(SALU_CYCLE_1) | instskip(SKIP_4) | instid1(SALU_CYCLE_1)
	s_lshr_b32 s3, s2, s25
	s_load_b32 s2, s[0:1], 0x40
	s_mul_i32 s7, s3, s26
	s_wait_alu 0xfffe
	s_sub_co_i32 s8, s20, s7
	s_mul_hi_u32 s7, s8, s27
	s_wait_alu 0xfffe
	s_add_co_i32 s7, s8, s7
	s_wait_alu 0xfffe
	s_lshr_b32 s7, s7, s28
	s_wait_alu 0xfffe
	s_mul_i32 s9, s7, s29
	s_delay_alu instid0(SALU_CYCLE_1) | instskip(NEXT) | instid1(SALU_CYCLE_1)
	s_sub_co_i32 s8, s8, s9
	s_mul_hi_u32 s9, s8, s30
	s_delay_alu instid0(SALU_CYCLE_1) | instskip(NEXT) | instid1(SALU_CYCLE_1)
	s_add_co_i32 s9, s8, s9
	s_lshr_b32 s24, s9, s31
	s_mov_b32 s9, s21
	s_wait_kmcnt 0x0
	s_mul_i32 s2, s24, s2
	s_delay_alu instid0(SALU_CYCLE_1) | instskip(NEXT) | instid1(SALU_CYCLE_1)
	s_sub_co_i32 s8, s8, s2
	s_mul_u64 s[10:11], s[8:9], s[22:23]
	s_delay_alu instid0(SALU_CYCLE_1) | instskip(NEXT) | instid1(SALU_CYCLE_1)
	s_add_co_i32 s2, s8, s11
	s_lshr_b32 s21, s2, s13
	s_delay_alu instid0(SALU_CYCLE_1) | instskip(NEXT) | instid1(SALU_CYCLE_1)
	s_lshl_b32 s2, s21, 1
	s_add_co_i32 s8, s2, s15
	s_lshr_b32 s2, ttmp7, 16
	s_cmp_lt_i32 s8, s4
	s_cselect_b32 s8, -1, 0
	s_add_co_i32 s9, s24, s2
	s_delay_alu instid0(SALU_CYCLE_1) | instskip(SKIP_1) | instid1(SALU_CYCLE_1)
	s_cmp_lt_i32 s9, s6
	s_cselect_b32 s9, -1, 0
	s_and_b32 s8, s8, s9
	s_delay_alu instid0(SALU_CYCLE_1)
	s_and_not1_b32 vcc_lo, exec_lo, s8
	s_cbranch_vccnz .LBB30_24
; %bb.8:
	s_mul_i32 s3, s3, s4
	s_mul_i32 s7, s7, s6
	s_add_co_i32 s3, s3, s15
	s_load_b128 s[8:11], s[0:1], 0x0
	s_mul_i32 s3, s3, s5
	s_mul_i32 s1, s5, s21
	s_add_co_i32 s3, s3, s2
	s_lshl_b32 s1, s1, 9
	s_add_co_i32 s0, s3, s7
	s_add_co_i32 s15, s15, s2
	;; [unrolled: 1-line block ×3, first 2 shown]
	v_cvt_f32_u32_e32 v4, s16
	s_lshl_b32 s0, s0, 8
	s_add_co_i32 s34, ttmp9, -1
	s_add_co_i32 s1, s1, s0
	s_delay_alu instid0(VALU_DEP_1)
	v_rcp_iflag_f32_e32 v4, v4
	v_or_b32_e32 v1, s1, v0
	s_add_nc_u64 s[0:1], s[16:17], 0
	v_lshl_or_b32 v0, s15, 8, v0
	s_wait_alu 0xfffe
	s_xor_b64 s[6:7], s[0:1], 0
	s_lshl_b32 s0, ttmp9, 1
	v_ashrrev_i32_e32 v2, 31, v1
	s_wait_alu 0xfffe
	s_cvt_f32_u32 s1, s6
	s_cvt_f32_u32 s2, s7
	s_add_co_i32 s0, s0, s15
	s_sub_nc_u64 s[30:31], 0, s[6:7]
	v_lshlrev_b64_e32 v[1:2], 2, v[1:2]
	s_wait_alu 0xfffe
	s_fmamk_f32 s2, s2, 0x4f800000, s1
	s_ashr_i32 s1, s0, 31
	s_wait_alu 0xfffe
	s_lshl_b64 s[0:1], s[0:1], 3
	v_s_rcp_f32 s2, s2
	s_wait_kmcnt 0x0
	v_add_co_u32 v1, vcc_lo, s8, v1
	s_delay_alu instid0(VALU_DEP_1)
	v_add_co_ci_u32_e64 v2, null, s9, v2, vcc_lo
	s_wait_alu 0xfffe
	s_add_nc_u64 s[0:1], s[10:11], s[0:1]
	s_mov_b32 s8, 0
	s_load_b64 s[26:27], s[0:1], 0x0
	global_load_b32 v3, v[1:2], off
	s_mul_f32 s2, s2, 0x5f7ffffc
	v_mul_f32_e32 v4, 0x4f7ffffe, v4
	s_lshl_b32 s0, s16, 3
	s_wait_alu 0xfffe
	s_mul_f32 s1, s2, 0x2f800000
	s_wait_alu 0xfffe
	s_delay_alu instid0(SALU_CYCLE_2)
	s_trunc_f32 s3, s1
	s_mov_b32 s1, s8
	s_wait_alu 0xfffe
	s_lshl_b64 s[0:1], s[0:1], 2
	s_fmamk_f32 s2, s3, 0xcf800000, s2
	s_cvt_u32_f32 s29, s3
	s_wait_alu 0xfffe
	s_add_nc_u64 s[24:25], s[10:11], s[0:1]
	s_cvt_u32_f32 s28, s2
	s_wait_kmcnt 0x0
	v_mov_b32_e32 v5, s27
	v_cvt_u32_f32_e32 v4, v4
.LBB30_9:                               ; =>This Inner Loop Header: Depth=1
	s_wait_alu 0xfffe
	s_ashr_i32 s35, s34, 31
	s_mov_b32 s2, -1
	s_wait_alu 0xfffe
	s_mul_u64 s[0:1], s[34:35], s[18:19]
                                        ; implicit-def: $sgpr38_sgpr39
	s_wait_alu 0xfffe
	s_mov_b32 s9, s1
	s_wait_alu 0xfffe
	s_cmp_lg_u64 s[8:9], 0
	s_cbranch_scc0 .LBB30_11
; %bb.10:                               ;   in Loop: Header=BB30_9 Depth=1
	s_mul_u64 s[2:3], s[30:31], s[28:29]
	s_mov_b32 s37, s8
	s_wait_alu 0xfffe
	s_mul_hi_u32 s5, s28, s3
	s_mul_i32 s4, s28, s3
	s_mul_hi_u32 s36, s28, s2
	s_mul_hi_u32 s9, s29, s2
	s_wait_alu 0xfffe
	s_add_nc_u64 s[4:5], s[36:37], s[4:5]
	s_mul_i32 s2, s29, s2
	s_mul_hi_u32 s17, s29, s3
	s_wait_alu 0xfffe
	s_add_co_u32 s2, s4, s2
	s_add_co_ci_u32 s2, s5, s9
	s_add_co_ci_u32 s5, s17, 0
	s_mul_i32 s4, s29, s3
	s_mov_b32 s3, s8
	s_mov_b32 s39, s8
	s_wait_alu 0xfffe
	s_add_nc_u64 s[2:3], s[2:3], s[4:5]
	s_wait_alu 0xfffe
	s_add_co_u32 s2, s28, s2
	s_cselect_b32 s4, -1, 0
	s_wait_alu 0xfffe
	s_cmp_lg_u32 s4, 0
	s_add_co_ci_u32 s3, s29, s3
	s_wait_alu 0xfffe
	s_mul_u64 s[4:5], s[30:31], s[2:3]
	s_wait_alu 0xfffe
	s_mul_hi_u32 s37, s2, s5
	s_mul_i32 s36, s2, s5
	s_mul_hi_u32 s38, s2, s4
	s_mul_hi_u32 s9, s3, s4
	s_mul_i32 s4, s3, s4
	s_wait_alu 0xfffe
	s_add_nc_u64 s[36:37], s[38:39], s[36:37]
	s_mul_hi_u32 s17, s3, s5
	s_wait_alu 0xfffe
	s_add_co_u32 s4, s36, s4
	s_add_co_ci_u32 s4, s37, s9
	s_add_co_ci_u32 s37, s17, 0
	s_mul_i32 s36, s3, s5
	s_mov_b32 s5, s8
	s_wait_alu 0xfffe
	s_add_nc_u64 s[4:5], s[4:5], s[36:37]
	s_mov_b32 s37, s8
	s_wait_alu 0xfffe
	s_add_co_u32 s9, s2, s4
	s_cselect_b32 s2, -1, 0
	s_wait_alu 0xfffe
	s_cmp_lg_u32 s2, 0
	s_add_co_ci_u32 s17, s3, s5
	s_ashr_i32 s2, s1, 31
	s_wait_alu 0xfffe
	s_mov_b32 s3, s2
	s_wait_alu 0xfffe
	s_add_nc_u64 s[4:5], s[0:1], s[2:3]
	s_wait_alu 0xfffe
	s_xor_b64 s[4:5], s[4:5], s[2:3]
	s_wait_alu 0xfffe
	s_mul_hi_u32 s39, s4, s17
	s_mul_i32 s38, s4, s17
	s_mul_hi_u32 s36, s4, s9
	s_mul_i32 s21, s5, s9
	s_wait_alu 0xfffe
	s_add_nc_u64 s[36:37], s[36:37], s[38:39]
	s_mul_hi_u32 s9, s5, s9
	s_mul_hi_u32 s1, s5, s17
	s_wait_alu 0xfffe
	s_add_co_u32 s21, s36, s21
	s_add_co_ci_u32 s36, s37, s9
	s_add_co_ci_u32 s39, s1, 0
	s_mul_i32 s38, s5, s17
	s_mov_b32 s37, s8
	s_wait_alu 0xfffe
	s_add_nc_u64 s[36:37], s[36:37], s[38:39]
	s_wait_alu 0xfffe
	s_mul_u64 s[38:39], s[6:7], s[36:37]
	s_add_nc_u64 s[40:41], s[36:37], 1
	s_sub_co_u32 s1, s4, s38
	s_cselect_b32 s4, -1, 0
	s_sub_co_i32 s9, s5, s39
	s_wait_alu 0xfffe
	s_cmp_lg_u32 s4, 0
	s_add_nc_u64 s[42:43], s[36:37], 2
	s_sub_co_ci_u32 s9, s9, s7
	s_sub_co_u32 s17, s1, s6
	s_cselect_b32 s21, -1, 0
	s_delay_alu instid0(SALU_CYCLE_1)
	s_cmp_lg_u32 s21, 0
	s_wait_alu 0xfffe
	s_sub_co_ci_u32 s9, s9, 0
	s_wait_alu 0xfffe
	s_cmp_ge_u32 s9, s7
	s_cselect_b32 s21, -1, 0
	s_cmp_ge_u32 s17, s6
	s_cselect_b32 s17, -1, 0
	s_cmp_eq_u32 s9, s7
	s_wait_alu 0xfffe
	s_cselect_b32 s9, s17, s21
	s_wait_alu 0xfffe
	s_cmp_lg_u32 s9, 0
	s_cselect_b32 s9, s42, s40
	s_cselect_b32 s17, s43, s41
	s_cmp_lg_u32 s4, 0
	s_sub_co_ci_u32 s4, s5, s39
	s_wait_alu 0xfffe
	s_cmp_ge_u32 s4, s7
	s_cselect_b32 s5, -1, 0
	s_cmp_ge_u32 s1, s6
	s_cselect_b32 s1, -1, 0
	s_cmp_eq_u32 s4, s7
	s_wait_alu 0xfffe
	s_cselect_b32 s1, s1, s5
	s_wait_alu 0xfffe
	s_cmp_lg_u32 s1, 0
	s_cselect_b32 s5, s17, s37
	s_cselect_b32 s4, s9, s36
	s_xor_b64 s[2:3], s[2:3], 0
	s_wait_alu 0xfffe
	s_xor_b64 s[4:5], s[4:5], s[2:3]
	s_wait_alu 0xfffe
	s_sub_nc_u64 s[38:39], s[4:5], s[2:3]
	s_mov_b32 s2, 0
.LBB30_11:                              ;   in Loop: Header=BB30_9 Depth=1
	s_wait_alu 0xfffe
	s_and_not1_b32 vcc_lo, exec_lo, s2
	s_wait_alu 0xfffe
	s_cbranch_vccnz .LBB30_13
; %bb.12:                               ;   in Loop: Header=BB30_9 Depth=1
	v_readfirstlane_b32 s1, v4
	s_sub_co_i32 s2, 0, s16
	s_wait_alu 0xfffe
	s_mul_i32 s2, s2, s1
	s_wait_alu 0xfffe
	s_mul_hi_u32 s2, s1, s2
	s_wait_alu 0xfffe
	s_add_co_i32 s1, s1, s2
	s_wait_alu 0xfffe
	s_mul_hi_u32 s1, s0, s1
	s_wait_alu 0xfffe
	s_mul_i32 s2, s1, s16
	s_wait_alu 0xfffe
	s_sub_co_i32 s0, s0, s2
	s_add_co_i32 s2, s1, 1
	s_wait_alu 0xfffe
	s_sub_co_i32 s3, s0, s16
	s_cmp_ge_u32 s0, s16
	s_cselect_b32 s1, s2, s1
	s_wait_alu 0xfffe
	s_cselect_b32 s0, s3, s0
	s_add_co_i32 s2, s1, 1
	s_wait_alu 0xfffe
	s_cmp_ge_u32 s0, s16
	s_cselect_b32 s38, s2, s1
.LBB30_13:                              ;   in Loop: Header=BB30_9 Depth=1
	v_readfirstlane_b32 s9, v0
	s_cmp_lg_u32 s20, s38
	s_mov_b32 s0, -1
                                        ; implicit-def: $sgpr21
                                        ; implicit-def: $vgpr6
                                        ; implicit-def: $vgpr7
                                        ; implicit-def: $sgpr17
                                        ; implicit-def: $sgpr27
	s_cbranch_scc1 .LBB30_16
; %bb.14:                               ;   in Loop: Header=BB30_9 Depth=1
	s_wait_alu 0xfffe
	s_and_not1_b32 vcc_lo, exec_lo, s0
	s_wait_alu 0xfffe
	s_cbranch_vccz .LBB30_19
.LBB30_15:                              ;   in Loop: Header=BB30_9 Depth=1
	s_and_not1_b32 vcc_lo, exec_lo, s21
	s_wait_alu 0xfffe
	s_cbranch_vccnz .LBB30_20
	s_branch .LBB30_23
.LBB30_16:                              ;   in Loop: Header=BB30_9 Depth=1
	s_add_co_i32 s0, s34, s16
	s_mov_b32 s1, s8
	s_wait_alu 0xfffe
	s_lshl_b32 s0, s0, 1
	v_max_num_f32_e64 v6, s26, s26
	s_wait_alu 0xfffe
	s_add_co_i32 s0, s0, s15
	s_mov_b32 s39, s8
	s_wait_alu 0xfffe
	s_lshl_b64 s[0:1], s[0:1], 3
	s_mul_u64 s[40:41], s[38:39], s[22:23]
	s_wait_alu 0xfffe
	s_add_nc_u64 s[0:1], s[10:11], s[0:1]
	s_mov_b32 s27, s20
	s_load_b64 s[36:37], s[0:1], 0x0
	v_readfirstlane_b32 s0, v6
	s_wait_kmcnt 0x0
	v_max_num_f32_e64 v7, s36, s36
	s_delay_alu instid0(VALU_DEP_1) | instskip(SKIP_2) | instid1(SALU_CYCLE_2)
	v_readfirstlane_b32 s1, v7
	s_max_num_f32 s9, s0, s1
	s_wait_alu 0xfffe
	s_sub_f32 s33, s26, s9
	s_sub_f32 s35, s36, s9
	s_wait_alu 0xfffe
	s_delay_alu instid0(SALU_CYCLE_1)
	s_cmp_nlt_f32 s33, 0xc2ce8ed0
	s_cselect_b32 s0, -1, 0
	s_cmp_ngt_f32 s33, 0x42b17218
	s_cselect_b32 s1, -1, 0
	s_cmp_ge_f32 s33, 0xc1a00000
	s_cselect_b32 s2, -1, 0
	s_cmp_nlt_f32 s35, 0xc2ce8ed0
	s_cselect_b32 s3, -1, 0
	s_cmp_ngt_f32 s35, 0x42b17218
	s_cselect_b32 s4, -1, 0
	s_cmp_ge_f32 s35, 0xc1a00000
	s_cselect_b32 s5, -1, 0
	s_add_co_i32 s17, s41, s38
	s_wait_alu 0xfffe
	s_lshr_b32 s17, s17, s13
	s_wait_alu 0xfffe
	s_mul_i32 s21, s17, s14
	s_delay_alu instid0(SALU_CYCLE_1)
	s_cmp_eq_u32 s21, s38
	s_cselect_b32 s21, -1, 0
	s_cmp_lt_u32 s17, s12
	s_cselect_b32 s17, -1, 0
	s_wait_alu 0xfffe
	s_or_b32 s17, s17, s21
	s_mov_b32 s21, -1
	s_wait_alu 0xfffe
	s_and_b32 vcc_lo, exec_lo, s17
	s_mov_b32 s17, s34
	s_wait_alu 0xfffe
	s_cbranch_vccnz .LBB30_18
; %bb.17:                               ;   in Loop: Header=BB30_9 Depth=1
	s_add_co_i32 s17, s34, -1
	s_mov_b32 s21, 0
	s_mov_b32 s27, s38
.LBB30_18:                              ;   in Loop: Header=BB30_9 Depth=1
	v_lshl_add_u32 v6, s34, 9, v0
	s_mul_f32 s36, s35, 0x3fb8aa3b
	s_mul_f32 s38, s33, 0x3fb8aa3b
	s_wait_alu 0xfffe
	s_delay_alu instid0(SALU_CYCLE_1)
	s_xor_b32 s39, s36, 0x80000000
	v_ashrrev_i32_e32 v7, 31, v6
	s_rndne_f32 s40, s36
	s_fmamk_f32 s39, s35, 0x3fb8aa3b, s39
	s_xor_b32 s41, s38, 0x80000000
	s_rndne_f32 s42, s38
	v_lshlrev_b64_e32 v[6:7], 2, v[6:7]
	s_sub_f32 s36, s36, s40
	s_fmamk_f32 s35, s35, 0x32a5705f, s39
	s_fmamk_f32 s39, s33, 0x3fb8aa3b, s41
	s_sub_f32 s38, s38, s42
	s_delay_alu instid0(VALU_DEP_1)
	v_add_co_u32 v6, vcc_lo, s24, v6
	s_wait_alu 0xfffd
	v_add_co_ci_u32_e64 v7, null, s25, v7, vcc_lo
	s_wait_alu 0xfffe
	s_add_f32 s35, s36, s35
	s_fmamk_f32 s33, s33, 0x32a5705f, s39
	s_cvt_i32_f32 s36, s40
	global_load_b32 v6, v[6:7], off
	s_wait_alu 0xfffe
	v_s_exp_f32 s35, s35
	s_add_f32 s33, s38, s33
	s_wait_alu 0xfffe
	s_delay_alu instid0(SALU_CYCLE_2) | instskip(NEXT) | instid1(TRANS32_DEP_2)
	v_s_exp_f32 s33, s33
	v_ldexp_f32 v7, s35, s36
	s_cvt_i32_f32 s35, s42
	s_wait_alu 0xf1fe
	s_delay_alu instid0(TRANS32_DEP_1) | instid1(SALU_CYCLE_2)
	v_ldexp_f32 v8, s33, s35
	s_delay_alu instid0(VALU_DEP_2) | instskip(NEXT) | instid1(VALU_DEP_2)
	v_cndmask_b32_e64 v7, 0, v7, s3
	v_cndmask_b32_e64 v8, 0, v8, s0
	s_delay_alu instid0(VALU_DEP_2) | instskip(NEXT) | instid1(VALU_DEP_2)
	v_cndmask_b32_e64 v7, 0x7f800000, v7, s4
	v_cndmask_b32_e64 v8, 0x7f800000, v8, s1
	;; [unrolled: 3-line block ×3, first 2 shown]
	s_wait_loadcnt 0x0
	s_delay_alu instid0(VALU_DEP_2) | instskip(SKIP_1) | instid1(VALU_DEP_1)
	v_mul_f32_e32 v6, v6, v7
	v_mul_f32_e32 v7, s37, v7
	v_fmac_f32_e32 v7, v5, v8
	s_delay_alu instid0(VALU_DEP_3)
	v_fmac_f32_e32 v6, v3, v8
	s_cbranch_execnz .LBB30_15
.LBB30_19:                              ;   in Loop: Header=BB30_9 Depth=1
	s_wait_loadcnt 0x0
	v_dual_mov_b32 v7, v5 :: v_dual_mov_b32 v6, v3
	s_add_co_i32 s17, s34, -1
	s_mov_b32 s27, s20
	s_mov_b32 s9, s26
	s_cbranch_execz .LBB30_23
.LBB30_20:                              ;   in Loop: Header=BB30_9 Depth=1
	v_mov_b32_e32 v5, v7
	s_wait_loadcnt 0x0
	v_mov_b32_e32 v3, v6
	s_wait_alu 0xfffe
	s_mov_b32 s20, s27
	s_mov_b32 s34, s17
	;; [unrolled: 1-line block ×3, first 2 shown]
	s_branch .LBB30_9
.LBB30_21:
                                        ; implicit-def: $sgpr20_sgpr21
	s_branch .LBB30_2
.LBB30_22:
                                        ; implicit-def: $sgpr10_sgpr11
	s_load_b96 s[12:14], s[0:1], 0x44
	s_branch .LBB30_5
.LBB30_23:
	v_div_scale_f32 v0, null, v7, v7, v6
	s_wait_loadcnt 0x0
	s_delay_alu instid0(VALU_DEP_1) | instskip(NEXT) | instid1(TRANS32_DEP_1)
	v_rcp_f32_e32 v3, v0
	v_fma_f32 v4, -v0, v3, 1.0
	s_delay_alu instid0(VALU_DEP_1) | instskip(SKIP_1) | instid1(VALU_DEP_1)
	v_fmac_f32_e32 v3, v4, v3
	v_div_scale_f32 v4, vcc_lo, v6, v7, v6
	v_mul_f32_e32 v5, v4, v3
	s_delay_alu instid0(VALU_DEP_1) | instskip(NEXT) | instid1(VALU_DEP_1)
	v_fma_f32 v8, -v0, v5, v4
	v_fmac_f32_e32 v5, v8, v3
	s_delay_alu instid0(VALU_DEP_1) | instskip(SKIP_1) | instid1(VALU_DEP_1)
	v_fma_f32 v0, -v0, v5, v4
	s_wait_alu 0xfffd
	v_div_fmas_f32 v0, v0, v3, v5
	s_delay_alu instid0(VALU_DEP_1)
	v_div_fixup_f32 v0, v0, v7, v6
	global_store_b32 v[1:2], v0, off
.LBB30_24:
	s_endpgm
	.section	.rodata,"a",@progbits
	.p2align	6, 0x0
	.amdhsa_kernel _ZL33flash_attn_stream_k_fixup_generalILi256ELi2ELi1EEvPfPK15HIP_vector_typeIfLj2EEiiiiS1_IjLj3EES5_S5_S5_
		.amdhsa_group_segment_fixed_size 0
		.amdhsa_private_segment_fixed_size 0
		.amdhsa_kernarg_size 336
		.amdhsa_user_sgpr_count 2
		.amdhsa_user_sgpr_dispatch_ptr 0
		.amdhsa_user_sgpr_queue_ptr 0
		.amdhsa_user_sgpr_kernarg_segment_ptr 1
		.amdhsa_user_sgpr_dispatch_id 0
		.amdhsa_user_sgpr_private_segment_size 0
		.amdhsa_wavefront_size32 1
		.amdhsa_uses_dynamic_stack 0
		.amdhsa_enable_private_segment 0
		.amdhsa_system_sgpr_workgroup_id_x 1
		.amdhsa_system_sgpr_workgroup_id_y 1
		.amdhsa_system_sgpr_workgroup_id_z 1
		.amdhsa_system_sgpr_workgroup_info 0
		.amdhsa_system_vgpr_workitem_id 0
		.amdhsa_next_free_vgpr 9
		.amdhsa_next_free_sgpr 44
		.amdhsa_reserve_vcc 1
		.amdhsa_float_round_mode_32 0
		.amdhsa_float_round_mode_16_64 0
		.amdhsa_float_denorm_mode_32 3
		.amdhsa_float_denorm_mode_16_64 3
		.amdhsa_fp16_overflow 0
		.amdhsa_workgroup_processor_mode 1
		.amdhsa_memory_ordered 1
		.amdhsa_forward_progress 1
		.amdhsa_inst_pref_size 28
		.amdhsa_round_robin_scheduling 0
		.amdhsa_exception_fp_ieee_invalid_op 0
		.amdhsa_exception_fp_denorm_src 0
		.amdhsa_exception_fp_ieee_div_zero 0
		.amdhsa_exception_fp_ieee_overflow 0
		.amdhsa_exception_fp_ieee_underflow 0
		.amdhsa_exception_fp_ieee_inexact 0
		.amdhsa_exception_int_div_zero 0
	.end_amdhsa_kernel
	.section	.text._ZL33flash_attn_stream_k_fixup_generalILi256ELi2ELi1EEvPfPK15HIP_vector_typeIfLj2EEiiiiS1_IjLj3EES5_S5_S5_,"axG",@progbits,_ZL33flash_attn_stream_k_fixup_generalILi256ELi2ELi1EEvPfPK15HIP_vector_typeIfLj2EEiiiiS1_IjLj3EES5_S5_S5_,comdat
.Lfunc_end30:
	.size	_ZL33flash_attn_stream_k_fixup_generalILi256ELi2ELi1EEvPfPK15HIP_vector_typeIfLj2EEiiiiS1_IjLj3EES5_S5_S5_, .Lfunc_end30-_ZL33flash_attn_stream_k_fixup_generalILi256ELi2ELi1EEvPfPK15HIP_vector_typeIfLj2EEiiiiS1_IjLj3EES5_S5_S5_
                                        ; -- End function
	.set _ZL33flash_attn_stream_k_fixup_generalILi256ELi2ELi1EEvPfPK15HIP_vector_typeIfLj2EEiiiiS1_IjLj3EES5_S5_S5_.num_vgpr, 9
	.set _ZL33flash_attn_stream_k_fixup_generalILi256ELi2ELi1EEvPfPK15HIP_vector_typeIfLj2EEiiiiS1_IjLj3EES5_S5_S5_.num_agpr, 0
	.set _ZL33flash_attn_stream_k_fixup_generalILi256ELi2ELi1EEvPfPK15HIP_vector_typeIfLj2EEiiiiS1_IjLj3EES5_S5_S5_.numbered_sgpr, 44
	.set _ZL33flash_attn_stream_k_fixup_generalILi256ELi2ELi1EEvPfPK15HIP_vector_typeIfLj2EEiiiiS1_IjLj3EES5_S5_S5_.num_named_barrier, 0
	.set _ZL33flash_attn_stream_k_fixup_generalILi256ELi2ELi1EEvPfPK15HIP_vector_typeIfLj2EEiiiiS1_IjLj3EES5_S5_S5_.private_seg_size, 0
	.set _ZL33flash_attn_stream_k_fixup_generalILi256ELi2ELi1EEvPfPK15HIP_vector_typeIfLj2EEiiiiS1_IjLj3EES5_S5_S5_.uses_vcc, 1
	.set _ZL33flash_attn_stream_k_fixup_generalILi256ELi2ELi1EEvPfPK15HIP_vector_typeIfLj2EEiiiiS1_IjLj3EES5_S5_S5_.uses_flat_scratch, 0
	.set _ZL33flash_attn_stream_k_fixup_generalILi256ELi2ELi1EEvPfPK15HIP_vector_typeIfLj2EEiiiiS1_IjLj3EES5_S5_S5_.has_dyn_sized_stack, 0
	.set _ZL33flash_attn_stream_k_fixup_generalILi256ELi2ELi1EEvPfPK15HIP_vector_typeIfLj2EEiiiiS1_IjLj3EES5_S5_S5_.has_recursion, 0
	.set _ZL33flash_attn_stream_k_fixup_generalILi256ELi2ELi1EEvPfPK15HIP_vector_typeIfLj2EEiiiiS1_IjLj3EES5_S5_S5_.has_indirect_call, 0
	.section	.AMDGPU.csdata,"",@progbits
; Kernel info:
; codeLenInByte = 3556
; TotalNumSgprs: 46
; NumVgprs: 9
; ScratchSize: 0
; MemoryBound: 0
; FloatMode: 240
; IeeeMode: 1
; LDSByteSize: 0 bytes/workgroup (compile time only)
; SGPRBlocks: 0
; VGPRBlocks: 1
; NumSGPRsForWavesPerEU: 46
; NumVGPRsForWavesPerEU: 9
; Occupancy: 16
; WaveLimiterHint : 0
; COMPUTE_PGM_RSRC2:SCRATCH_EN: 0
; COMPUTE_PGM_RSRC2:USER_SGPR: 2
; COMPUTE_PGM_RSRC2:TRAP_HANDLER: 0
; COMPUTE_PGM_RSRC2:TGID_X_EN: 1
; COMPUTE_PGM_RSRC2:TGID_Y_EN: 1
; COMPUTE_PGM_RSRC2:TGID_Z_EN: 1
; COMPUTE_PGM_RSRC2:TIDIG_COMP_CNT: 0
	.section	.text._ZL18flash_attn_ext_vecILi256ELi2EL9ggml_type3ELS0_2ELb1EEvPKcS2_S2_S2_S2_PKiPfP15HIP_vector_typeIfLj2EEffffjfiS6_IjLj3EEiiiiiiiiiiiliiliiiiil,"axG",@progbits,_ZL18flash_attn_ext_vecILi256ELi2EL9ggml_type3ELS0_2ELb1EEvPKcS2_S2_S2_S2_PKiPfP15HIP_vector_typeIfLj2EEffffjfiS6_IjLj3EEiiiiiiiiiiiliiliiiiil,comdat
	.globl	_ZL18flash_attn_ext_vecILi256ELi2EL9ggml_type3ELS0_2ELb1EEvPKcS2_S2_S2_S2_PKiPfP15HIP_vector_typeIfLj2EEffffjfiS6_IjLj3EEiiiiiiiiiiiliiliiiiil ; -- Begin function _ZL18flash_attn_ext_vecILi256ELi2EL9ggml_type3ELS0_2ELb1EEvPKcS2_S2_S2_S2_PKiPfP15HIP_vector_typeIfLj2EEffffjfiS6_IjLj3EEiiiiiiiiiiiliiliiiiil
	.p2align	8
	.type	_ZL18flash_attn_ext_vecILi256ELi2EL9ggml_type3ELS0_2ELb1EEvPKcS2_S2_S2_S2_PKiPfP15HIP_vector_typeIfLj2EEffffjfiS6_IjLj3EEiiiiiiiiiiiliiliiiiil,@function
_ZL18flash_attn_ext_vecILi256ELi2EL9ggml_type3ELS0_2ELb1EEvPKcS2_S2_S2_S2_PKiPfP15HIP_vector_typeIfLj2EEffffjfiS6_IjLj3EEiiiiiiiiiiiliiliiiiil: ; @_ZL18flash_attn_ext_vecILi256ELi2EL9ggml_type3ELS0_2ELb1EEvPKcS2_S2_S2_S2_PKiPfP15HIP_vector_typeIfLj2EEffffjfiS6_IjLj3EEiiiiiiiiiiiliiliiiiil
; %bb.0:
	s_clause 0x2
	s_load_b64 s[72:73], s[2:3], 0x64
	s_load_b64 s[12:13], s[2:3], 0x80
	;; [unrolled: 1-line block ×3, first 2 shown]
	s_lshr_b32 s8, ttmp7, 16
	v_mov_b32_e32 v40, 1.0
	s_load_b64 s[78:79], s[2:3], 0x50
	s_wait_kmcnt 0x0
	s_cvt_f32_u32 s4, s73
	s_sub_co_i32 s5, 0, s73
	s_delay_alu instid0(SALU_CYCLE_2) | instskip(NEXT) | instid1(TRANS32_DEP_1)
	v_rcp_iflag_f32_e32 v1, s4
	v_readfirstlane_b32 s4, v1
	s_mul_f32 s4, s4, 0x4f7ffffe
	s_wait_alu 0xfffe
	s_delay_alu instid0(SALU_CYCLE_2) | instskip(SKIP_1) | instid1(SALU_CYCLE_2)
	s_cvt_u32_f32 s4, s4
	s_wait_alu 0xfffe
	s_mul_i32 s5, s5, s4
	s_wait_alu 0xfffe
	s_mul_hi_u32 s5, s4, s5
	s_wait_alu 0xfffe
	s_add_co_i32 s4, s4, s5
	s_wait_alu 0xfffe
	s_mul_hi_u32 s4, s8, s4
	s_wait_alu 0xfffe
	s_mul_i32 s5, s4, s73
	s_add_co_i32 s9, s4, 1
	s_wait_alu 0xfffe
	s_sub_co_i32 s5, s8, s5
	s_wait_alu 0xfffe
	s_sub_co_i32 s10, s5, s73
	s_cmp_ge_u32 s5, s73
	s_cselect_b32 s4, s9, s4
	s_cselect_b32 s5, s10, s5
	s_wait_alu 0xfffe
	s_add_co_i32 s9, s4, 1
	s_cmp_ge_u32 s5, s73
	s_cselect_b32 s74, s9, s4
	s_abs_i32 s4, s13
	s_abs_i32 s11, s73
	s_wait_alu 0xfffe
	s_cvt_f32_u32 s5, s4
	s_sub_co_i32 s9, 0, s4
	s_xor_b32 s10, s73, s13
	s_wait_alu 0xfffe
	v_rcp_iflag_f32_e32 v1, s5
	s_ashr_i32 s13, s10, 31
	s_delay_alu instid0(TRANS32_DEP_1) | instskip(SKIP_2) | instid1(SALU_CYCLE_2)
	v_readfirstlane_b32 s5, v1
	s_mul_f32 s5, s5, 0x4f7ffffe
	s_wait_alu 0xfffe
	s_cvt_u32_f32 s5, s5
	s_wait_alu 0xfffe
	s_delay_alu instid0(SALU_CYCLE_2) | instskip(NEXT) | instid1(SALU_CYCLE_1)
	s_mul_i32 s9, s9, s5
	s_mul_hi_u32 s9, s5, s9
	s_delay_alu instid0(SALU_CYCLE_1)
	s_add_co_i32 s5, s5, s9
	s_mul_i32 s9, s74, s73
	s_wait_alu 0xfffe
	s_mul_hi_u32 s5, s11, s5
	s_sub_co_i32 s76, s8, s9
	s_wait_alu 0xfffe
	s_mul_i32 s10, s5, s4
	s_add_co_i32 s9, s5, 1
	s_sub_co_i32 s8, s11, s10
	s_delay_alu instid0(SALU_CYCLE_1)
	s_sub_co_i32 s10, s8, s4
	s_cmp_ge_u32 s8, s4
	s_cselect_b32 s5, s9, s5
	s_cselect_b32 s8, s10, s8
	s_wait_alu 0xfffe
	s_add_co_i32 s14, s5, 1
	s_cmp_ge_u32 s8, s4
	s_load_b128 s[8:11], s[2:3], 0x40
	s_cselect_b32 s4, s14, s5
	s_wait_alu 0xfffe
	s_xor_b32 s4, s4, s13
	s_wait_alu 0xfffe
	s_sub_co_i32 s15, s4, s13
	s_abs_i32 s13, s6
	s_abs_i32 s14, s15
	s_cvt_f32_u32 s4, s13
	s_cvt_f32_u32 s5, s14
	s_wait_alu 0xfffe
	s_delay_alu instid0(SALU_CYCLE_1) | instskip(NEXT) | instid1(SALU_CYCLE_1)
	v_rcp_iflag_f32_e32 v1, s4
	v_rcp_iflag_f32_e32 v2, s5
	s_wait_kmcnt 0x0
	s_cmp_le_f32 s9, 0
	s_mov_b32 s9, 0
	s_delay_alu instid0(TRANS32_DEP_2) | instskip(NEXT) | instid1(TRANS32_DEP_1)
	v_readfirstlane_b32 s16, v1
	v_readfirstlane_b32 s17, v2
	s_cbranch_scc1 .LBB31_2
; %bb.1:
	v_sub_co_u32 v1, s4, s76, s78
	s_and_b32 s6, s4, exec_lo
	s_cselect_b32 s6, s10, s11
	s_add_co_i32 s10, s76, 1
	v_readfirstlane_b32 s5, v1
	s_lshl_b32 s5, s5, 1
	s_wait_alu 0xfffe
	s_or_b32 s5, s5, 1
	s_and_b32 s4, s4, exec_lo
	s_wait_alu 0xfffe
	s_cselect_b32 s4, s10, s5
	s_cmp_neq_f32 s6, 1.0
	s_wait_alu 0xfffe
	s_cvt_f32_i32 s4, s4
	s_wait_alu 0xfffe
	s_delay_alu instid0(SALU_CYCLE_2)
	s_cselect_b32 s5, s4, 1.0
	s_wait_alu 0xfffe
	s_cmp_neq_f32 s5, 0
	s_cselect_b32 s4, s6, 1.0
	s_wait_alu 0xfffe
	v_frexp_mant_f32_e64 v1, |s4|
	s_delay_alu instid0(VALU_DEP_1) | instskip(SKIP_3) | instid1(SALU_CYCLE_1)
	v_readfirstlane_b32 s6, v1
	v_cvt_f64_f32_e64 v[1:2], |s4|
	s_cmp_lt_f32 s6, 0x3f2aaaab
	s_cselect_b32 s10, -1, 0
	s_and_b32 s11, s10, exec_lo
	s_cselect_b32 s11, 2.0, 1.0
	s_delay_alu instid0(SALU_CYCLE_1) | instskip(NEXT) | instid1(SALU_CYCLE_3)
	s_mul_f32 s6, s6, s11
	s_add_f32 s11, s6, 1.0
	s_add_f32 s19, s6, -1.0
	s_delay_alu instid0(SALU_CYCLE_2) | instskip(SKIP_1) | instid1(SALU_CYCLE_3)
	v_s_rcp_f32 s18, s11
	s_add_f32 s22, s11, -1.0
	s_sub_f32 s6, s6, s22
	s_delay_alu instid0(TRANS32_DEP_1) | instskip(NEXT) | instid1(SALU_CYCLE_3)
	s_mul_f32 s20, s19, s18
	s_mul_f32 s21, s11, s20
	s_delay_alu instid0(SALU_CYCLE_3) | instskip(NEXT) | instid1(VALU_DEP_1)
	s_xor_b32 s23, s21, 0x80000000
	v_frexp_exp_i32_f64_e32 v1, v[1:2]
	s_fmac_f32 s23, s20, s11
	s_delay_alu instid0(SALU_CYCLE_3) | instskip(NEXT) | instid1(SALU_CYCLE_3)
	s_fmac_f32 s23, s20, s6
	s_add_f32 s6, s21, s23
	s_delay_alu instid0(SALU_CYCLE_3) | instskip(SKIP_2) | instid1(SALU_CYCLE_1)
	s_sub_f32 s11, s19, s6
	s_sub_f32 s21, s6, s21
	s_wait_alu 0xfffe
	s_sub_f32 s19, s19, s11
	s_delay_alu instid0(SALU_CYCLE_1) | instskip(NEXT) | instid1(SALU_CYCLE_2)
	s_sub_f32 s21, s21, s23
	s_sub_f32 s6, s19, s6
	s_delay_alu instid0(SALU_CYCLE_3) | instskip(SKIP_1) | instid1(SALU_CYCLE_2)
	s_add_f32 s6, s21, s6
	s_mov_b32 s21, 0x3e76c4e1
	s_add_f32 s6, s11, s6
	s_delay_alu instid0(SALU_CYCLE_3) | instskip(NEXT) | instid1(SALU_CYCLE_3)
	s_mul_f32 s6, s18, s6
	s_add_f32 s11, s20, s6
	s_wait_alu 0xfffe
	s_delay_alu instid0(SALU_CYCLE_2) | instskip(SKIP_1) | instid1(SALU_CYCLE_2)
	s_sub_f32 s18, s11, s20
	s_mul_f32 s19, s11, s11
	s_sub_f32 s6, s6, s18
	s_delay_alu instid0(SALU_CYCLE_2) | instskip(NEXT) | instid1(SALU_CYCLE_1)
	s_xor_b32 s18, s19, 0x80000000
	s_fmac_f32 s18, s11, s11
	s_delay_alu instid0(SALU_CYCLE_1) | instskip(NEXT) | instid1(SALU_CYCLE_3)
	s_add_f32 s20, s6, s6
	s_fmac_f32 s18, s11, s20
	s_delay_alu instid0(SALU_CYCLE_3) | instskip(NEXT) | instid1(SALU_CYCLE_3)
	s_add_f32 s20, s19, s18
	s_fmaak_f32 s21, s20, s21, 0x3e91f4c4
	s_sub_f32 s19, s20, s19
	s_delay_alu instid0(SALU_CYCLE_2) | instskip(NEXT) | instid1(SALU_CYCLE_2)
	s_fmaak_f32 s21, s20, s21, 0x3ecccdef
	s_sub_f32 s18, s18, s19
	s_mul_f32 s19, s11, s20
	s_delay_alu instid0(SALU_CYCLE_1) | instskip(NEXT) | instid1(SALU_CYCLE_2)
	s_mul_f32 s22, s20, s21
	s_xor_b32 s24, s19, 0x80000000
	s_delay_alu instid0(SALU_CYCLE_2) | instskip(SKIP_2) | instid1(SALU_CYCLE_2)
	s_xor_b32 s23, s22, 0x80000000
	s_fmac_f32 s24, s20, s11
	s_fmac_f32 s23, s20, s21
	;; [unrolled: 1-line block ×3, first 2 shown]
	s_delay_alu instid0(SALU_CYCLE_2) | instskip(NEXT) | instid1(SALU_CYCLE_2)
	s_fmac_f32 s23, s18, s21
	s_fmac_f32 s24, s18, s11
	s_delay_alu instid0(SALU_CYCLE_2) | instskip(NEXT) | instid1(SALU_CYCLE_3)
	s_add_f32 s21, s22, s23
	s_sub_f32 s22, s21, s22
	s_add_f32 s25, s21, 0x3f2aaaaa
	s_delay_alu instid0(SALU_CYCLE_2) | instskip(NEXT) | instid1(SALU_CYCLE_2)
	s_sub_f32 s22, s23, s22
	s_add_f32 s23, s25, 0xbf2aaaaa
	s_delay_alu instid0(SALU_CYCLE_2) | instskip(NEXT) | instid1(SALU_CYCLE_2)
	s_add_f32 s20, s22, 0x31739010
	s_sub_f32 s21, s21, s23
	s_delay_alu instid0(SALU_CYCLE_3) | instskip(SKIP_1) | instid1(SALU_CYCLE_2)
	s_add_f32 s18, s20, s21
	s_add_f32 s20, s19, s24
	;; [unrolled: 1-line block ×3, first 2 shown]
	s_delay_alu instid0(SALU_CYCLE_2) | instskip(NEXT) | instid1(SALU_CYCLE_2)
	s_sub_f32 s19, s20, s19
	s_mul_f32 s22, s20, s21
	s_sub_f32 s23, s25, s21
	s_delay_alu instid0(SALU_CYCLE_1) | instskip(NEXT) | instid1(SALU_CYCLE_1)
	s_sub_f32 s19, s24, s19
	s_xor_b32 s25, s22, 0x80000000
	s_delay_alu instid0(SALU_CYCLE_1)
	s_add_f32 s18, s18, s23
	s_fmac_f32 s25, s20, s21
	v_readfirstlane_b32 s23, v1
	v_ldexp_f32 v1, s11, 1
	s_cmp_lg_u32 s10, 0
	s_fmac_f32 s25, s20, s18
	s_sub_co_ci_u32 s10, s23, 0
	s_delay_alu instid0(VALU_DEP_1) | instskip(NEXT) | instid1(SALU_CYCLE_1)
	v_readfirstlane_b32 s11, v1
	s_fmac_f32 s25, s19, s21
	s_wait_alu 0xfffe
	s_cvt_f32_i32 s10, s10
	v_ldexp_f32 v1, s6, 1
	s_add_f32 s18, s22, s25
	s_wait_alu 0xfffe
	s_mul_f32 s6, s10, 0x3f317218
	s_delay_alu instid0(VALU_DEP_1)
	v_readfirstlane_b32 s21, v1
	s_add_f32 s19, s11, s18
	s_sub_f32 s20, s18, s22
	s_wait_alu 0xfffe
	s_xor_b32 s22, s6, 0x80000000
	s_sub_f32 s11, s19, s11
	s_sub_f32 s20, s25, s20
	s_fmamk_f32 s22, s10, 0x3f317218, s22
	s_wait_alu 0xfffe
	s_sub_f32 s11, s18, s11
	s_add_f32 s18, s21, s20
	s_fmamk_f32 s10, s10, 0xb102e308, s22
	s_wait_alu 0xfffe
	s_delay_alu instid0(SALU_CYCLE_1) | instskip(NEXT) | instid1(SALU_CYCLE_1)
	s_add_f32 s11, s18, s11
	s_add_f32 s18, s6, s10
	s_wait_alu 0xfffe
	s_delay_alu instid0(SALU_CYCLE_1) | instskip(NEXT) | instid1(SALU_CYCLE_1)
	s_add_f32 s20, s19, s11
	s_sub_f32 s6, s18, s6
	s_delay_alu instid0(SALU_CYCLE_2)
	s_add_f32 s21, s18, s20
	s_sub_f32 s19, s20, s19
	s_wait_alu 0xfffe
	s_sub_f32 s6, s10, s6
	s_sub_f32 s22, s21, s18
	;; [unrolled: 1-line block ×3, first 2 shown]
	s_delay_alu instid0(SALU_CYCLE_2) | instskip(SKIP_4) | instid1(SALU_CYCLE_3)
	s_sub_f32 s23, s21, s22
	s_sub_f32 s11, s20, s22
	s_wait_alu 0xfffe
	s_add_f32 s19, s6, s10
	s_sub_f32 s18, s18, s23
	s_add_f32 s11, s11, s18
	s_delay_alu instid0(SALU_CYCLE_1) | instskip(SKIP_1) | instid1(SALU_CYCLE_1)
	s_sub_f32 s18, s19, s6
	s_wait_alu 0xfffe
	s_add_f32 s11, s19, s11
	s_delay_alu instid0(SALU_CYCLE_1) | instskip(SKIP_4) | instid1(SALU_CYCLE_2)
	s_sub_f32 s19, s19, s18
	s_sub_f32 s10, s10, s18
	s_wait_alu 0xfffe
	s_add_f32 s20, s21, s11
	s_sub_f32 s6, s6, s19
	s_sub_f32 s18, s20, s21
	s_wait_alu 0xfffe
	s_delay_alu instid0(SALU_CYCLE_1) | instskip(NEXT) | instid1(SALU_CYCLE_1)
	s_add_f32 s6, s10, s6
	s_sub_f32 s10, s11, s18
	s_wait_alu 0xfffe
	s_delay_alu instid0(SALU_CYCLE_2) | instskip(SKIP_1) | instid1(SALU_CYCLE_2)
	s_add_f32 s6, s6, s10
	s_wait_alu 0xfffe
	s_add_f32 s10, s20, s6
	s_wait_alu 0xfffe
	s_delay_alu instid0(SALU_CYCLE_2) | instskip(SKIP_2) | instid1(SALU_CYCLE_1)
	s_mul_f32 s11, s5, s10
	s_sub_f32 s18, s10, s20
	s_wait_alu 0xfffe
	s_xor_b32 s19, s11, 0x80000000
	s_delay_alu instid0(SALU_CYCLE_1) | instskip(SKIP_2) | instid1(SALU_CYCLE_2)
	s_sub_f32 s6, s6, s18
	s_fmac_f32 s19, s5, s10
	s_wait_alu 0xfffe
	s_fmac_f32 s19, s5, s6
	v_cmp_class_f32_e64 s6, s11, 0x204
	s_delay_alu instid0(SALU_CYCLE_2) | instskip(SKIP_2) | instid1(SALU_CYCLE_1)
	s_add_f32 s10, s11, s19
	s_and_b32 s6, s6, exec_lo
	s_wait_alu 0xfffe
	s_sub_f32 s6, s10, s11
	s_cselect_b32 s10, s11, s10
	s_wait_alu 0xfffe
	s_and_b32 s11, s10, 0x7fffffff
	s_sub_f32 s6, s19, s6
	s_wait_alu 0xfffe
	s_cmp_neq_f32 s11, 0x7f800000
	s_delay_alu instid0(SALU_CYCLE_1)
	s_cselect_b32 s6, s6, 0
	s_cmp_eq_f32 s10, 0x42b17218
	s_cselect_b32 s11, 0x37000000, 0
	s_wait_alu 0xfffe
	s_sub_f32 s10, s10, s11
	s_add_f32 s6, s11, s6
	s_wait_alu 0xfffe
	s_delay_alu instid0(SALU_CYCLE_1) | instskip(NEXT) | instid1(SALU_CYCLE_3)
	s_mul_f32 s18, s10, 0x3fb8aa3b
	s_xor_b32 s19, s18, 0x80000000
	s_rndne_f32 s20, s18
	s_fmamk_f32 s19, s10, 0x3fb8aa3b, s19
	s_cmp_nlt_f32 s10, 0xc2ce8ed0
	s_delay_alu instid0(SALU_CYCLE_1) | instskip(NEXT) | instid1(SALU_CYCLE_1)
	s_sub_f32 s18, s18, s20
	s_fmamk_f32 s19, s10, 0x32a5705f, s19
	s_cselect_b32 vcc_lo, -1, 0
	s_cmp_ngt_f32 s10, 0x42b17218
	s_trunc_f32 s10, s5
	s_add_f32 s18, s18, s19
	s_cvt_i32_f32 s19, s20
	s_delay_alu instid0(SALU_CYCLE_2)
	v_s_exp_f32 s18, s18
	s_wait_alu 0xf1ff
	s_delay_alu instid0(TRANS32_DEP_1) | instid1(SALU_CYCLE_1)
	v_ldexp_f32 v1, s18, s19
	s_mul_f32 s18, s5, 0.5
	s_delay_alu instid0(VALU_DEP_1)
	v_cndmask_b32_e32 v1, 0, v1, vcc_lo
	s_cselect_b32 vcc_lo, -1, 0
	s_wait_alu 0xfffe
	s_cmp_eq_f32 s10, s5
	s_trunc_f32 s19, s18
	v_cndmask_b32_e32 v1, 0x7f800000, v1, vcc_lo
	s_cselect_b32 s20, -1, 0
	s_wait_alu 0xfffe
	s_cmp_neq_f32 s19, s18
	s_delay_alu instid0(VALU_DEP_1)
	v_fma_f32 v2, s6, v1, v1
	v_cmp_class_f32_e64 vcc_lo, v1, 0x204
	s_cselect_b32 s11, -1, 0
	s_wait_alu 0xfffe
	s_and_b32 s6, s20, s11
	s_wait_alu 0xfffd
	v_cndmask_b32_e32 v1, v2, v1, vcc_lo
	s_wait_alu 0xfffe
	s_and_b32 s11, s6, exec_lo
	s_cselect_b32 s11, s4, 1.0
	s_cmp_eq_f32 s10, s5
	v_cmp_class_f32_e64 s10, s4, 0x204
	s_wait_alu 0xfffe
	v_bfi_b32 v1, 0x7fffffff, v1, s11
	s_cselect_b32 vcc_lo, -1, 0
	s_cmp_lt_f32 s4, 0
	s_wait_alu 0xfffe
	s_delay_alu instid0(VALU_DEP_1) | instskip(SKIP_3) | instid1(VALU_DEP_1)
	v_cndmask_b32_e32 v2, 0x7fc00000, v1, vcc_lo
	s_cselect_b32 vcc_lo, -1, 0
	s_cmp_eq_f32 s4, 0
	s_wait_alu 0xfffe
	v_cndmask_b32_e32 v1, v1, v2, vcc_lo
	s_cselect_b32 s11, -1, 0
	s_wait_alu 0xfffe
	s_or_b32 vcc_lo, s11, s10
	s_cmp_lt_f32 s5, 0
	s_cselect_b32 s5, -1, 0
	s_wait_alu 0xfffe
	s_xor_b32 s5, s5, s11
	s_wait_alu 0xfffe
	s_and_b32 s5, s5, exec_lo
	s_cselect_b32 s5, 0, 0x7f800000
	s_and_b32 s6, s6, exec_lo
	s_cselect_b32 s6, s4, 0
	s_cmp_o_f32 s4, s4
	s_wait_alu 0xfffe
	v_mov_b32_e32 v2, s6
	s_delay_alu instid0(VALU_DEP_1) | instskip(NEXT) | instid1(VALU_DEP_1)
	v_bfi_b32 v2, 0x7fffffff, s5, v2
	v_cndmask_b32_e32 v1, v1, v2, vcc_lo
	s_cselect_b32 vcc_lo, -1, 0
	s_wait_alu 0xfffe
	s_delay_alu instid0(VALU_DEP_1)
	v_cndmask_b32_e32 v40, 0x7fc00000, v1, vcc_lo
.LBB31_2:
	s_load_b64 s[0:1], s[0:1], 0x4
	v_bfe_u32 v37, v0, 10, 10
	v_and_b32_e32 v119, 0x3ff, v0
	s_load_b512 s[52:67], s[2:3], 0x0
	v_bfe_u32 v0, v0, 20, 10
	s_delay_alu instid0(VALU_DEP_3) | instskip(NEXT) | instid1(VALU_DEP_3)
	v_dual_mov_b32 v5, 0 :: v_dual_lshlrev_b32 v38, 9, v37
	v_lshlrev_b32_e32 v39, 2, v119
	s_lshl_b32 s78, ttmp9, 1
	s_mov_b32 s10, exec_lo
	s_wait_kmcnt 0x0
	v_mul_u32_u24_e32 v1, s1, v37
	s_lshr_b32 s0, s0, 16
	s_wait_alu 0xfffe
	s_mul_i32 s0, s0, s1
	s_wait_alu 0xfffe
	v_mad_u32_u24 v1, s0, v119, v1
	v_cmp_lt_u32_e64 s0, 1, v37
	s_delay_alu instid0(VALU_DEP_2) | instskip(NEXT) | instid1(VALU_DEP_1)
	v_add_lshl_u32 v4, v1, v0, 5
	v_add_nc_u32_e32 v0, 0xa04, v4
	v_add_nc_u32_e32 v1, 0xa0c, v4
	;; [unrolled: 1-line block ×4, first 2 shown]
	ds_store_2addr_b32 v0, v5, v5 offset1:1
	ds_store_2addr_b32 v1, v5, v5 offset1:1
	;; [unrolled: 1-line block ×3, first 2 shown]
	ds_store_2addr_b32 v3, v5, v5 offset0:128 offset1:135
	v_cmpx_gt_u32_e32 2, v37
	s_cbranch_execz .LBB31_17
; %bb.3:
	v_lshl_add_u32 v2, v119, 3, v38
	v_sub_nc_u32_e32 v1, 0, v39
	v_or_b32_e32 v0, s78, v37
	v_add_nc_u32_e32 v6, v38, v119
	s_mov_b32 s1, exec_lo
	s_delay_alu instid0(VALU_DEP_3) | instskip(NEXT) | instid1(VALU_DEP_3)
	v_add_nc_u32_e32 v7, v2, v1
	v_cmpx_le_i32_e64 s72, v0
	s_wait_alu 0xfffe
	s_xor_b32 s1, exec_lo, s1
	s_cbranch_execz .LBB31_7
; %bb.4:
	v_mov_b32_e32 v0, 0
	v_mad_u32_u24 v1, v119, 3, v6
	s_mov_b32 s4, exec_lo
	ds_store_b32 v7, v0
	ds_store_b32 v1, v0 offset:128
	v_cmpx_gt_u32_e32 8, v119
; %bb.5:
	v_mov_b32_e32 v1, v0
	ds_store_b64 v2, v[0:1] offset:256
; %bb.6:
	s_wait_alu 0xfffe
	s_or_b32 exec_lo, exec_lo, s4
                                        ; implicit-def: $vgpr7
                                        ; implicit-def: $vgpr6
.LBB31_7:
	s_wait_alu 0xfffe
	s_and_not1_saveexec_b32 s1, s1
	s_cbranch_execz .LBB31_17
; %bb.8:
	s_load_b96 s[4:6], s[2:3], 0x70
	v_lshlrev_b32_e32 v1, 2, v39
	s_wait_kmcnt 0x0
	v_mul_lo_u32 v0, s4, v37
	s_mul_i32 s1, s74, s6
	s_mul_i32 s4, s4, s78
	;; [unrolled: 1-line block ×3, first 2 shown]
	s_wait_alu 0xfffe
	s_add_co_i32 s1, s1, s4
	s_mov_b32 s6, exec_lo
	s_wait_alu 0xfffe
	s_add_co_i32 s4, s1, s5
	s_wait_alu 0xfffe
	s_ashr_i32 s5, s4, 31
	v_ashrrev_i32_e32 v2, 31, v0
	s_wait_alu 0xfffe
	s_add_nc_u64 s[4:5], s[52:53], s[4:5]
	s_wait_alu 0xfffe
	v_add_co_u32 v0, vcc_lo, s4, v0
	s_wait_alu 0xfffd
	v_add_co_ci_u32_e64 v2, null, s5, v2, vcc_lo
	s_delay_alu instid0(VALU_DEP_2) | instskip(SKIP_1) | instid1(VALU_DEP_2)
	v_add_co_u32 v0, vcc_lo, v0, v1
	s_wait_alu 0xfffd
	v_add_co_ci_u32_e64 v1, null, 0, v2, vcc_lo
	v_mbcnt_lo_u32_b32 v2, -1, 0
	global_load_b128 v[16:19], v[0:1], off
	v_xor_b32_e32 v8, 4, v2
	v_xor_b32_e32 v11, 2, v2
	s_delay_alu instid0(VALU_DEP_2) | instskip(SKIP_2) | instid1(VALU_DEP_3)
	v_cmp_gt_i32_e32 vcc_lo, 32, v8
	s_wait_alu 0xfffd
	v_cndmask_b32_e32 v8, v2, v8, vcc_lo
	v_cmp_gt_i32_e32 vcc_lo, 32, v11
	s_wait_alu 0xfffd
	s_delay_alu instid0(VALU_DEP_2) | instskip(SKIP_4) | instid1(VALU_DEP_2)
	v_dual_cndmask_b32 v11, v2, v11 :: v_dual_lshlrev_b32 v8, 2, v8
	s_wait_loadcnt 0x0
	v_dual_mul_f32 v3, s8, v16 :: v_dual_mul_f32 v14, s8, v19
	v_mul_f32_e32 v13, s8, v17
	v_mul_f32_e32 v15, s8, v18
	v_max_num_f32_e64 v9, |v3|, |v13|
	s_delay_alu instid0(VALU_DEP_1) | instskip(SKIP_3) | instid1(VALU_DEP_1)
	v_max3_num_f32 v9, v9, |v15|, |v14|
	ds_bpermute_b32 v10, v8, v9
	s_wait_dscnt 0x0
	v_max_num_f32_e32 v12, v10, v10
	v_dual_max_num_f32 v11, v9, v12 :: v_dual_lshlrev_b32 v10, 2, v11
	v_xor_b32_e32 v12, 1, v2
	ds_bpermute_b32 v9, v10, v11
	v_cmp_gt_i32_e32 vcc_lo, 32, v12
	s_wait_alu 0xfffd
	v_cndmask_b32_e32 v2, v2, v12, vcc_lo
	s_wait_dscnt 0x0
	s_delay_alu instid0(VALU_DEP_1) | instskip(NEXT) | instid1(VALU_DEP_1)
	v_dual_max_num_f32 v12, v9, v9 :: v_dual_lshlrev_b32 v9, 2, v2
	v_max_num_f32_e32 v2, v11, v12
	v_fma_f32 v12, s8, v16, v13
	ds_bpermute_b32 v11, v9, v2
	v_fmac_f32_e32 v12, s8, v18
	s_delay_alu instid0(VALU_DEP_1) | instskip(SKIP_4) | instid1(VALU_DEP_1)
	v_fmac_f32_e32 v12, s8, v19
	ds_bpermute_b32 v16, v8, v12
	s_wait_dscnt 0x1
	v_max_num_f32_e32 v11, v11, v11
	s_wait_dscnt 0x0
	v_dual_max_num_f32 v2, v2, v11 :: v_dual_add_f32 v11, v12, v16
	s_delay_alu instid0(VALU_DEP_1) | instskip(SKIP_3) | instid1(TRANS32_DEP_1)
	v_div_scale_f32 v17, null, 0x42fe0000, 0x42fe0000, v2
	v_div_scale_f32 v19, vcc_lo, v2, 0x42fe0000, v2
	ds_bpermute_b32 v16, v10, v11
	v_rcp_f32_e32 v18, v17
	v_fma_f32 v12, -v17, v18, 1.0
	s_wait_dscnt 0x0
	s_delay_alu instid0(VALU_DEP_1) | instskip(NEXT) | instid1(VALU_DEP_1)
	v_dual_fmac_f32 v18, v12, v18 :: v_dual_add_f32 v11, v11, v16
	v_mul_f32_e32 v20, v19, v18
	s_delay_alu instid0(VALU_DEP_1) | instskip(NEXT) | instid1(VALU_DEP_1)
	v_fma_f32 v12, -v17, v20, v19
	v_fmac_f32_e32 v20, v12, v18
	ds_bpermute_b32 v12, v9, v11
	v_fma_f32 v16, -v17, v20, v19
	s_wait_alu 0xfffd
	s_delay_alu instid0(VALU_DEP_1) | instskip(NEXT) | instid1(VALU_DEP_1)
	v_div_fmas_f32 v16, v16, v18, v20
	v_div_fixup_f32 v2, v16, 0x42fe0000, v2
	v_mov_b32_e32 v16, 0
	s_delay_alu instid0(VALU_DEP_2)
	v_cmpx_neq_f32_e32 0, v2
	s_cbranch_execz .LBB31_10
; %bb.9:
	v_div_scale_f32 v16, null, v2, v2, v3
	v_div_scale_f32 v17, null, v2, v2, v13
	v_div_scale_f32 v19, null, v2, v2, v15
	s_delay_alu instid0(VALU_DEP_3) | instskip(SKIP_1) | instid1(VALU_DEP_3)
	v_rcp_f32_e32 v18, v16
	v_div_scale_f32 v20, null, v2, v2, v14
	v_rcp_f32_e32 v21, v17
	s_delay_alu instid0(VALU_DEP_2) | instskip(SKIP_1) | instid1(VALU_DEP_2)
	v_rcp_f32_e32 v22, v19
	v_div_scale_f32 v26, vcc_lo, v3, v2, v3
	v_rcp_f32_e32 v23, v20
	v_fma_f32 v24, -v16, v18, 1.0
	s_delay_alu instid0(TRANS32_DEP_3) | instskip(NEXT) | instid1(TRANS32_DEP_2)
	v_fma_f32 v25, -v17, v21, 1.0
	v_fma_f32 v27, -v19, v22, 1.0
	s_delay_alu instid0(VALU_DEP_3) | instskip(SKIP_1) | instid1(TRANS32_DEP_1)
	v_fmac_f32_e32 v18, v24, v18
	v_div_scale_f32 v24, s1, v13, v2, v13
	v_fma_f32 v28, -v20, v23, 1.0
	s_delay_alu instid0(VALU_DEP_4) | instskip(SKIP_1) | instid1(VALU_DEP_3)
	v_dual_fmac_f32 v21, v25, v21 :: v_dual_fmac_f32 v22, v27, v22
	v_div_scale_f32 v25, s4, v15, v2, v15
	v_dual_fmac_f32 v23, v28, v23 :: v_dual_mul_f32 v28, v26, v18
	s_delay_alu instid0(VALU_DEP_3) | instskip(SKIP_1) | instid1(VALU_DEP_4)
	v_mul_f32_e32 v29, v24, v21
	v_div_scale_f32 v27, s5, v14, v2, v14
	v_mul_f32_e32 v30, v25, v22
	s_delay_alu instid0(VALU_DEP_4) | instskip(NEXT) | instid1(VALU_DEP_4)
	v_fma_f32 v32, -v16, v28, v26
	v_fma_f32 v33, -v17, v29, v24
	s_delay_alu instid0(VALU_DEP_4) | instskip(NEXT) | instid1(VALU_DEP_4)
	v_mul_f32_e32 v31, v27, v23
	v_fma_f32 v34, -v19, v30, v25
	s_delay_alu instid0(VALU_DEP_3) | instskip(NEXT) | instid1(VALU_DEP_3)
	v_dual_fmac_f32 v28, v32, v18 :: v_dual_fmac_f32 v29, v33, v21
	v_fma_f32 v35, -v20, v31, v27
	s_delay_alu instid0(VALU_DEP_3) | instskip(NEXT) | instid1(VALU_DEP_3)
	v_fmac_f32_e32 v30, v34, v22
	v_fma_f32 v16, -v16, v28, v26
	s_delay_alu instid0(VALU_DEP_4) | instskip(NEXT) | instid1(VALU_DEP_4)
	v_fma_f32 v17, -v17, v29, v24
	v_fmac_f32_e32 v31, v35, v23
	s_delay_alu instid0(VALU_DEP_4)
	v_fma_f32 v19, -v19, v30, v25
	s_wait_alu 0xfffd
	v_div_fmas_f32 v16, v16, v18, v28
	s_mov_b32 vcc_lo, s1
	s_wait_alu 0xfffe
	v_div_fmas_f32 v17, v17, v21, v29
	s_mov_b32 vcc_lo, s4
	v_div_fixup_f32 v3, v16, v2, v3
	s_wait_alu 0xfffe
	v_div_fmas_f32 v18, v19, v22, v30
	v_fma_f32 v19, -v20, v31, v27
	s_mov_b32 vcc_lo, s5
	v_div_fixup_f32 v13, v17, v2, v13
	v_trunc_f32_e32 v21, v3
	v_div_fixup_f32 v15, v18, v2, v15
	s_wait_alu 0xfffe
	v_div_fmas_f32 v18, v19, v23, v31
	s_delay_alu instid0(VALU_DEP_2) | instskip(NEXT) | instid1(VALU_DEP_2)
	v_trunc_f32_e32 v17, v15
	v_div_fixup_f32 v14, v18, v2, v14
	v_trunc_f32_e32 v18, v13
	s_delay_alu instid0(VALU_DEP_3) | instskip(NEXT) | instid1(VALU_DEP_3)
	v_sub_f32_e32 v19, v15, v17
	v_trunc_f32_e32 v16, v14
	s_delay_alu instid0(VALU_DEP_3) | instskip(NEXT) | instid1(VALU_DEP_3)
	v_sub_f32_e32 v20, v13, v18
	v_cmp_ge_f32_e64 s1, |v19|, 0.5
	s_delay_alu instid0(VALU_DEP_3) | instskip(SKIP_1) | instid1(VALU_DEP_2)
	v_sub_f32_e32 v22, v14, v16
	s_wait_alu 0xf1ff
	v_cndmask_b32_e64 v19, 0, 1.0, s1
	v_cmp_ge_f32_e64 s1, |v20|, 0.5
	s_delay_alu instid0(VALU_DEP_2) | instskip(SKIP_1) | instid1(VALU_DEP_2)
	v_bfi_b32 v15, 0x7fffffff, v19, v15
	s_wait_alu 0xf1ff
	v_cndmask_b32_e64 v20, 0, 1.0, s1
	v_sub_f32_e32 v19, v3, v21
	v_cmp_ge_f32_e64 s1, |v22|, 0.5
	s_delay_alu instid0(VALU_DEP_3) | instskip(SKIP_1) | instid1(VALU_DEP_2)
	v_bfi_b32 v13, 0x7fffffff, v20, v13
	s_wait_alu 0xf1ff
	v_cndmask_b32_e64 v22, 0, 1.0, s1
	v_cmp_ge_f32_e64 s1, |v19|, 0.5
	s_delay_alu instid0(VALU_DEP_3) | instskip(NEXT) | instid1(VALU_DEP_3)
	v_add_f32_e32 v13, v18, v13
	v_bfi_b32 v14, 0x7fffffff, v22, v14
	v_add_f32_e32 v15, v17, v15
	s_wait_alu 0xf1ff
	v_cndmask_b32_e64 v17, 0, 1.0, s1
	v_cvt_i32_f32_e32 v13, v13
	v_add_f32_e32 v14, v16, v14
	v_cvt_i32_f32_e32 v15, v15
	s_delay_alu instid0(VALU_DEP_4) | instskip(NEXT) | instid1(VALU_DEP_4)
	v_bfi_b32 v3, 0x7fffffff, v17, v3
	v_and_b32_e32 v13, 0xff, v13
	s_delay_alu instid0(VALU_DEP_4) | instskip(NEXT) | instid1(VALU_DEP_4)
	v_cvt_i32_f32_e32 v14, v14
	v_and_b32_e32 v15, 0xff, v15
	s_delay_alu instid0(VALU_DEP_4) | instskip(NEXT) | instid1(VALU_DEP_4)
	v_add_f32_e32 v3, v21, v3
	v_lshlrev_b32_e32 v13, 8, v13
	s_delay_alu instid0(VALU_DEP_3) | instskip(NEXT) | instid1(VALU_DEP_3)
	v_lshlrev_b32_e32 v15, 16, v15
	v_cvt_i32_f32_e32 v3, v3
	s_delay_alu instid0(VALU_DEP_2) | instskip(NEXT) | instid1(VALU_DEP_2)
	v_lshl_or_b32 v14, v14, 24, v15
	v_and_b32_e32 v3, 0xff, v3
	s_delay_alu instid0(VALU_DEP_1)
	v_or3_b32 v16, v14, v13, v3
.LBB31_10:
	s_or_b32 exec_lo, exec_lo, s6
	v_and_b32_e32 v3, 7, v119
	ds_store_b32 v7, v16
	v_cmp_eq_u32_e64 s1, 0, v3
	s_and_saveexec_b32 s4, s1
	s_cbranch_execz .LBB31_12
; %bb.11:
	s_wait_dscnt 0x1
	v_add_f32_e32 v3, v11, v12
	ds_store_b64 v6, v[2:3] offset:256
.LBB31_12:
	s_wait_alu 0xfffe
	s_or_b32 exec_lo, exec_lo, s4
	global_load_b128 v[14:17], v[0:1], off offset:512
	s_wait_loadcnt_dscnt 0x1
	v_dual_mul_f32 v3, s8, v14 :: v_dual_mul_f32 v12, s8, v17
	v_mul_f32_e32 v11, s8, v15
	v_mul_f32_e32 v13, s8, v16
	s_delay_alu instid0(VALU_DEP_2) | instskip(NEXT) | instid1(VALU_DEP_1)
	v_max_num_f32_e64 v0, |v3|, |v11|
	v_max3_num_f32 v0, v0, |v13|, |v12|
	ds_bpermute_b32 v1, v8, v0
	s_wait_dscnt 0x0
	v_max_num_f32_e32 v1, v1, v1
	s_delay_alu instid0(VALU_DEP_1) | instskip(SKIP_3) | instid1(VALU_DEP_1)
	v_max_num_f32_e32 v0, v0, v1
	v_fma_f32 v2, s8, v14, v11
	ds_bpermute_b32 v1, v10, v0
	v_fmac_f32_e32 v2, s8, v16
	v_fmac_f32_e32 v2, s8, v17
	s_mov_b32 s8, exec_lo
	ds_bpermute_b32 v8, v8, v2
	s_wait_dscnt 0x1
	v_max_num_f32_e32 v1, v1, v1
	s_delay_alu instid0(VALU_DEP_1) | instskip(SKIP_3) | instid1(VALU_DEP_1)
	v_max_num_f32_e32 v0, v0, v1
	ds_bpermute_b32 v1, v9, v0
	s_wait_dscnt 0x0
	v_max_num_f32_e32 v1, v1, v1
	v_dual_max_num_f32 v0, v0, v1 :: v_dual_add_f32 v1, v2, v8
	s_delay_alu instid0(VALU_DEP_1) | instskip(SKIP_3) | instid1(TRANS32_DEP_1)
	v_div_scale_f32 v14, null, 0x42fe0000, 0x42fe0000, v0
	ds_bpermute_b32 v8, v10, v1
	v_div_scale_f32 v10, vcc_lo, v0, 0x42fe0000, v0
	v_rcp_f32_e32 v15, v14
	v_fma_f32 v2, -v14, v15, 1.0
	s_delay_alu instid0(VALU_DEP_1) | instskip(SKIP_1) | instid1(VALU_DEP_1)
	v_fmac_f32_e32 v15, v2, v15
	s_wait_dscnt 0x0
	v_dual_add_f32 v1, v1, v8 :: v_dual_mul_f32 v16, v10, v15
	s_delay_alu instid0(VALU_DEP_1) | instskip(NEXT) | instid1(VALU_DEP_1)
	v_fma_f32 v2, -v14, v16, v10
	v_fmac_f32_e32 v16, v2, v15
	ds_bpermute_b32 v2, v9, v1
	v_fma_f32 v8, -v14, v16, v10
	s_wait_alu 0xfffd
	s_delay_alu instid0(VALU_DEP_1) | instskip(NEXT) | instid1(VALU_DEP_1)
	v_div_fmas_f32 v8, v8, v15, v16
	v_div_fixup_f32 v0, v8, 0x42fe0000, v0
	v_mov_b32_e32 v8, 0
	s_delay_alu instid0(VALU_DEP_2)
	v_cmpx_neq_f32_e32 0, v0
	s_cbranch_execz .LBB31_14
; %bb.13:
	v_div_scale_f32 v8, null, v0, v0, v3
	v_div_scale_f32 v9, null, v0, v0, v11
	;; [unrolled: 1-line block ×3, first 2 shown]
	s_delay_alu instid0(VALU_DEP_3) | instskip(SKIP_1) | instid1(VALU_DEP_3)
	v_rcp_f32_e32 v10, v8
	v_div_scale_f32 v15, null, v0, v0, v12
	v_rcp_f32_e32 v16, v9
	s_delay_alu instid0(VALU_DEP_2) | instskip(SKIP_1) | instid1(VALU_DEP_2)
	v_rcp_f32_e32 v17, v14
	v_div_scale_f32 v21, vcc_lo, v3, v0, v3
	v_rcp_f32_e32 v18, v15
	v_fma_f32 v19, -v8, v10, 1.0
	s_delay_alu instid0(TRANS32_DEP_3) | instskip(NEXT) | instid1(TRANS32_DEP_2)
	v_fma_f32 v20, -v9, v16, 1.0
	v_fma_f32 v22, -v14, v17, 1.0
	s_delay_alu instid0(VALU_DEP_3) | instskip(SKIP_1) | instid1(TRANS32_DEP_1)
	v_fmac_f32_e32 v10, v19, v10
	v_div_scale_f32 v19, s4, v11, v0, v11
	v_fma_f32 v23, -v15, v18, 1.0
	s_delay_alu instid0(VALU_DEP_4) | instskip(SKIP_1) | instid1(VALU_DEP_3)
	v_dual_fmac_f32 v17, v22, v17 :: v_dual_fmac_f32 v16, v20, v16
	v_div_scale_f32 v20, s5, v13, v0, v13
	v_fmac_f32_e32 v18, v23, v18
	v_mul_f32_e32 v23, v21, v10
	v_div_scale_f32 v22, s6, v12, v0, v12
	s_delay_alu instid0(VALU_DEP_4) | instskip(NEXT) | instid1(VALU_DEP_3)
	v_mul_f32_e32 v25, v20, v17
	v_fma_f32 v27, -v8, v23, v21
	s_delay_alu instid0(VALU_DEP_2) | instskip(NEXT) | instid1(VALU_DEP_1)
	v_fma_f32 v29, -v14, v25, v20
	v_dual_mul_f32 v24, v19, v16 :: v_dual_fmac_f32 v25, v29, v17
	s_delay_alu instid0(VALU_DEP_1) | instskip(NEXT) | instid1(VALU_DEP_4)
	v_fma_f32 v28, -v9, v24, v19
	v_fmac_f32_e32 v23, v27, v10
	s_delay_alu instid0(VALU_DEP_3) | instskip(NEXT) | instid1(VALU_DEP_3)
	v_fma_f32 v14, -v14, v25, v20
	v_fmac_f32_e32 v24, v28, v16
	s_delay_alu instid0(VALU_DEP_3) | instskip(NEXT) | instid1(VALU_DEP_2)
	v_fma_f32 v8, -v8, v23, v21
	v_fma_f32 v9, -v9, v24, v19
	s_wait_alu 0xfffd
	s_delay_alu instid0(VALU_DEP_2)
	v_div_fmas_f32 v8, v8, v10, v23
	s_mov_b32 vcc_lo, s4
	s_wait_alu 0xfffe
	v_div_fmas_f32 v9, v9, v16, v24
	s_mov_b32 vcc_lo, s5
	v_div_fixup_f32 v3, v8, v0, v3
	s_wait_alu 0xfffe
	v_div_fmas_f32 v10, v14, v17, v25
	s_mov_b32 vcc_lo, s6
	v_div_fixup_f32 v9, v9, v0, v11
	v_mul_f32_e32 v26, v22, v18
	v_trunc_f32_e32 v16, v3
	v_div_fixup_f32 v10, v10, v0, v13
	s_delay_alu instid0(VALU_DEP_3) | instskip(NEXT) | instid1(VALU_DEP_2)
	v_fma_f32 v30, -v15, v26, v22
	v_trunc_f32_e32 v11, v10
	s_delay_alu instid0(VALU_DEP_2) | instskip(NEXT) | instid1(VALU_DEP_1)
	v_fmac_f32_e32 v26, v30, v18
	v_fma_f32 v14, -v15, v26, v22
	s_wait_alu 0xfffe
	s_delay_alu instid0(VALU_DEP_1) | instskip(NEXT) | instid1(VALU_DEP_1)
	v_div_fmas_f32 v13, v14, v18, v26
	v_div_fixup_f32 v12, v13, v0, v12
	v_trunc_f32_e32 v13, v9
	v_sub_f32_e32 v14, v10, v11
	s_delay_alu instid0(VALU_DEP_3) | instskip(NEXT) | instid1(VALU_DEP_3)
	v_trunc_f32_e32 v8, v12
	v_sub_f32_e32 v15, v9, v13
	s_delay_alu instid0(VALU_DEP_3) | instskip(NEXT) | instid1(VALU_DEP_3)
	v_cmp_ge_f32_e64 s4, |v14|, 0.5
	v_sub_f32_e32 v17, v12, v8
	s_wait_alu 0xf1ff
	s_delay_alu instid0(VALU_DEP_2) | instskip(SKIP_1) | instid1(VALU_DEP_2)
	v_cndmask_b32_e64 v14, 0, 1.0, s4
	v_cmp_ge_f32_e64 s4, |v15|, 0.5
	v_bfi_b32 v10, 0x7fffffff, v14, v10
	s_wait_alu 0xf1ff
	s_delay_alu instid0(VALU_DEP_2) | instskip(SKIP_2) | instid1(VALU_DEP_3)
	v_cndmask_b32_e64 v15, 0, 1.0, s4
	v_sub_f32_e32 v14, v3, v16
	v_cmp_ge_f32_e64 s4, |v17|, 0.5
	v_bfi_b32 v9, 0x7fffffff, v15, v9
	s_wait_alu 0xf1ff
	s_delay_alu instid0(VALU_DEP_2) | instskip(SKIP_1) | instid1(VALU_DEP_3)
	v_cndmask_b32_e64 v17, 0, 1.0, s4
	v_cmp_ge_f32_e64 s4, |v14|, 0.5
	v_add_f32_e32 v9, v13, v9
	s_delay_alu instid0(VALU_DEP_3) | instskip(NEXT) | instid1(VALU_DEP_2)
	v_bfi_b32 v12, 0x7fffffff, v17, v12
	v_cvt_i32_f32_e32 v9, v9
	v_add_f32_e32 v10, v11, v10
	s_wait_alu 0xf1ff
	v_cndmask_b32_e64 v11, 0, 1.0, s4
	s_delay_alu instid0(VALU_DEP_3) | instskip(NEXT) | instid1(VALU_DEP_3)
	v_and_b32_e32 v9, 0xff, v9
	v_cvt_i32_f32_e32 v10, v10
	s_delay_alu instid0(VALU_DEP_3) | instskip(NEXT) | instid1(VALU_DEP_3)
	v_bfi_b32 v3, 0x7fffffff, v11, v3
	v_dual_add_f32 v8, v8, v12 :: v_dual_lshlrev_b32 v9, 8, v9
	s_delay_alu instid0(VALU_DEP_2) | instskip(NEXT) | instid1(VALU_DEP_2)
	v_dual_add_f32 v3, v16, v3 :: v_dual_and_b32 v10, 0xff, v10
	v_cvt_i32_f32_e32 v8, v8
	s_delay_alu instid0(VALU_DEP_2) | instskip(NEXT) | instid1(VALU_DEP_3)
	v_lshlrev_b32_e32 v10, 16, v10
	v_cvt_i32_f32_e32 v3, v3
	s_delay_alu instid0(VALU_DEP_2) | instskip(NEXT) | instid1(VALU_DEP_2)
	v_lshl_or_b32 v8, v8, 24, v10
	v_and_b32_e32 v3, 0xff, v3
	s_delay_alu instid0(VALU_DEP_1)
	v_or3_b32 v8, v8, v9, v3
.LBB31_14:
	s_wait_alu 0xfffe
	s_or_b32 exec_lo, exec_lo, s8
	ds_store_b32 v7, v8 offset:128
	s_and_saveexec_b32 s4, s1
	s_cbranch_execz .LBB31_16
; %bb.15:
	s_wait_dscnt 0x1
	v_add_f32_e32 v1, v1, v2
	ds_store_b64 v6, v[0:1] offset:288
.LBB31_16:
	s_wait_alu 0xfffe
	s_or_b32 exec_lo, exec_lo, s4
.LBB31_17:
	s_delay_alu instid0(SALU_CYCLE_1)
	s_or_b32 exec_lo, exec_lo, s10
	v_and_b32_e32 v3, 1, v119
	s_wait_dscnt 0x0
	s_barrier_signal -1
	s_barrier_wait -1
	global_inv scope:SCOPE_SE
	v_lshlrev_b32_e32 v0, 2, v3
	ds_load_b128 v[6:9], v5 offset:256
	s_cmp_eq_u64 s[62:63], 0
	s_mov_b32 s53, s12
	ds_load_2addr_b32 v[1:2], v0 offset1:2
	s_wait_dscnt 0x1
	scratch_store_b128 off, v[6:9], off offset:212 ; 16-byte Folded Spill
	ds_load_b128 v[6:9], v5 offset:272
	s_wait_dscnt 0x1
	scratch_store_b64 off, v[1:2], off offset:180 ; 8-byte Folded Spill
	ds_load_2addr_b32 v[1:2], v0 offset0:4 offset1:6
	s_wait_dscnt 0x1
	scratch_store_b128 off, v[6:9], off offset:228 ; 16-byte Folded Spill
	ds_load_b128 v[6:9], v5 offset:288
	s_wait_dscnt 0x1
	scratch_store_b64 off, v[1:2], off offset:188 ; 8-byte Folded Spill
	ds_load_2addr_b32 v[1:2], v0 offset0:8 offset1:10
	;; [unrolled: 6-line block ×7, first 2 shown]
	s_wait_dscnt 0x1
	scratch_store_b128 off, v[5:8], off offset:548 ; 16-byte Folded Spill
	s_wait_dscnt 0x0
	scratch_store_b64 off, v[1:2], off offset:300 ; 8-byte Folded Spill
	ds_load_2addr_b32 v[1:2], v0 offset0:32 offset1:34
	s_wait_dscnt 0x0
	scratch_store_b64 off, v[1:2], off offset:308 ; 8-byte Folded Spill
	ds_load_2addr_b32 v[1:2], v0 offset0:36 offset1:38
	;; [unrolled: 3-line block ×24, first 2 shown]
	s_wait_dscnt 0x0
	scratch_store_b64 off, v[1:2], off offset:524 ; 8-byte Folded Spill
	s_wait_loadcnt 0x0
	s_wait_storecnt 0x0
	s_barrier_signal -1
	s_barrier_wait -1
	global_inv scope:SCOPE_SE
	s_cbranch_scc1 .LBB31_19
; %bb.18:
	s_load_b32 s1, s[2:3], 0xd0
	s_mov_b32 s5, 0
	s_wait_kmcnt 0x0
	s_mul_i32 s1, s1, s74
	s_wait_alu 0xfffe
	s_add_co_i32 s4, s1, ttmp9
	s_wait_alu 0xfffe
	s_lshl_b64 s[4:5], s[4:5], 2
	s_wait_alu 0xfffe
	s_add_nc_u64 s[4:5], s[62:63], s[4:5]
	s_load_b32 s53, s[4:5], 0x0
.LBB31_19:
	s_mov_b32 s82, 0xfeffffff
	s_mov_b32 s84, 0
	;; [unrolled: 1-line block ×3, first 2 shown]
	v_lshlrev_b32_e32 v1, 5, v37
	v_dual_mov_b32 v85, s83 :: v_dual_mov_b32 v84, s82
	s_mov_b32 s85, s84
	v_dual_mov_b32 v22, s84 :: v_dual_add_nc_u32 v127, 0xa00, v4
	s_delay_alu instid0(VALU_DEP_3)
	v_add_nc_u32_e32 v21, v1, v119
	s_and_b32 s62, ttmp7, 0xffff
	v_mov_b32_e32 v23, s85
	v_mbcnt_lo_u32_b32 v242, -1, 0
	s_lshl_b32 s63, s62, 7
	v_lshlrev_b32_e32 v2, 1, v21
	s_wait_kmcnt 0x0
	s_cmp_ge_i32 s63, s53
	scratch_store_b32 off, v2, off offset:1296 ; 4-byte Folded Spill
	s_cbranch_scc1 .LBB31_47
; %bb.20:
	s_mul_f32 s1, s17, 0x4f7ffffe
	s_mul_f32 s4, s16, 0x4f7ffffe
	s_sub_co_i32 s5, 0, s14
	s_sub_co_i32 s6, 0, s13
	s_wait_alu 0xfffe
	s_cvt_u32_f32 s1, s1
	s_cvt_u32_f32 s11, s4
	s_abs_i32 s8, s76
	s_clause 0x2
	scratch_store_b32 off, v21, off offset:1344
	scratch_store_b32 off, v38, off offset:1336
	;; [unrolled: 1-line block ×3, first 2 shown]
	s_wait_alu 0xfffe
	s_mul_i32 s5, s5, s1
	s_mul_i32 s6, s6, s11
	s_wait_alu 0xfffe
	s_mul_hi_u32 s5, s1, s5
	s_mul_hi_u32 s6, s11, s6
	s_wait_alu 0xfffe
	s_add_co_i32 s10, s1, s5
	s_add_co_i32 s16, s11, s6
	s_mov_b32 s11, s9
	s_clause 0x1
	s_load_b64 s[88:89], s[2:3], 0x8c
	s_load_b128 s[68:71], s[2:3], 0x98
	s_mul_u64 s[10:11], s[8:9], s[10:11]
	s_ashr_i32 s1, s76, 31
	s_wait_alu 0xfffe
	s_mul_i32 s6, s11, s14
	s_ashr_i32 s5, s15, 31
	s_wait_alu 0xfffe
	s_sub_co_i32 s6, s8, s6
	s_abs_i32 s4, s74
	s_ashr_i32 s75, s74, 31
	s_xor_b32 s1, s1, s5
	s_add_co_i32 s8, s11, 1
	s_wait_alu 0xfffe
	s_sub_co_i32 s10, s6, s14
	s_cmp_ge_u32 s6, s14
	s_mov_b32 s5, s9
	s_cselect_b32 s8, s8, s11
	s_wait_alu 0xfffe
	s_cselect_b32 s6, s10, s6
	s_add_co_i32 s10, s8, 1
	s_wait_alu 0xfffe
	s_cmp_ge_u32 s6, s14
	s_mov_b32 s17, s9
	s_cselect_b32 s6, s10, s8
	s_mul_u64 s[8:9], s[4:5], s[16:17]
	s_wait_alu 0xfffe
	s_xor_b32 s5, s6, s1
	v_and_b32_e32 v2, 0x7e, v119
	s_wait_alu 0xfffe
	s_sub_co_i32 s1, s5, s1
	s_mul_i32 s5, s9, s13
	s_wait_kmcnt 0x0
	s_wait_alu 0xfffe
	s_mul_i32 s86, s1, s89
	s_mul_i32 s90, s1, s71
	s_sub_co_i32 s1, s4, s5
	s_clause 0x1
	s_load_b32 s5, s[2:3], 0xd4
	s_load_b64 s[8:9], s[2:3], 0xc8
	s_ashr_i32 s87, s86, 31
	s_ashr_i32 s91, s90, 31
	s_sub_co_i32 s4, s1, s13
	s_cmp_ge_u32 s1, s13
	v_add_nc_u32_e32 v233, v1, v2
	s_wait_alu 0xfffe
	s_cselect_b32 s1, s4, s1
	s_mul_i32 s71, s7, s78
	s_wait_alu 0xfffe
	s_sub_co_i32 s4, s1, s13
	s_cmp_ge_u32 s1, s13
	v_add_nc_u32_e32 v4, s12, v233
	s_wait_alu 0xfffe
	s_cselect_b32 s1, s4, s1
	s_ashr_i32 s77, s71, 31
	s_wait_alu 0xfffe
	s_xor_b32 s1, s1, s75
	s_mov_b32 s95, s84
	s_wait_alu 0xfffe
	s_sub_co_i32 s6, s1, s75
	v_ashrrev_i32_e32 v5, 31, v4
	s_wait_alu 0xfffe
	s_ashr_i32 s7, s6, 31
	s_cmp_lg_u64 s[58:59], 0
	v_bfe_u32 v7, v119, 3, 27
	s_cselect_b32 s96, -1, 0
	s_wait_kmcnt 0x0
	s_lshl_b32 s80, s5, 7
	s_cmp_lt_i32 s78, s72
	s_load_b64 s[4:5], s[2:3], 0xa8
	s_cselect_b32 s1, -1, 0
	s_or_b32 s10, s78, 1
	s_wait_alu 0xfffe
	s_and_b32 s89, s96, s1
	s_cmp_lt_i32 s10, s72
	v_cmp_eq_u32_e64 s1, 0, v3
	s_cselect_b32 s97, -1, 0
	s_lshl_b32 s94, s63, 1
	v_lshlrev_b64_e32 v[3:4], 1, v[4:5]
	s_mul_u64 s[92:93], s[8:9], s[6:7]
	s_add_nc_u64 s[6:7], s[58:59], s[94:95]
	v_add_nc_u32_e32 v6, 0x80, v39
	s_wait_alu 0xfffe
	s_add_nc_u64 s[6:7], s[6:7], s[92:93]
	s_ashr_i32 s8, s12, 31
	s_wait_alu 0xfffe
	v_add_co_u32 v2, vcc_lo, s6, v3
	v_mul_u32_u24_e32 v3, 18, v7
	v_add_co_u32 v5, s9, s12, v233
	scratch_store_b32 off, v2, off offset:172 ; 4-byte Folded Spill
	s_wait_alu 0xfffd
	v_add_co_ci_u32_e64 v2, null, s7, v4, vcc_lo
	v_mul_hi_u32_u24_e32 v4, 18, v7
	v_lshrrev_b32_e32 v13, 5, v6
	v_and_b32_e32 v14, 12, v6
	s_wait_alu 0xf1ff
	v_add_co_ci_u32_e64 v6, null, s8, 0, s9
	v_mul_lo_u32 v9, v1, s70
	s_wait_kmcnt 0x0
	v_mad_co_u64_u32 v[11:12], null, s4, s74, v[3:4]
	s_delay_alu instid0(VALU_DEP_3)
	v_lshlrev_b64_e32 v[5:6], 1, v[5:6]
	s_mul_i32 s5, s5, s74
	s_mul_i32 s8, s4, s75
	v_mul_hi_u32_u24_e32 v8, 18, v13
	v_mul_u32_u24_e32 v7, 18, v13
	s_wait_alu 0xfffe
	s_add_co_i32 s8, s8, s5
	v_ashrrev_i32_e32 v10, 31, v9
	s_wait_alu 0xfffe
	v_add_nc_u32_e32 v12, s8, v12
	v_add_co_u32 v52, vcc_lo, s6, v5
	v_mad_co_u64_u32 v[28:29], null, s4, s74, v[7:8]
	s_wait_alu 0xfffd
	v_add_co_ci_u32_e64 v43, null, s7, v6, vcc_lo
	v_add_co_u32 v53, vcc_lo, v11, v9
	s_wait_alu 0xfffd
	v_add_co_ci_u32_e64 v209, null, v12, v10, vcc_lo
	v_add_co_u32 v16, vcc_lo, v11, v14
	s_wait_alu 0xfffd
	v_add_co_ci_u32_e64 v17, null, 0, v12, vcc_lo
	v_add_nc_u32_e32 v25, s8, v29
	s_delay_alu instid0(VALU_DEP_3) | instskip(SKIP_1) | instid1(VALU_DEP_3)
	v_add_co_u32 v211, vcc_lo, v16, v9
	s_wait_alu 0xfffd
	v_add_co_ci_u32_e64 v54, null, v17, v10, vcc_lo
	v_add_co_u32 v27, vcc_lo, v28, v14
	s_wait_alu 0xfffd
	v_add_co_ci_u32_e64 v26, null, 0, v25, vcc_lo
	v_add_co_u32 v231, vcc_lo, v28, v9
	v_add_nc_u32_e32 v23, s70, v9
	s_wait_alu 0xfffd
	v_add_co_ci_u32_e64 v57, null, v25, v10, vcc_lo
	v_add_co_u32 v55, vcc_lo, v27, v9
	s_wait_alu 0xfffd
	v_add_co_ci_u32_e64 v60, null, v26, v10, vcc_lo
	v_add_co_u32 v20, vcc_lo, v11, s90
	v_ashrrev_i32_e32 v24, 31, v23
	s_wait_alu 0xfffd
	v_add_co_ci_u32_e64 v18, null, s91, v12, vcc_lo
	v_add_co_u32 v21, vcc_lo, v16, s90
	s_wait_alu 0xfffd
	v_add_co_ci_u32_e64 v19, null, s91, v17, vcc_lo
	v_add_co_u32 v56, vcc_lo, v20, v23
	;; [unrolled: 3-line block ×4, first 2 shown]
	v_add_nc_u32_e32 v28, 31, v1
	s_wait_alu 0xfffd
	v_add_co_ci_u32_e64 v25, null, s91, v25, vcc_lo
	v_add_co_u32 v29, vcc_lo, v27, s90
	s_wait_alu 0xfffd
	v_add_co_ci_u32_e64 v49, null, s91, v26, vcc_lo
	v_mul_lo_u32 v26, s70, v28
	v_add_co_u32 v62, vcc_lo, v22, v23
	v_add_nc_u32_e32 v27, 30, v1
	v_add_nc_u32_e32 v15, s70, v23
	s_wait_alu 0xfffd
	v_add_co_ci_u32_e64 v61, null, v25, v24, vcc_lo
	v_add_co_u32 v207, vcc_lo, v29, v23
	v_ashrrev_i32_e32 v23, 31, v26
	s_wait_alu 0xfffd
	v_add_co_ci_u32_e64 v238, null, v49, v24, vcc_lo
	v_mul_lo_u32 v27, s70, v27
	v_add_co_u32 v64, vcc_lo, v29, v26
	s_wait_alu 0xfffd
	v_add_co_ci_u32_e64 v244, null, v49, v23, vcc_lo
	v_add_co_u32 v66, vcc_lo, v22, v26
	s_wait_alu 0xfffd
	v_add_co_ci_u32_e64 v67, null, v25, v23, vcc_lo
	;; [unrolled: 3-line block ×3, first 2 shown]
	v_add_nc_u32_e32 v30, 29, v1
	v_add_co_u32 v70, vcc_lo, v20, v26
	s_wait_alu 0xfffd
	v_add_co_ci_u32_e64 v71, null, v18, v23, vcc_lo
	v_ashrrev_i32_e32 v23, 31, v27
	v_mul_lo_u32 v26, s70, v30
	v_add_co_u32 v251, vcc_lo, v29, v27
	v_add_nc_u32_e32 v30, 28, v1
	s_wait_alu 0xfffd
	v_add_co_ci_u32_e64 v253, null, v49, v23, vcc_lo
	v_add_co_u32 v254, vcc_lo, v22, v27
	s_wait_alu 0xfffd
	v_add_co_ci_u32_e64 v255, null, v25, v23, vcc_lo
	v_add_co_u32 v75, vcc_lo, v21, v27
	;; [unrolled: 3-line block ×3, first 2 shown]
	s_wait_alu 0xfffd
	v_add_co_ci_u32_e64 v79, null, v18, v23, vcc_lo
	v_ashrrev_i32_e32 v23, 31, v26
	v_mul_lo_u32 v27, s70, v30
	v_add_co_u32 v229, vcc_lo, v29, v26
	v_add_nc_u32_e32 v30, 27, v1
	s_wait_alu 0xfffd
	v_add_co_ci_u32_e64 v213, null, v49, v23, vcc_lo
	v_add_co_u32 v82, vcc_lo, v22, v26
	s_wait_alu 0xfffd
	v_add_co_ci_u32_e64 v83, null, v25, v23, vcc_lo
	v_add_co_u32 v216, vcc_lo, v21, v26
	;; [unrolled: 3-line block ×3, first 2 shown]
	s_wait_alu 0xfffd
	v_add_co_ci_u32_e64 v246, null, v18, v23, vcc_lo
	v_ashrrev_i32_e32 v23, 31, v27
	v_add_co_u32 v249, vcc_lo, v29, v27
	v_mul_lo_u32 v26, s70, v30
	v_add_nc_u32_e32 v32, s70, v15
	s_wait_alu 0xfffd
	v_add_co_ci_u32_e64 v250, null, v49, v23, vcc_lo
	v_add_co_u32 v44, vcc_lo, v22, v27
	s_wait_alu 0xfffd
	v_add_co_ci_u32_e64 v45, null, v25, v23, vcc_lo
	v_add_co_u32 v208, vcc_lo, v21, v27
	;; [unrolled: 3-line block ×3, first 2 shown]
	s_wait_alu 0xfffd
	v_add_co_ci_u32_e64 v191, null, v18, v23, vcc_lo
	v_add_nc_u32_e32 v23, 26, v1
	v_ashrrev_i32_e32 v27, 31, v26
	v_add_co_u32 v84, vcc_lo, v22, v26
	v_add_co_u32 v85, s4, v21, v26
	s_delay_alu instid0(VALU_DEP_4)
	v_mul_lo_u32 v23, s70, v23
	v_add_co_u32 v86, s5, v20, v26
	v_add_co_u32 v87, s6, v29, v26
	v_add_nc_u32_e32 v26, 25, v1
	s_wait_alu 0xf1ff
	v_add_co_ci_u32_e64 v88, null, v49, v27, s6
	s_wait_alu 0xfffd
	v_add_co_ci_u32_e64 v89, null, v25, v27, vcc_lo
	v_mul_lo_u32 v26, s70, v26
	v_add_co_ci_u32_e64 v90, null, v19, v27, s4
	v_add_co_ci_u32_e64 v91, null, v18, v27, s5
	v_ashrrev_i32_e32 v27, 31, v23
	v_add_co_u32 v92, vcc_lo, v22, v23
	v_add_co_u32 v93, s4, v21, v23
	v_add_co_u32 v94, s5, v20, v23
	;; [unrolled: 1-line block ×3, first 2 shown]
	v_add_nc_u32_e32 v23, 24, v1
	s_wait_alu 0xf1ff
	v_add_co_ci_u32_e64 v96, null, v49, v27, s6
	s_wait_alu 0xfffd
	v_add_co_ci_u32_e64 v97, null, v25, v27, vcc_lo
	v_add_co_ci_u32_e64 v98, null, v19, v27, s4
	v_add_co_ci_u32_e64 v99, null, v18, v27, s5
	v_mul_lo_u32 v23, s70, v23
	v_ashrrev_i32_e32 v27, 31, v26
	v_add_co_u32 v100, vcc_lo, v22, v26
	v_add_co_u32 v101, s4, v21, v26
	v_add_co_u32 v102, s5, v20, v26
	;; [unrolled: 1-line block ×3, first 2 shown]
	v_add_nc_u32_e32 v26, 23, v1
	s_wait_alu 0xf1ff
	v_add_co_ci_u32_e64 v104, null, v49, v27, s6
	s_wait_alu 0xfffd
	v_add_co_ci_u32_e64 v105, null, v25, v27, vcc_lo
	v_mul_lo_u32 v26, s70, v26
	v_add_co_ci_u32_e64 v106, null, v19, v27, s4
	v_add_co_ci_u32_e64 v107, null, v18, v27, s5
	v_ashrrev_i32_e32 v27, 31, v23
	v_add_co_u32 v108, vcc_lo, v22, v23
	v_add_co_u32 v109, s4, v21, v23
	v_add_co_u32 v110, s5, v20, v23
	;; [unrolled: 1-line block ×3, first 2 shown]
	v_add_nc_u32_e32 v23, 22, v1
	s_wait_alu 0xf1ff
	v_add_co_ci_u32_e64 v112, null, v49, v27, s6
	s_wait_alu 0xfffd
	v_add_co_ci_u32_e64 v113, null, v25, v27, vcc_lo
	v_add_co_ci_u32_e64 v114, null, v19, v27, s4
	v_add_co_ci_u32_e64 v115, null, v18, v27, s5
	v_mul_lo_u32 v23, s70, v23
	v_ashrrev_i32_e32 v27, 31, v26
	v_add_co_u32 v204, vcc_lo, v22, v26
	v_add_co_u32 v247, s4, v21, v26
	v_add_co_u32 v248, s5, v20, v26
	v_add_co_u32 v243, s6, v29, v26
	v_add_nc_u32_e32 v26, 21, v1
	s_wait_alu 0xf1ff
	v_add_co_ci_u32_e64 v120, null, v49, v27, s6
	s_wait_alu 0xfffd
	v_add_co_ci_u32_e64 v121, null, v25, v27, vcc_lo
	v_mul_lo_u32 v26, s70, v26
	v_add_co_ci_u32_e64 v122, null, v19, v27, s4
	v_add_co_ci_u32_e64 v123, null, v18, v27, s5
	v_ashrrev_i32_e32 v27, 31, v23
	v_add_co_u32 v124, vcc_lo, v22, v23
	v_add_co_u32 v125, s4, v21, v23
	v_add_co_u32 v126, s5, v20, v23
	v_add_co_u32 v128, s6, v29, v23
	v_add_nc_u32_e32 v23, 20, v1
	v_add_nc_u32_e32 v33, s70, v32
	s_wait_alu 0xf1ff
	v_add_co_ci_u32_e64 v129, null, v49, v27, s6
	s_wait_alu 0xfffd
	v_add_co_ci_u32_e64 v130, null, v25, v27, vcc_lo
	v_add_co_ci_u32_e64 v131, null, v19, v27, s4
	v_add_co_ci_u32_e64 v132, null, v18, v27, s5
	v_ashrrev_i32_e32 v27, 31, v26
	v_add_co_u32 v133, vcc_lo, v22, v26
	v_add_co_u32 v134, s4, v21, v26
	v_add_co_u32 v135, s5, v20, v26
	;; [unrolled: 1-line block ×3, first 2 shown]
	v_add_nc_u32_e32 v26, 19, v1
	v_mul_lo_u32 v23, s70, v23
	v_add_nc_u32_e32 v34, s70, v33
	s_wait_alu 0xf1ff
	v_add_co_ci_u32_e64 v138, null, v49, v27, s6
	v_mul_lo_u32 v26, s70, v26
	s_wait_alu 0xfffd
	v_add_co_ci_u32_e64 v252, null, v25, v27, vcc_lo
	v_add_nc_u32_e32 v35, s70, v34
	v_add_co_ci_u32_e64 v140, null, v19, v27, s4
	v_add_co_ci_u32_e64 v141, null, v18, v27, s5
	v_ashrrev_i32_e32 v27, 31, v23
	v_add_co_u32 v142, vcc_lo, v22, v23
	v_add_co_u32 v143, s4, v21, v23
	v_add_co_u32 v144, s5, v20, v23
	;; [unrolled: 1-line block ×3, first 2 shown]
	v_ashrrev_i32_e32 v23, 31, v26
	v_add_nc_u32_e32 v30, s70, v35
	s_wait_alu 0xf1ff
	v_add_co_ci_u32_e64 v146, null, v49, v27, s6
	s_wait_alu 0xfffd
	v_add_co_ci_u32_e64 v147, null, v25, v27, vcc_lo
	v_add_co_ci_u32_e64 v148, null, v19, v27, s4
	v_add_co_ci_u32_e64 v149, null, v18, v27, s5
	v_add_co_u32 v150, vcc_lo, v22, v26
	v_add_co_u32 v151, s4, v21, v26
	v_add_co_u32 v152, s5, v20, v26
	;; [unrolled: 1-line block ×3, first 2 shown]
	s_wait_alu 0xf1ff
	v_add_co_ci_u32_e64 v154, null, v49, v23, s6
	s_wait_alu 0xfffd
	v_add_co_ci_u32_e64 v155, null, v25, v23, vcc_lo
	v_add_co_ci_u32_e64 v156, null, v19, v23, s4
	v_add_co_ci_u32_e64 v157, null, v18, v23, s5
	v_add_nc_u32_e32 v23, s70, v30
	scratch_store_b32 off, v2, off offset:176 ; 4-byte Folded Spill
	v_ashrrev_i32_e32 v219, 31, v34
	v_ashrrev_i32_e32 v220, 31, v33
	v_add_co_u32 v234, s41, v22, v33
	v_add_nc_u32_e32 v26, s70, v23
	v_lshlrev_b32_e32 v1, 1, v1
	v_ashrrev_i32_e32 v215, 31, v23
	v_ashrrev_i32_e32 v222, 31, v15
	;; [unrolled: 1-line block ×3, first 2 shown]
	v_add_nc_u32_e32 v27, s70, v26
	v_ashrrev_i32_e32 v210, 31, v26
	v_add_co_u32 v235, s20, v22, v26
	v_ashrrev_i32_e32 v218, 31, v35
	s_delay_alu instid0(VALU_DEP_4) | instskip(SKIP_3) | instid1(VALU_DEP_4)
	v_add_nc_u32_e32 v31, s70, v27
	v_ashrrev_i32_e32 v205, 31, v27
	v_add_co_u32 v225, s16, v22, v27
	v_ashrrev_i32_e32 v221, 31, v32
	v_add_nc_u32_e32 v36, s70, v31
	v_ashrrev_i32_e32 v200, 31, v31
	v_add_co_u32 v224, s45, v22, v32
	v_add_co_u32 v240, s46, v21, v32
	s_delay_alu instid0(VALU_DEP_4)
	v_add_co_u32 v2, s8, v22, v36
	v_add_nc_u32_e32 v37, s70, v36
	v_add_co_u32 v198, s7, v29, v36
	scratch_store_b32 off, v2, off offset:160 ; 4-byte Folded Spill
	v_add_co_u32 v2, s10, v20, v36
	v_add_nc_u32_e32 v136, s70, v37
	v_ashrrev_i32_e32 v190, 31, v37
	v_ashrrev_i32_e32 v195, 31, v36
	scratch_store_b32 off, v2, off offset:144 ; 4-byte Folded Spill
	v_add_co_u32 v2, s11, v29, v31
	v_add_nc_u32_e32 v38, s70, v136
	v_add_co_u32 v201, s9, v21, v36
	scratch_store_b32 off, v2, off offset:164 ; 4-byte Folded Spill
	v_add_co_u32 v2, s12, v22, v31
	v_add_co_u32 v223, s47, v20, v32
	v_add_co_ci_u32_e64 v16, null, v25, v210, s20
	scratch_store_b32 off, v2, off offset:136 ; 4-byte Folded Spill
	v_add_co_u32 v2, s13, v21, v31
	s_wait_alu 0xf1ff
	v_add_co_ci_u32_e64 v28, null, v19, v200, s13
	v_add_co_u32 v232, s43, v20, v33
	scratch_store_b32 off, v2, off offset:148 ; 4-byte Folded Spill
	v_add_co_u32 v2, s14, v20, v31
	v_add_co_ci_u32_e64 v13, null, v49, v195, s7
	v_add_co_ci_u32_e64 v17, null, v25, v195, s8
	scratch_store_b32 off, v2, off offset:128 ; 4-byte Folded Spill
	v_add_co_u32 v2, s15, v29, v27
	v_add_co_ci_u32_e64 v206, null, v18, v195, s10
	v_add_co_ci_u32_e64 v226, null, v18, v200, s14
	scratch_store_b32 off, v2, off offset:140 ; 4-byte Folded Spill
	v_add_co_u32 v2, s17, v21, v27
	s_delay_alu instid0(VALU_DEP_1)
	v_add_co_ci_u32_e64 v118, null, v19, v205, s17
	v_add_co_ci_u32_e64 v7, null, v25, v200, s12
	scratch_store_b32 off, v2, off offset:132 ; 4-byte Folded Spill
	v_add_co_u32 v2, s18, v20, v27
	s_wait_alu 0xf1ff
	v_add_co_ci_u32_e64 v46, null, v18, v205, s18
	v_add_co_ci_u32_e64 v11, null, v25, v205, s16
	scratch_store_b32 off, v2, off offset:116 ; 4-byte Folded Spill
	v_add_co_u32 v2, s19, v29, v26
	s_wait_alu 0xf1ff
	v_add_co_ci_u32_e64 v14, null, v49, v210, s19
	s_clause 0x1
	scratch_store_b32 off, v1, off offset:1316
	scratch_store_b32 off, v2, off offset:124
	v_add_co_u32 v2, s21, v21, v26
	s_wait_alu 0xf1ff
	v_add_co_ci_u32_e64 v50, null, v19, v210, s21
	v_add_co_ci_u32_e64 v10, null, v49, v205, s15
	scratch_store_b32 off, v2, off offset:120 ; 4-byte Folded Spill
	v_add_co_u32 v2, s22, v20, v26
	v_add_co_u32 v26, s49, v21, v15
	v_add_co_ci_u32_e64 v47, null, v18, v210, s22
	scratch_store_b32 off, v2, off offset:104 ; 4-byte Folded Spill
	v_add_co_u32 v2, s23, v29, v23
	v_add_co_ci_u32_e64 v210, null, v19, v222, s49
	s_wait_alu 0xf1ff
	v_add_co_ci_u32_e64 v228, null, v49, v215, s23
	scratch_store_b32 off, v2, off offset:112 ; 4-byte Folded Spill
	v_add_co_u32 v2, s24, v22, v23
	s_delay_alu instid0(VALU_DEP_1)
	v_add_co_ci_u32_e64 v214, null, v25, v215, s24
	s_add_nc_u64 s[14:15], s[54:55], s[86:87]
	scratch_store_b32 off, v2, off offset:96 ; 4-byte Folded Spill
	v_add_co_u32 v2, s25, v21, v23
	s_wait_alu 0xf1ff
	v_add_co_ci_u32_e64 v175, null, v19, v215, s25
	v_add_co_ci_u32_e64 v6, null, v49, v200, s11
	scratch_store_b32 off, v2, off offset:108 ; 4-byte Folded Spill
	v_add_co_u32 v2, s26, v20, v23
	v_add_co_u32 v23, s50, v20, v15
	v_add_co_ci_u32_e64 v48, null, v18, v215, s26
	scratch_store_b32 off, v2, off offset:88 ; 4-byte Folded Spill
	v_add_co_u32 v2, s27, v29, v30
	v_xor_b32_e32 v215, 16, v242
	s_wait_alu 0xf1ff
	v_add_co_ci_u32_e64 v51, null, v49, v217, s27
	scratch_store_b32 off, v2, off offset:100 ; 4-byte Folded Spill
	v_add_co_u32 v2, s28, v22, v30
	scratch_store_b32 off, v119, off offset:1328 ; 4-byte Folded Spill
	s_mov_b32 s81, s84
	s_mul_i32 s8, s70, s63
	scratch_store_b32 off, v2, off offset:80 ; 4-byte Folded Spill
	v_add_co_u32 v2, s29, v21, v30
	s_mul_i32 s10, s80, s88
	s_mul_i32 s11, s80, s70
	s_and_b32 s12, s96, s97
	scratch_store_b32 off, v2, off offset:92 ; 4-byte Folded Spill
	v_add_co_u32 v2, s30, v20, v30
	scratch_store_b32 off, v2, off offset:72 ; 4-byte Folded Spill
	v_add_co_u32 v2, s31, v29, v35
	;; [unrolled: 2-line block ×4, first 2 shown]
	s_delay_alu instid0(VALU_DEP_1)
	v_add_co_ci_u32_e64 v36, null, v19, v218, s34
	scratch_store_b32 off, v2, off offset:76 ; 4-byte Folded Spill
	v_add_co_u32 v2, s35, v20, v35
	v_add_co_ci_u32_e64 v35, null, v18, v217, s30
	scratch_store_b32 off, v2, off offset:56 ; 4-byte Folded Spill
	v_add_co_u32 v2, s36, v29, v34
	scratch_store_b32 off, v2, off offset:68 ; 4-byte Folded Spill
	v_add_co_u32 v2, s37, v22, v34
	;; [unrolled: 2-line block ×4, first 2 shown]
	s_delay_alu instid0(VALU_DEP_1)
	v_add_co_ci_u32_e64 v27, null, v18, v219, s39
	v_add_co_ci_u32_e64 v34, null, v49, v218, s31
	s_clause 0x1
	scratch_store_b32 off, v2, off offset:40
	scratch_store_b32 off, v27, off offset:628
	v_add_co_u32 v2, s40, v29, v33
	v_add_co_ci_u32_e64 v27, null, v25, v220, s41
	scratch_store_b32 off, v2, off offset:52 ; 4-byte Folded Spill
	v_add_co_u32 v2, s42, v21, v33
	scratch_store_b32 off, v39, off offset:1340 ; 4-byte Folded Spill
	v_add_nc_u32_e32 v39, s70, v38
	s_clause 0x1
	scratch_store_b32 off, v27, off offset:616
	scratch_store_b32 off, v2, off offset:44
	v_add_co_u32 v2, s44, v29, v32
	v_add_co_ci_u32_e64 v32, null, v19, v217, s29
	v_add_co_ci_u32_e64 v27, null, v19, v220, s42
	scratch_store_b32 off, v2, off offset:32 ; 4-byte Folded Spill
	v_add_co_u32 v2, s48, v29, v15
	v_add_co_ci_u32_e64 v33, null, v25, v217, s28
	scratch_store_b32 off, v2, off offset:36 ; 4-byte Folded Spill
	v_add_co_u32 v2, s51, v22, v15
	scratch_store_b32 off, v40, off offset:572 ; 4-byte Folded Spill
	v_add_nc_u32_e32 v40, s70, v39
	v_ashrrev_i32_e32 v15, 31, v136
	scratch_store_b32 off, v2, off offset:28 ; 4-byte Folded Spill
	v_add_co_ci_u32_e64 v2, null, v19, v195, s9
	v_add_nc_u32_e32 v41, s70, v40
	v_add_co_ci_u32_e64 v195, null, v18, v220, s43
	s_mul_i32 s9, s88, s63
	v_ashrrev_i32_e32 v42, 31, v41
	v_add_co_u32 v158, vcc_lo, v22, v41
	v_add_co_u32 v159, s4, v21, v41
	v_add_co_u32 v160, s5, v20, v41
	;; [unrolled: 1-line block ×3, first 2 shown]
	v_ashrrev_i32_e32 v41, 31, v40
	s_wait_alu 0xf1ff
	v_add_co_ci_u32_e64 v162, null, v49, v42, s6
	s_wait_alu 0xfffd
	v_add_co_ci_u32_e64 v163, null, v25, v42, vcc_lo
	v_add_co_ci_u32_e64 v164, null, v19, v42, s4
	v_add_co_ci_u32_e64 v165, null, v18, v42, s5
	v_add_co_u32 v166, vcc_lo, v22, v40
	v_add_co_u32 v167, s4, v21, v40
	v_add_co_u32 v168, s5, v20, v40
	;; [unrolled: 1-line block ×3, first 2 shown]
	v_ashrrev_i32_e32 v40, 31, v39
	s_wait_alu 0xf1ff
	v_add_co_ci_u32_e64 v170, null, v49, v41, s6
	s_wait_alu 0xfffd
	v_add_co_ci_u32_e64 v171, null, v25, v41, vcc_lo
	v_add_co_ci_u32_e64 v172, null, v19, v41, s4
	v_add_co_ci_u32_e64 v173, null, v18, v41, s5
	v_add_co_u32 v174, vcc_lo, v22, v39
	v_add_co_u32 v203, s4, v21, v39
	v_add_co_u32 v176, s5, v20, v39
	;; [unrolled: 1-line block ×3, first 2 shown]
	v_ashrrev_i32_e32 v39, 31, v38
	s_wait_alu 0xfffd
	v_add_co_ci_u32_e64 v179, null, v25, v40, vcc_lo
	v_add_co_u32 v182, vcc_lo, v22, v38
	s_wait_alu 0xf1ff
	v_add_co_ci_u32_e64 v178, null, v49, v40, s6
	v_add_co_ci_u32_e64 v180, null, v19, v40, s4
	v_add_co_u32 v183, s4, v21, v38
	v_add_co_u32 v185, s6, v29, v38
	s_wait_alu 0xfffd
	v_add_co_ci_u32_e64 v187, null, v25, v39, vcc_lo
	v_add_co_u32 v196, vcc_lo, v29, v37
	v_add_co_u32 v29, s52, v29, v136
	v_add_co_ci_u32_e64 v181, null, v18, v40, s5
	v_add_co_u32 v184, s5, v20, v38
	s_wait_alu 0xf1ff
	v_add_co_ci_u32_e64 v188, null, v19, v39, s4
	v_add_co_u32 v199, s4, v22, v37
	v_add_co_ci_u32_e64 v3, null, v49, v15, s52
	v_add_co_u32 v22, s52, v22, v136
	;; [unrolled: 2-line block ×3, first 2 shown]
	s_wait_alu 0xf1ff
	v_add_co_ci_u32_e64 v4, null, v25, v15, s52
	v_add_co_u32 v21, s52, v21, v136
	s_wait_alu 0xf1ff
	v_add_co_ci_u32_e64 v5, null, v19, v15, s52
	v_add_co_ci_u32_e64 v12, null, v19, v190, s5
	;; [unrolled: 1-line block ×5, first 2 shown]
	v_add_co_u32 v202, s6, v20, v37
	v_add_co_u32 v20, s52, v20, v136
	s_wait_alu 0xf1ff
	v_add_co_ci_u32_e64 v15, null, v18, v15, s52
	s_wait_alu 0xfffd
	v_add_co_ci_u32_e64 v8, null, v49, v190, vcc_lo
	v_add_co_ci_u32_e64 v9, null, v25, v190, s4
	v_add_co_ci_u32_e64 v190, null, v18, v190, s6
	;; [unrolled: 1-line block ×3, first 2 shown]
	scratch_store_b32 off, v19, off offset:168 ; 4-byte Folded Spill
	v_add_co_ci_u32_e64 v19, null, v18, v222, s50
	v_add_co_ci_u32_e64 v18, null, v18, v221, s47
	;; [unrolled: 1-line block ×4, first 2 shown]
	scratch_store_b32 off, v18, off offset:152 ; 4-byte Folded Spill
	v_add_co_ci_u32_e64 v18, null, v49, v221, s44
	v_xor_b32_e32 v136, 8, v242
	s_mul_u64 s[4:5], s[68:69], s[74:75]
	v_add_co_ci_u32_e64 v38, null, v49, v219, s36
	scratch_store_b32 off, v18, off offset:624 ; 4-byte Folded Spill
	v_add_co_ci_u32_e64 v18, null, v25, v221, s45
	s_wait_alu 0xfffe
	v_add_co_u32 v0, s13, s4, v0
	s_wait_alu 0xf1ff
	v_add_co_ci_u32_e64 v217, null, s5, 0, s13
	scratch_store_b32 off, v18, off offset:564 ; 4-byte Folded Spill
	v_add_co_ci_u32_e64 v18, null, v25, v222, s51
	v_xor_b32_e32 v25, 1, v242
	s_add_nc_u64 s[6:7], s[92:93], s[94:95]
	v_add_co_ci_u32_e64 v42, null, v49, v220, s40
	scratch_store_b32 off, v18, off offset:156 ; 4-byte Folded Spill
	v_and_b32_e32 v18, 30, v242
	s_wait_alu 0xfffe
	s_add_nc_u64 s[16:17], s[58:59], s[6:7]
	v_add_co_ci_u32_e64 v49, null, v49, v222, s48
	s_lshl_b64 s[6:7], s[80:81], 1
	v_add_nc_u32_e32 v18, 2, v18
	s_delay_alu instid0(VALU_DEP_1) | instskip(SKIP_4) | instid1(VALU_DEP_3)
	v_cmp_lt_i32_e32 vcc_lo, v25, v18
	s_wait_alu 0xfffd
	v_cndmask_b32_e32 v18, v242, v25, vcc_lo
	v_xor_b32_e32 v25, 4, v242
	v_mul_lo_u32 v1, v233, s88
	v_lshlrev_b32_e32 v18, 2, v18
	scratch_store_b32 off, v18, off offset:1320 ; 4-byte Folded Spill
	v_xor_b32_e32 v18, 2, v242
	s_delay_alu instid0(VALU_DEP_1) | instskip(SKIP_4) | instid1(VALU_DEP_2)
	v_cmp_gt_i32_e32 vcc_lo, 32, v18
	s_wait_alu 0xfffd
	v_cndmask_b32_e32 v18, v242, v18, vcc_lo
	v_cmp_gt_i32_e32 vcc_lo, 32, v25
	s_wait_alu 0xfffd
	v_dual_cndmask_b32 v25, v242, v25 :: v_dual_lshlrev_b32 v18, 2, v18
	v_cmp_gt_i32_e32 vcc_lo, 32, v136
	scratch_store_b32 off, v18, off offset:1300 ; 4-byte Folded Spill
	v_lshlrev_b32_e32 v18, 2, v25
	s_wait_alu 0xfffd
	v_cndmask_b32_e32 v136, v242, v136, vcc_lo
	v_cmp_gt_i32_e32 vcc_lo, 32, v215
	v_add_nc_u32_e32 v25, s88, v1
	scratch_store_b32 off, v18, off offset:1304 ; 4-byte Folded Spill
	s_wait_alu 0xfffd
	v_dual_cndmask_b32 v215, v242, v215 :: v_dual_lshlrev_b32 v18, 2, v136
	v_add_co_u32 v218, vcc_lo, v0, v25
	scratch_store_b32 off, v18, off offset:1308 ; 4-byte Folded Spill
	v_lshlrev_b32_e32 v18, 2, v215
	v_ashrrev_i32_e32 v215, 31, v25
	scratch_store_b32 off, v18, off offset:1312 ; 4-byte Folded Spill
	v_lshlrev_b32_e32 v18, 1, v233
	s_wait_alu 0xfffd
	v_add_co_ci_u32_e64 v219, null, v217, v215, vcc_lo
	v_add_co_u32 v218, vcc_lo, s14, v218
	scratch_store_b32 off, v27, off offset:620 ; 4-byte Folded Spill
	s_wait_alu 0xfffe
	v_add_co_u32 v18, s13, s16, v18
	scratch_store_b32 off, v218, off        ; 4-byte Folded Spill
	s_wait_alu 0xfffd
	v_add_co_ci_u32_e64 v218, null, s15, v219, vcc_lo
	v_add_co_u32 v18, vcc_lo, v18, 2
	s_add_nc_u64 s[14:15], s[14:15], s[4:5]
	scratch_store_b32 off, v218, off offset:4 ; 4-byte Folded Spill
	v_add_co_ci_u32_e64 v218, null, s17, 0, s13
	scratch_store_b32 off, v18, off offset:8 ; 4-byte Folded Spill
	s_add_nc_u64 s[16:17], s[56:57], s[90:91]
	s_add_nc_u64 s[4:5], s[4:5], s[86:87]
	s_wait_alu 0xfffd
	v_add_co_ci_u32_e64 v18, null, 0, v218, vcc_lo
	s_wait_alu 0xfffe
	s_add_nc_u64 s[4:5], s[54:55], s[4:5]
	scratch_store_b32 off, v18, off offset:12 ; 4-byte Folded Spill
	v_add_co_u32 v18, vcc_lo, v52, 2
	scratch_store_b32 off, v18, off offset:584 ; 4-byte Folded Spill
	s_wait_alu 0xfffd
	v_add_co_ci_u32_e64 v18, null, 0, v43, vcc_lo
	scratch_store_b32 off, v18, off offset:24 ; 4-byte Folded Spill
	v_add_co_u32 v18, vcc_lo, s16, v211
	s_wait_alu 0xfffd
	v_add_co_ci_u32_e64 v211, null, s17, v54, vcc_lo
	v_add_co_u32 v63, vcc_lo, s16, v53
	s_wait_alu 0xfffd
	v_add_co_ci_u32_e64 v54, null, s17, v209, vcc_lo
	;; [unrolled: 3-line block ×3, first 2 shown]
	scratch_store_b32 off, v18, off offset:576 ; 4-byte Folded Spill
	v_add_co_u32 v18, vcc_lo, s16, v231
	s_wait_alu 0xfffd
	v_add_co_ci_u32_e64 v57, null, s17, v57, vcc_lo
	scratch_store_b32 off, v18, off offset:580 ; 4-byte Folded Spill
	v_add_co_u32 v18, vcc_lo, s14, v25
	v_ashrrev_i32_e32 v25, 31, v1
	scratch_store_b32 off, v18, off offset:16 ; 4-byte Folded Spill
	s_wait_alu 0xfffd
	v_add_co_ci_u32_e64 v18, null, s15, v215, vcc_lo
	v_add_co_u32 v0, vcc_lo, v0, s86
	scratch_store_b32 off, v18, off offset:20 ; 4-byte Folded Spill
	s_wait_alu 0xfffd
	v_add_co_ci_u32_e64 v18, null, s87, v217, vcc_lo
	v_add_co_u32 v0, vcc_lo, v0, v1
	s_wait_alu 0xfffd
	s_delay_alu instid0(VALU_DEP_2)
	v_add_co_ci_u32_e64 v18, null, v18, v25, vcc_lo
	v_add_co_u32 v209, vcc_lo, s16, v55
	s_wait_alu 0xfffd
	v_add_co_ci_u32_e64 v211, null, s17, v60, vcc_lo
	v_add_co_u32 v212, vcc_lo, s54, v0
	s_wait_alu 0xfffd
	v_add_co_ci_u32_e64 v43, null, s55, v18, vcc_lo
	v_add_co_u32 v0, vcc_lo, v209, 2
	scratch_store_b32 off, v0, off offset:604 ; 4-byte Folded Spill
	s_wait_alu 0xfffd
	v_add_co_ci_u32_e64 v0, null, 0, v211, vcc_lo
	scratch_store_b32 off, v0, off offset:608 ; 4-byte Folded Spill
	v_add_co_u32 v0, vcc_lo, s56, v59
	s_wait_alu 0xfffd
	v_add_co_ci_u32_e64 v18, null, s57, v58, vcc_lo
	v_add_co_u32 v27, vcc_lo, s56, v56
	s_wait_alu 0xfffd
	v_add_co_ci_u32_e64 v56, null, s57, v230, vcc_lo
	;; [unrolled: 3-line block ×6, first 2 shown]
	v_add_co_u32 v0, vcc_lo, s56, v23
	s_clause 0x1
	scratch_store_b32 off, v27, off offset:596
	scratch_store_b32 off, v0, off offset:588
	s_wait_alu 0xfffd
	v_add_co_ci_u32_e64 v0, null, s57, v19, vcc_lo
	scratch_store_b32 off, v0, off offset:592 ; 4-byte Folded Spill
	v_add_co_u32 v0, vcc_lo, s56, v26
	s_wait_alu 0xfffd
	v_add_co_ci_u32_e64 v18, null, s57, v210, vcc_lo
	s_delay_alu instid0(VALU_DEP_2)
	v_add_co_u32 v0, vcc_lo, v0, 2
	scratch_store_b32 off, v0, off offset:612 ; 4-byte Folded Spill
	s_wait_alu 0xfffd
	v_add_co_ci_u32_e64 v0, null, 0, v18, vcc_lo
	scratch_store_b32 off, v0, off offset:600 ; 4-byte Folded Spill
	s_wait_alu 0xfffe
	v_add_co_u32 v0, vcc_lo, s4, v1
	s_wait_alu 0xfffd
	v_add_co_ci_u32_e64 v1, null, s5, v25, vcc_lo
	v_add_co_u32 v18, vcc_lo, s56, v64
	s_wait_alu 0xfffd
	v_add_co_ci_u32_e64 v19, null, s57, v244, vcc_lo
	;; [unrolled: 3-line block ×119, first 2 shown]
	s_clause 0x1
	scratch_load_b32 v2, off, off offset:160 th:TH_LOAD_LU
	scratch_load_b32 v4, off, off offset:144 th:TH_LOAD_LU
	s_mov_b32 s5, 0xbbbac73d
	s_wait_loadcnt 0x1
	v_add_co_u32 v2, vcc_lo, s56, v2
	s_wait_alu 0xfffd
	v_add_co_ci_u32_e64 v188, null, s57, v17, vcc_lo
	v_add_co_u32 v189, vcc_lo, v0, 2
	scratch_load_b32 v0, off, off offset:164 th:TH_LOAD_LU ; 4-byte Folded Reload
	s_wait_alu 0xfffd
	v_add_co_ci_u32_e64 v190, null, 0, v1, vcc_lo
	s_wait_loadcnt 0x0
	v_add_co_u32 v0, vcc_lo, s56, v0
	s_wait_alu 0xfffd
	v_add_co_ci_u32_e64 v1, null, s57, v6, vcc_lo
	v_add_co_u32 v196, vcc_lo, s56, v4
	s_wait_alu 0xfffd
	v_add_co_ci_u32_e64 v197, null, s57, v206, vcc_lo
	v_add_co_u32 v198, vcc_lo, v0, 2
	s_clause 0x1
	scratch_load_b32 v0, off, off offset:148 th:TH_LOAD_LU
	scratch_load_b32 v4, off, off offset:136 th:TH_LOAD_LU
	s_wait_alu 0xfffd
	v_add_co_ci_u32_e64 v199, null, 0, v1, vcc_lo
	s_wait_loadcnt 0x1
	v_add_co_u32 v0, vcc_lo, s56, v0
	s_wait_alu 0xfffd
	v_add_co_ci_u32_e64 v1, null, s57, v28, vcc_lo
	s_wait_loadcnt 0x0
	v_add_co_u32 v200, vcc_lo, s56, v4
	s_wait_alu 0xfffd
	v_add_co_ci_u32_e64 v201, null, s57, v7, vcc_lo
	v_add_co_u32 v202, vcc_lo, v0, 2
	s_clause 0x1
	scratch_load_b32 v0, off, off offset:140 th:TH_LOAD_LU
	scratch_load_b32 v4, off, off offset:128 th:TH_LOAD_LU
	s_wait_alu 0xfffd
	v_add_co_ci_u32_e64 v203, null, 0, v1, vcc_lo
	s_wait_loadcnt 0x1
	v_add_co_u32 v0, vcc_lo, s56, v0
	s_wait_alu 0xfffd
	v_add_co_ci_u32_e64 v1, null, s57, v10, vcc_lo
	s_wait_loadcnt 0x0
	v_add_co_u32 v204, vcc_lo, s56, v4
	s_wait_alu 0xfffd
	v_add_co_ci_u32_e64 v205, null, s57, v226, vcc_lo
	v_add_co_u32 v206, vcc_lo, v0, 2
	scratch_load_b32 v0, off, off offset:132 th:TH_LOAD_LU ; 4-byte Folded Reload
	s_wait_alu 0xfffd
	v_add_co_ci_u32_e64 v207, null, 0, v1, vcc_lo
	s_wait_loadcnt 0x0
	v_add_co_u32 v4, vcc_lo, s56, v0
	s_wait_alu 0xfffd
	v_add_co_ci_u32_e64 v5, null, s57, v118, vcc_lo
	v_add_co_u32 v208, vcc_lo, s56, v225
	s_wait_alu 0xfffd
	v_add_co_ci_u32_e64 v225, null, s57, v11, vcc_lo
	v_add_co_u32 v0, vcc_lo, v4, 2
	scratch_load_b32 v4, off, off offset:124 th:TH_LOAD_LU ; 4-byte Folded Reload
	s_wait_alu 0xfffd
	v_add_co_ci_u32_e64 v1, null, 0, v5, vcc_lo
	scratch_load_b32 v11, off, off offset:92 th:TH_LOAD_LU ; 4-byte Folded Reload
	s_wait_loadcnt 0x1
	v_add_co_u32 v8, vcc_lo, s56, v4
	scratch_load_b32 v4, off, off offset:116 th:TH_LOAD_LU ; 4-byte Folded Reload
	s_wait_alu 0xfffd
	v_add_co_ci_u32_e64 v9, null, s57, v14, vcc_lo
	s_wait_loadcnt 0x0
	v_add_co_u32 v4, vcc_lo, s56, v4
	s_wait_alu 0xfffd
	v_add_co_ci_u32_e64 v5, null, s57, v46, vcc_lo
	v_add_co_u32 v6, vcc_lo, v8, 2
	scratch_load_b32 v8, off, off offset:120 th:TH_LOAD_LU ; 4-byte Folded Reload
	s_wait_alu 0xfffd
	v_add_co_ci_u32_e64 v7, null, 0, v9, vcc_lo
	s_wait_loadcnt 0x0
	v_add_co_u32 v12, vcc_lo, s56, v8
	scratch_load_b32 v8, off, off offset:112 th:TH_LOAD_LU ; 4-byte Folded Reload
	s_wait_alu 0xfffd
	v_add_co_ci_u32_e64 v13, null, s57, v50, vcc_lo
	v_add_co_u32 v218, vcc_lo, s56, v235
	s_wait_alu 0xfffd
	v_add_co_ci_u32_e64 v219, null, s57, v16, vcc_lo
	v_add_co_u32 v215, vcc_lo, v12, 2
	s_wait_alu 0xfffd
	v_add_co_ci_u32_e64 v235, null, 0, v13, vcc_lo
	s_wait_loadcnt 0x0
	v_add_co_u32 v16, vcc_lo, s56, v8
	scratch_load_b32 v8, off, off offset:104 th:TH_LOAD_LU ; 4-byte Folded Reload
	s_wait_alu 0xfffd
	v_add_co_ci_u32_e64 v17, null, s57, v228, vcc_lo
	s_wait_loadcnt 0x0
	v_add_co_u32 v238, vcc_lo, s56, v8
	scratch_load_b32 v8, off, off offset:108 th:TH_LOAD_LU ; 4-byte Folded Reload
	s_wait_alu 0xfffd
	v_add_co_ci_u32_e64 v221, null, s57, v47, vcc_lo
	v_add_co_u32 v222, vcc_lo, v16, 2
	s_wait_alu 0xfffd
	v_add_co_ci_u32_e64 v226, null, 0, v17, vcc_lo
	scratch_load_b32 v16, off, off offset:84 th:TH_LOAD_LU ; 4-byte Folded Reload
	s_wait_loadcnt 0x1
	v_add_co_u32 v20, vcc_lo, s56, v8
	scratch_load_b32 v8, off, off offset:96 th:TH_LOAD_LU ; 4-byte Folded Reload
	s_wait_alu 0xfffd
	v_add_co_ci_u32_e64 v21, null, s57, v175, vcc_lo
	s_wait_loadcnt 0x0
	v_add_co_u32 v227, vcc_lo, s56, v8
	scratch_load_b32 v8, off, off offset:100 th:TH_LOAD_LU ; 4-byte Folded Reload
	s_wait_alu 0xfffd
	v_add_co_ci_u32_e64 v228, null, s57, v214, vcc_lo
	v_add_co_u32 v214, vcc_lo, v20, 2
	s_wait_alu 0xfffd
	v_add_co_ci_u32_e64 v213, null, 0, v21, vcc_lo
	s_wait_loadcnt 0x0
	v_add_co_u32 v25, vcc_lo, s56, v8
	scratch_load_b32 v8, off, off offset:88 th:TH_LOAD_LU ; 4-byte Folded Reload
	s_wait_alu 0xfffd
	v_add_co_ci_u32_e64 v28, null, s57, v51, vcc_lo
	s_wait_loadcnt 0x0
	v_add_co_u32 v8, vcc_lo, s56, v8
	s_wait_alu 0xfffd
	v_add_co_ci_u32_e64 v9, null, s57, v48, vcc_lo
	v_add_co_u32 v25, vcc_lo, v25, 2
	s_wait_alu 0xfffd
	v_add_co_ci_u32_e64 v10, null, 0, v28, vcc_lo
	v_add_co_u32 v28, vcc_lo, s56, v11
	scratch_load_b32 v11, off, off offset:80 th:TH_LOAD_LU ; 4-byte Folded Reload
	s_wait_alu 0xfffd
	v_add_co_ci_u32_e64 v29, null, s57, v32, vcc_lo
	s_wait_loadcnt 0x0
	v_add_co_u32 v11, vcc_lo, s56, v11
	s_wait_alu 0xfffd
	v_add_co_ci_u32_e64 v12, null, s57, v33, vcc_lo
	v_add_co_u32 v13, vcc_lo, v28, 2
	s_wait_alu 0xfffd
	v_add_co_ci_u32_e64 v14, null, 0, v29, vcc_lo
	v_add_co_u32 v48, vcc_lo, s56, v16
	s_clause 0x1
	scratch_load_b32 v16, off, off offset:72 th:TH_LOAD_LU
	scratch_load_b32 v28, off, off offset:76 th:TH_LOAD_LU
	s_wait_alu 0xfffd
	v_add_co_ci_u32_e64 v50, null, s57, v34, vcc_lo
	s_wait_loadcnt 0x1
	v_add_co_u32 v16, vcc_lo, s56, v16
	s_wait_alu 0xfffd
	v_add_co_ci_u32_e64 v17, null, s57, v35, vcc_lo
	v_add_co_u32 v20, vcc_lo, v48, 2
	s_wait_alu 0xfffd
	v_add_co_ci_u32_e64 v21, null, 0, v50, vcc_lo
	s_wait_loadcnt 0x0
	v_add_co_u32 v48, vcc_lo, s56, v28
	s_clause 0x1
	scratch_load_b32 v28, off, off offset:64 th:TH_LOAD_LU
	scratch_load_b32 v35, off, off offset:56 th:TH_LOAD_LU
	s_wait_alu 0xfffd
	v_add_co_ci_u32_e64 v32, null, s57, v36, vcc_lo
	scratch_load_b32 v36, off, off offset:564 th:TH_LOAD_LU ; 4-byte Folded Reload
	s_wait_loadcnt 0x2
	v_add_co_u32 v28, vcc_lo, s56, v28
	s_wait_alu 0xfffd
	v_add_co_ci_u32_e64 v29, null, s57, v37, vcc_lo
	v_add_co_u32 v34, vcc_lo, v48, 2
	s_wait_alu 0xfffd
	v_add_co_ci_u32_e64 v37, null, 0, v32, vcc_lo
	scratch_load_b32 v32, off, off offset:68 th:TH_LOAD_LU ; 4-byte Folded Reload
	s_wait_loadcnt 0x0
	v_add_co_u32 v32, vcc_lo, s56, v32
	s_wait_alu 0xfffd
	v_add_co_ci_u32_e64 v33, null, s57, v38, vcc_lo
	v_add_co_u32 v38, vcc_lo, s56, v35
	s_wait_alu 0xfffd
	v_add_co_ci_u32_e64 v39, null, s57, v39, vcc_lo
	v_add_co_u32 v48, vcc_lo, v32, 2
	s_clause 0x1
	scratch_load_b32 v32, off, off offset:60 th:TH_LOAD_LU
	scratch_load_b32 v35, off, off offset:48 th:TH_LOAD_LU
	s_wait_alu 0xfffd
	v_add_co_ci_u32_e64 v50, null, 0, v33, vcc_lo
	s_wait_loadcnt 0x1
	v_add_co_u32 v32, vcc_lo, s56, v32
	s_wait_alu 0xfffd
	v_add_co_ci_u32_e64 v33, null, s57, v40, vcc_lo
	s_wait_loadcnt 0x0
	v_add_co_u32 v40, vcc_lo, s56, v35
	s_wait_alu 0xfffd
	v_add_co_ci_u32_e64 v41, null, s57, v41, vcc_lo
	v_add_co_u32 v51, vcc_lo, v32, 2
	s_clause 0x1
	scratch_load_b32 v32, off, off offset:52 th:TH_LOAD_LU
	scratch_load_b32 v35, off, off offset:40 th:TH_LOAD_LU
	s_wait_alu 0xfffd
	v_add_co_ci_u32_e64 v216, null, 0, v33, vcc_lo
	s_wait_loadcnt 0x1
	v_add_co_u32 v32, vcc_lo, s56, v32
	s_wait_alu 0xfffd
	v_add_co_ci_u32_e64 v33, null, s57, v42, vcc_lo
	s_wait_loadcnt 0x0
	v_add_co_u32 v42, vcc_lo, s56, v35
	scratch_load_b32 v35, off, off offset:628 th:TH_LOAD_LU ; 4-byte Folded Reload
	s_wait_loadcnt 0x0
	s_wait_alu 0xfffd
	v_add_co_ci_u32_e64 v44, null, s57, v35, vcc_lo
	v_add_co_u32 v217, vcc_lo, v32, 2
	s_clause 0x1
	scratch_load_b32 v32, off, off offset:44 th:TH_LOAD_LU
	scratch_load_b32 v35, off, off offset:616 th:TH_LOAD_LU
	s_wait_alu 0xfffd
	v_add_co_ci_u32_e64 v229, null, 0, v33, vcc_lo
	scratch_load_b32 v33, off, off offset:620 th:TH_LOAD_LU ; 4-byte Folded Reload
	s_wait_loadcnt 0x2
	v_add_co_u32 v32, vcc_lo, s56, v32
	s_wait_loadcnt 0x0
	s_wait_alu 0xfffd
	v_add_co_ci_u32_e64 v33, null, s57, v33, vcc_lo
	v_add_co_u32 v46, vcc_lo, s56, v234
	s_wait_alu 0xfffd
	v_add_co_ci_u32_e64 v47, null, s57, v35, vcc_lo
	v_add_co_u32 v118, vcc_lo, v32, 2
	scratch_load_b32 v32, off, off offset:32 th:TH_LOAD_LU ; 4-byte Folded Reload
	s_wait_alu 0xfffd
	v_add_co_ci_u32_e64 v35, null, 0, v33, vcc_lo
	scratch_load_b32 v33, off, off offset:624 th:TH_LOAD_LU ; 4-byte Folded Reload
	s_wait_loadcnt 0x1
	v_add_co_u32 v32, vcc_lo, s56, v32
	s_wait_loadcnt 0x0
	s_wait_alu 0xfffd
	v_add_co_ci_u32_e64 v33, null, s57, v33, vcc_lo
	v_add_co_u32 v45, vcc_lo, s56, v232
	s_wait_alu 0xfffd
	v_add_co_ci_u32_e64 v195, null, s57, v195, vcc_lo
	v_add_co_u32 v52, vcc_lo, v32, 2
	s_wait_alu 0xfffd
	v_add_co_ci_u32_e64 v234, null, 0, v33, vcc_lo
	scratch_load_b32 v33, off, off offset:168 th:TH_LOAD_LU ; 4-byte Folded Reload
	v_add_co_u32 v32, vcc_lo, s56, v240
	s_wait_loadcnt 0x0
	s_wait_alu 0xfffd
	v_add_co_ci_u32_e64 v33, null, s57, v33, vcc_lo
	v_add_co_u32 v175, vcc_lo, s56, v224
	s_wait_alu 0xfffd
	v_add_co_ci_u32_e64 v231, null, s57, v36, vcc_lo
	v_add_co_u32 v232, vcc_lo, v32, 2
	s_clause 0x1
	scratch_load_b32 v32, off, off offset:36 th:TH_LOAD_LU
	scratch_load_b32 v36, off, off offset:152 th:TH_LOAD_LU
	s_wait_alu 0xfffd
	v_add_co_ci_u32_e64 v233, null, 0, v33, vcc_lo
	s_wait_loadcnt 0x1
	v_add_co_u32 v32, vcc_lo, s56, v32
	s_wait_alu 0xfffd
	v_add_co_ci_u32_e64 v33, null, s57, v49, vcc_lo
	v_add_co_u32 v49, vcc_lo, s56, v223
	s_wait_loadcnt 0x0
	s_wait_alu 0xfffd
	v_add_co_ci_u32_e64 v224, null, s57, v36, vcc_lo
	scratch_load_b32 v36, off, off offset:28 th:TH_LOAD_LU ; 4-byte Folded Reload
	v_add_co_u32 v32, vcc_lo, v32, 2
	s_wait_alu 0xfffd
	v_add_co_ci_u32_e64 v33, null, 0, v33, vcc_lo
	s_wait_loadcnt 0x0
	v_add_co_u32 v223, vcc_lo, s56, v36
	scratch_load_b32 v36, off, off offset:156 th:TH_LOAD_LU ; 4-byte Folded Reload
	s_wait_loadcnt 0x0
	s_wait_alu 0xfffd
	v_add_co_ci_u32_e64 v240, null, s57, v36, vcc_lo
	v_dual_mov_b32 v119, v35 :: v_dual_and_b32 v36, 4, v119
	scratch_store_b32 off, v36, off offset:1324 ; 4-byte Folded Spill
	v_dual_mov_b32 v35, s84 :: v_dual_mov_b32 v36, s85
	scratch_store_b64 off, v[35:36], off offset:564 ; 8-byte Folded Spill
	v_dual_mov_b32 v35, s82 :: v_dual_mov_b32 v36, s83
	s_branch .LBB31_22
.LBB31_21:                              ;   in Loop: Header=BB31_22 Depth=1
	s_clause 0x1f
	scratch_load_b32 v115, off, off offset:944
	scratch_load_b32 v158, off, off offset:940
	scratch_load_b32 v159, off, off offset:936
	scratch_load_b32 v160, off, off offset:932
	scratch_load_b32 v161, off, off offset:928
	scratch_load_b32 v162, off, off offset:924
	scratch_load_b32 v163, off, off offset:920
	scratch_load_b32 v164, off, off offset:916
	scratch_load_b32 v165, off, off offset:912
	scratch_load_b32 v166, off, off offset:908
	scratch_load_b32 v167, off, off offset:904
	scratch_load_b32 v168, off, off offset:900
	scratch_load_b32 v169, off, off offset:896
	scratch_load_b32 v170, off, off offset:892
	scratch_load_b32 v171, off, off offset:888
	scratch_load_b32 v85, off, off offset:884
	scratch_load_b32 v173, off, off offset:880
	scratch_load_b32 v118, off, off offset:876
	scratch_load_b32 v3, off, off offset:872
	scratch_load_b32 v195, off, off offset:616
	scratch_load_b32 v208, off, off offset:620
	scratch_load_b32 v22, off, off offset:624
	scratch_load_b32 v15, off, off offset:628
	scratch_load_b32 v4, off, off offset:632
	scratch_load_b32 v122, off, off offset:636
	scratch_load_b32 v28, off, off offset:640
	scratch_load_b32 v8, off, off offset:644
	scratch_load_b32 v10, off, off offset:648
	scratch_load_b32 v25, off, off offset:652
	scratch_load_b32 v11, off, off offset:656
	scratch_load_b32 v12, off, off offset:660
	scratch_load_b32 v13, off, off offset:664
	s_clause 0x1f
	scratch_load_b32 v14, off, off offset:668
	scratch_load_b32 v16, off, off offset:672
	scratch_load_b32 v82, off, off offset:676
	scratch_load_b32 v29, off, off offset:680
	scratch_load_b32 v20, off, off offset:684
	scratch_load_b32 v21, off, off offset:688
	scratch_load_b32 v213, off, off offset:692
	scratch_load_b32 v196, off, off offset:696
	scratch_load_b32 v197, off, off offset:700
	scratch_load_b32 v198, off, off offset:704
	scratch_load_b32 v199, off, off offset:708
	scratch_load_b32 v200, off, off offset:712
	scratch_load_b32 v201, off, off offset:716
	scratch_load_b32 v202, off, off offset:720
	scratch_load_b32 v23, off, off offset:724
	scratch_load_b32 v24, off, off offset:728
	scratch_load_b32 v139, off, off offset:732
	scratch_load_b32 v191, off, off offset:736
	scratch_load_b32 v207, off, off offset:740
	scratch_load_b32 v224, off, off offset:744
	scratch_load_b32 v225, off, off offset:748
	scratch_load_b32 v105, off, off offset:752
	scratch_load_b32 v240, off, off offset:756
	scratch_load_b32 v246, off, off offset:760
	scratch_load_b32 v112, off, off offset:764
	scratch_load_b32 v6, off, off offset:28
	scratch_load_b32 v2, off, off offset:32
	scratch_load_b32 v87, off, off offset:36
	scratch_load_b32 v136, off, off offset:40
	scratch_load_b32 v90, off, off offset:768
	scratch_load_b32 v235, off, off offset:772
	scratch_load_b32 v238, off, off offset:776
	s_clause 0x1f
	scratch_load_b32 v221, off, off offset:780
	scratch_load_b32 v203, off, off offset:784
	scratch_load_b32 v109, off, off offset:788
	scratch_load_b32 v102, off, off offset:792
	scratch_load_b32 v7, off, off offset:796
	scratch_load_b32 v219, off, off offset:800
	scratch_load_b32 v209, off, off offset:804
	scratch_load_b32 v88, off, off offset:44
	scratch_load_b32 v69, off, off offset:48
	scratch_load_b32 v71, off, off offset:52
	scratch_load_b32 v73, off, off offset:56
	scratch_load_b32 v75, off, off offset:60
	scratch_load_b32 v79, off, off offset:64
	scratch_load_b32 v81, off, off offset:68
	scratch_load_b32 v83, off, off offset:72
	scratch_load_b32 v236, off, off offset:76
	scratch_load_b32 v239, off, off offset:80
	scratch_load_b32 v64, off, off offset:84
	scratch_load_b32 v66, off, off offset:88
	scratch_load_b32 v68, off, off offset:92
	scratch_load_b32 v70, off, off offset:96
	scratch_load_b32 v142, off, off offset:808
	scratch_load_b32 v216, off, off offset:812
	scratch_load_b32 v156, off, off offset:816
	scratch_load_b32 v1, off, off offset:100
	scratch_load_b32 v117, off, off offset:104
	scratch_load_b32 v103, off, off offset:108
	scratch_load_b32 v95, off, off offset:112
	scratch_load_b32 v96, off, off offset:116
	scratch_load_b32 v97, off, off offset:120
	scratch_load_b32 v210, off, off offset:820
	scratch_load_b32 v98, off, off offset:124
	s_clause 0x18
	scratch_load_b32 v99, off, off offset:128
	scratch_load_b32 v211, off, off offset:824
	;; [unrolled: 1-line block ×25, first 2 shown]
	v_dual_mov_b32 v114, v242 :: v_dual_add_f32 v33, 0x40051340, v37
	v_add_f32_e32 v32, 0x40051340, v39
	v_cndmask_b32_e64 v37, v37, v39, s1
	s_add_co_i32 s63, s63, s80
	v_add_f32_e32 v46, 0x40051340, v38
	v_cndmask_b32_e64 v38, v38, v40, s1
	v_max3_num_f32 v32, v35, v32, v33
	s_cmp_ge_i32 s63, s53
	v_mov_b32_e32 v243, v131
	v_dual_mov_b32 v253, v134 :: v_dual_mov_b32 v254, v128
	v_mov_b32_e32 v174, v153
	s_wait_loadcnt 0x3e
	v_dual_mov_b32 v150, v148 :: v_dual_mov_b32 v153, v138
	v_mov_b32_e32 v131, v89
	v_dual_mov_b32 v205, v12 :: v_dual_mov_b32 v206, v191
	s_wait_loadcnt 0xe
	v_dual_mov_b32 v217, v211 :: v_dual_mov_b32 v84, v55
	s_wait_loadcnt 0x3
	ds_bpermute_b32 v33, v47, v32
	s_wait_dscnt 0x0
	v_max_num_f32_e32 v33, v33, v33
	s_delay_alu instid0(VALU_DEP_1) | instskip(SKIP_4) | instid1(VALU_DEP_1)
	v_max_num_f32_e32 v32, v32, v33
	s_wait_loadcnt 0x2
	ds_bpermute_b32 v33, v48, v32
	s_wait_dscnt 0x0
	v_max_num_f32_e32 v33, v33, v33
	v_max_num_f32_e32 v32, v32, v33
	s_wait_loadcnt 0x1
	ds_bpermute_b32 v33, v49, v32
	s_wait_dscnt 0x0
	v_max_num_f32_e32 v33, v33, v33
	s_delay_alu instid0(VALU_DEP_1) | instskip(SKIP_4) | instid1(VALU_DEP_1)
	v_max_num_f32_e32 v32, v32, v33
	s_wait_loadcnt 0x0
	ds_bpermute_b32 v33, v50, v32
	s_wait_dscnt 0x0
	v_max_num_f32_e32 v33, v33, v33
	v_max_num_f32_e32 v19, v32, v33
	s_delay_alu instid0(VALU_DEP_1) | instskip(NEXT) | instid1(VALU_DEP_1)
	v_sub_f32_e32 v32, v35, v19
	v_mul_f32_e32 v33, 0x3fb8aa3b, v32
	v_cmp_ngt_f32_e32 vcc_lo, 0xc2ce8ed0, v32
	s_delay_alu instid0(VALU_DEP_2) | instskip(SKIP_1) | instid1(VALU_DEP_1)
	v_fma_f32 v34, 0x3fb8aa3b, v32, -v33
	v_rndne_f32_e32 v35, v33
	v_dual_fmac_f32 v34, 0x32a5705f, v32 :: v_dual_sub_f32 v33, v33, v35
	s_delay_alu instid0(VALU_DEP_1) | instskip(SKIP_1) | instid1(VALU_DEP_2)
	v_add_f32_e32 v33, v33, v34
	v_cvt_i32_f32_e32 v34, v35
	v_exp_f32_e32 v33, v33
	s_delay_alu instid0(TRANS32_DEP_1) | instskip(SKIP_1) | instid1(VALU_DEP_1)
	v_ldexp_f32 v33, v33, v34
	s_wait_alu 0xfffd
	v_cndmask_b32_e32 v33, 0, v33, vcc_lo
	v_cmp_nlt_f32_e32 vcc_lo, 0x42b17218, v32
	s_wait_alu 0xfffd
	s_delay_alu instid0(VALU_DEP_2) | instskip(NEXT) | instid1(VALU_DEP_1)
	v_cndmask_b32_e32 v18, 0x7f800000, v33, vcc_lo
	v_cvt_f16_f32_e32 v32, v18
	scratch_store_b32 off, v18, off offset:584 ; 4-byte Folded Spill
	v_mov_b32_e32 v18, v19
	v_and_b32_e32 v32, 0xffff, v32
	s_delay_alu instid0(VALU_DEP_1)
	v_mul_u32_u24_e32 v41, 0x10001, v32
	ds_load_b128 v[32:35], v127
	ds_load_b128 v[42:45], v127 offset:16
	s_wait_dscnt 0x1
	v_pk_mul_f16 v32, v32, v41
	v_pk_mul_f16 v33, v33, v41
	;; [unrolled: 1-line block ×4, first 2 shown]
	v_add_f32_e32 v41, 0x40051340, v40
	s_delay_alu instid0(VALU_DEP_1) | instskip(SKIP_3) | instid1(VALU_DEP_1)
	v_max3_num_f32 v41, v36, v41, v46
	ds_bpermute_b32 v46, v47, v41
	s_wait_dscnt 0x0
	v_max_num_f32_e32 v46, v46, v46
	v_max_num_f32_e32 v41, v41, v46
	ds_bpermute_b32 v46, v48, v41
	s_wait_dscnt 0x0
	v_max_num_f32_e32 v46, v46, v46
	s_delay_alu instid0(VALU_DEP_1) | instskip(SKIP_3) | instid1(VALU_DEP_1)
	v_max_num_f32_e32 v41, v41, v46
	ds_bpermute_b32 v46, v49, v41
	s_wait_dscnt 0x0
	v_max_num_f32_e32 v46, v46, v46
	v_max_num_f32_e32 v41, v41, v46
	ds_bpermute_b32 v46, v50, v41
	s_wait_dscnt 0x0
	v_max_num_f32_e32 v46, v46, v46
	s_delay_alu instid0(VALU_DEP_1) | instskip(NEXT) | instid1(VALU_DEP_1)
	v_max_num_f32_e32 v19, v41, v46
	v_sub_f32_e32 v36, v36, v19
	s_delay_alu instid0(VALU_DEP_1) | instskip(SKIP_1) | instid1(VALU_DEP_2)
	v_mul_f32_e32 v41, 0x3fb8aa3b, v36
	v_cmp_ngt_f32_e32 vcc_lo, 0xc2ce8ed0, v36
	v_fma_f32 v46, 0x3fb8aa3b, v36, -v41
	v_rndne_f32_e32 v47, v41
	s_delay_alu instid0(VALU_DEP_1) | instskip(SKIP_2) | instid1(VALU_DEP_3)
	v_dual_fmac_f32 v46, 0x32a5705f, v36 :: v_dual_sub_f32 v41, v41, v47
	v_dual_mov_b32 v50, v19 :: v_dual_mov_b32 v49, v18
	v_mov_b32_e32 v19, v123
	v_add_f32_e32 v41, v41, v46
	v_cvt_i32_f32_e32 v46, v47
	s_delay_alu instid0(VALU_DEP_4) | instskip(SKIP_3) | instid1(VALU_DEP_1)
	v_dual_sub_f32 v38, v38, v50 :: v_dual_sub_f32 v37, v37, v49
	scratch_store_b64 off, v[49:50], off offset:1272 ; 8-byte Folded Spill
	v_exp_f32_e32 v41, v41
	v_mul_f32_e32 v39, 0x3fb8aa3b, v38
	v_fma_f32 v40, 0x3fb8aa3b, v38, -v39
	s_delay_alu instid0(TRANS32_DEP_1) | instskip(SKIP_1) | instid1(VALU_DEP_1)
	v_ldexp_f32 v41, v41, v46
	s_wait_alu 0xfffd
	v_dual_fmac_f32 v40, 0x32a5705f, v38 :: v_dual_cndmask_b32 v41, 0, v41
	v_cmp_nlt_f32_e32 vcc_lo, 0x42b17218, v36
	s_wait_alu 0xfffd
	s_delay_alu instid0(VALU_DEP_2) | instskip(NEXT) | instid1(VALU_DEP_1)
	v_cndmask_b32_e32 v18, 0x7f800000, v41, vcc_lo
	v_cvt_f16_f32_e32 v36, v18
	s_delay_alu instid0(VALU_DEP_1) | instskip(NEXT) | instid1(VALU_DEP_1)
	v_and_b32_e32 v36, 0xffff, v36
	v_mul_u32_u24_e32 v36, 0x10001, v36
	s_delay_alu instid0(VALU_DEP_1)
	v_pk_mul_f16 v48, v44, v36
	v_add_co_u32 v44, vcc_lo, v61, s8
	v_pk_mul_f16 v41, v43, v36
	v_pk_mul_f16 v43, v45, v36
	s_wait_alu 0xfffd
	v_add_co_ci_u32_e64 v45, null, 0, v54, vcc_lo
	v_pk_mul_f16 v42, v42, v36
	global_load_b32 v36, v[44:45], off
	v_add_co_u32 v44, vcc_lo, v124, s8
	s_wait_alu 0xfffd
	v_add_co_ci_u32_e64 v45, null, 0, v193, vcc_lo
	global_load_b32 v46, v[44:45], off
	v_add_co_u32 v44, vcc_lo, v63, s8
	s_wait_alu 0xfffd
	v_add_co_ci_u32_e64 v45, null, 0, v57, vcc_lo
	global_load_u16 v47, v[44:45], off
	v_add_co_u32 v44, vcc_lo, v228, s8
	s_wait_alu 0xfffd
	v_add_co_ci_u32_e64 v45, null, 0, v60, vcc_lo
	v_cmp_ngt_f32_e32 vcc_lo, 0xc2ce8ed0, v38
	global_load_u16 v44, v[44:45], off
	v_rndne_f32_e32 v45, v39
	s_delay_alu instid0(VALU_DEP_1) | instskip(SKIP_1) | instid1(VALU_DEP_2)
	v_sub_f32_e32 v39, v39, v45
	v_cvt_i32_f32_e32 v45, v45
	v_dual_add_f32 v39, v39, v40 :: v_dual_mul_f32 v40, 0x3fb8aa3b, v37
	scratch_store_b32 off, v18, off offset:1204 ; 4-byte Folded Spill
	v_exp_f32_e32 v39, v39
	v_fma_f32 v49, 0x3fb8aa3b, v37, -v40
	v_rndne_f32_e32 v50, v40
	s_delay_alu instid0(VALU_DEP_1) | instskip(SKIP_1) | instid1(TRANS32_DEP_1)
	v_dual_sub_f32 v40, v40, v50 :: v_dual_fmac_f32 v49, 0x32a5705f, v37
	v_cmp_ngt_f32_e64 s4, 0xc2ce8ed0, v37
	v_ldexp_f32 v39, v39, v45
	v_cvt_i32_f32_e32 v45, v50
	s_wait_alu 0xfffd
	s_delay_alu instid0(VALU_DEP_2) | instskip(SKIP_1) | instid1(VALU_DEP_2)
	v_dual_add_f32 v40, v40, v49 :: v_dual_cndmask_b32 v39, 0, v39
	v_cmp_nlt_f32_e32 vcc_lo, 0x42b17218, v38
	v_exp_f32_e32 v40, v40
	s_delay_alu instid0(TRANS32_DEP_1) | instskip(SKIP_1) | instid1(VALU_DEP_1)
	v_ldexp_f32 v40, v40, v45
	s_wait_alu 0xf1ff
	v_cndmask_b32_e64 v38, 0, v40, s4
	v_cmp_nlt_f32_e64 s4, 0x42b17218, v37
	s_wait_alu 0xf1ff
	s_delay_alu instid0(VALU_DEP_1)
	v_cndmask_b32_e64 v18, 0x7f800000, v38, s4
	s_wait_alu 0xfffd
	v_cndmask_b32_e32 v38, 0x7f800000, v39, vcc_lo
	scratch_load_b32 v39, off, off offset:1296 ; 4-byte Folded Reload
	v_cvt_f16_f32_e32 v37, v18
	s_clause 0x1
	scratch_store_b32 off, v18, off offset:1212
	scratch_store_b32 off, v38, off offset:1208
	v_cvt_f16_f32_e32 v38, v38
	s_wait_loadcnt 0x0
	ds_store_b16 v39, v37
	ds_store_b16 v39, v38 offset:256
	s_clause 0x1
	scratch_load_b32 v175, off, off offset:1324
	scratch_load_b32 v18, off, off offset:1316
	s_wait_loadcnt 0x1
	v_ashrrev_i32_e32 v36, v175, v36
	s_delay_alu instid0(VALU_DEP_1) | instskip(NEXT) | instid1(VALU_DEP_1)
	v_and_b32_e32 v36, 0xf0f0f0f, v36
	v_lshlrev_b16 v37, 8, v36
	v_and_b32_e32 v38, 0xf00, v36
	v_lshrrev_b32_e32 v36, 16, v36
	s_delay_alu instid0(VALU_DEP_3) | instskip(NEXT) | instid1(VALU_DEP_1)
	v_add_nc_u16 v37, 0xf800, v37
	v_lshrrev_b16 v37, 8, v37
	s_delay_alu instid0(VALU_DEP_1) | instskip(SKIP_1) | instid1(VALU_DEP_2)
	v_or_b32_e32 v37, v38, v37
	v_ashrrev_i32_e32 v38, v175, v46
	v_add_nc_u16 v37, 0xf800, v37
	s_delay_alu instid0(VALU_DEP_2) | instskip(NEXT) | instid1(VALU_DEP_1)
	v_and_b32_e32 v38, 0xf0f0f0f, v38
	v_lshlrev_b16 v39, 8, v38
	v_and_b32_e32 v40, 0xf00, v38
	v_lshrrev_b32_e32 v38, 16, v38
	s_delay_alu instid0(VALU_DEP_3) | instskip(NEXT) | instid1(VALU_DEP_1)
	v_add_nc_u16 v39, 0xf800, v39
	v_lshrrev_b16 v39, 8, v39
	s_delay_alu instid0(VALU_DEP_1) | instskip(SKIP_2) | instid1(VALU_DEP_3)
	v_or_b32_e32 v39, v40, v39
	v_lshlrev_b16 v40, 8, v36
	v_and_b32_e32 v36, 0xf00, v36
	v_add_nc_u16 v39, 0xf800, v39
	s_delay_alu instid0(VALU_DEP_3) | instskip(NEXT) | instid1(VALU_DEP_1)
	v_add_nc_u16 v40, 0xf800, v40
	v_lshrrev_b16 v40, 8, v40
	s_delay_alu instid0(VALU_DEP_1) | instskip(SKIP_2) | instid1(VALU_DEP_3)
	v_or_b32_e32 v36, v36, v40
	v_lshlrev_b16 v40, 8, v38
	v_and_b32_e32 v38, 0xf00, v38
	v_add_nc_u16 v36, 0xf800, v36
	s_delay_alu instid0(VALU_DEP_3) | instskip(NEXT) | instid1(VALU_DEP_1)
	v_add_nc_u16 v40, 0xf800, v40
	v_lshrrev_b16 v40, 8, v40
	s_delay_alu instid0(VALU_DEP_1) | instskip(SKIP_2) | instid1(VALU_DEP_3)
	v_or_b32_e32 v38, v38, v40
	v_lshrrev_b32_e32 v40, 8, v37
	v_bfe_i32 v37, v37, 0, 8
	v_add_nc_u16 v38, 0xf800, v38
	s_delay_alu instid0(VALU_DEP_3) | instskip(NEXT) | instid1(VALU_DEP_3)
	v_bfe_i32 v40, v40, 0, 8
	v_cvt_f16_i16_e32 v37, v37
	s_delay_alu instid0(VALU_DEP_2) | instskip(NEXT) | instid1(VALU_DEP_1)
	v_cvt_f16_i16_e32 v40, v40
	v_pack_b32_f16 v37, v37, v40
	v_lshrrev_b32_e32 v40, 8, v39
	v_bfe_i32 v39, v39, 0, 8
	s_delay_alu instid0(VALU_DEP_2) | instskip(NEXT) | instid1(VALU_DEP_2)
	v_bfe_i32 v40, v40, 0, 8
	v_cvt_f16_i16_e32 v39, v39
	s_delay_alu instid0(VALU_DEP_2) | instskip(NEXT) | instid1(VALU_DEP_1)
	v_cvt_f16_i16_e32 v40, v40
	v_pack_b32_f16 v39, v39, v40
	v_lshrrev_b32_e32 v40, 8, v36
	v_bfe_i32 v36, v36, 0, 8
	s_delay_alu instid0(VALU_DEP_2) | instskip(NEXT) | instid1(VALU_DEP_2)
	;; [unrolled: 8-line block ×3, first 2 shown]
	v_bfe_i32 v40, v40, 0, 8
	v_cvt_f16_i16_e32 v38, v38
	s_delay_alu instid0(VALU_DEP_2) | instskip(NEXT) | instid1(VALU_DEP_1)
	v_cvt_f16_i16_e32 v40, v40
	v_pack_b32_f16 v38, v38, v40
	v_mul_u32_u24_e32 v40, 0x10001, v47
	s_delay_alu instid0(VALU_DEP_1) | instskip(SKIP_2) | instid1(VALU_DEP_2)
	v_pk_mul_f16 v178, v36, v40
	v_mul_u32_u24_e32 v36, 0x10001, v44
	v_pk_mul_f16 v179, v37, v40
	v_pk_mul_f16 v176, v39, v36
	;; [unrolled: 1-line block ×3, first 2 shown]
	s_wait_loadcnt 0x0
	ds_load_b128 v[44:47], v18 offset:256
	ds_load_b128 v[36:39], v18 offset:272
	s_wait_dscnt 0x1
	v_and_b32_e32 v40, 0xffff, v44
	s_delay_alu instid0(VALU_DEP_1) | instskip(NEXT) | instid1(VALU_DEP_1)
	v_mul_u32_u24_e32 v40, 0x10001, v40
	v_pk_fma_f16 v180, v179, v40, v42
	v_pk_fma_f16 v182, v176, v40, v48
	;; [unrolled: 1-line block ×4, first 2 shown]
	ds_load_b128 v[48:51], v18
	ds_load_b128 v[40:43], v18 offset:16
	ds_store_b128 v127, v[32:35]
	ds_store_b128 v127, v[180:183] offset:16
	s_wait_dscnt 0x3
	v_and_b32_e32 v184, 0xffff, v48
	v_lshrrev_b32_e32 v48, 16, v48
	s_delay_alu instid0(VALU_DEP_2) | instskip(NEXT) | instid1(VALU_DEP_2)
	v_mul_u32_u24_e32 v184, 0x10001, v184
	v_mul_u32_u24_e32 v48, 0x10001, v48
	s_delay_alu instid0(VALU_DEP_2)
	v_pk_fma_f16 v185, v179, v184, v32
	v_add_co_u32 v32, vcc_lo, v244, s8
	v_pk_fma_f16 v186, v178, v184, v33
	s_wait_alu 0xfffd
	v_add_co_ci_u32_e64 v33, null, 0, v249, vcc_lo
	global_load_b32 v34, v[32:33], off
	v_add_co_u32 v32, vcc_lo, v121, s8
	s_wait_alu 0xfffd
	v_add_co_ci_u32_e64 v33, null, 0, v230, vcc_lo
	global_load_b32 v35, v[32:33], off
	v_add_co_u32 v32, vcc_lo, v215, s8
	s_wait_alu 0xfffd
	v_add_co_ci_u32_e64 v33, null, 0, v255, vcc_lo
	global_load_u16 v178, v[32:33], off
	v_add_co_u32 v32, vcc_lo, v220, s8
	s_wait_alu 0xfffd
	v_add_co_ci_u32_e64 v33, null, 0, v78, vcc_lo
	global_load_u16 v32, v[32:33], off
	s_wait_loadcnt 0x3
	v_ashrrev_i32_e32 v33, v175, v34
	s_delay_alu instid0(VALU_DEP_1) | instskip(SKIP_2) | instid1(VALU_DEP_2)
	v_and_b32_e32 v33, 0xf0f0f0f, v33
	s_wait_loadcnt 0x2
	v_ashrrev_i32_e32 v35, v175, v35
	v_lshlrev_b16 v34, 8, v33
	v_and_b32_e32 v179, 0xf00, v33
	v_lshrrev_b32_e32 v33, 16, v33
	s_delay_alu instid0(VALU_DEP_4) | instskip(NEXT) | instid1(VALU_DEP_4)
	v_and_b32_e32 v35, 0xf0f0f0f, v35
	v_add_nc_u16 v34, 0xf800, v34
	s_wait_loadcnt 0x1
	v_mul_u32_u24_e32 v178, 0x10001, v178
	s_delay_alu instid0(VALU_DEP_3) | instskip(NEXT) | instid1(VALU_DEP_3)
	v_and_b32_e32 v187, 0xf00, v35
	v_lshrrev_b16 v34, 8, v34
	s_wait_loadcnt 0x0
	v_mul_u32_u24_e32 v32, 0x10001, v32
	s_delay_alu instid0(VALU_DEP_2) | instskip(SKIP_2) | instid1(VALU_DEP_3)
	v_or_b32_e32 v34, v179, v34
	v_lshlrev_b16 v179, 8, v35
	v_lshrrev_b32_e32 v35, 16, v35
	v_add_nc_u16 v34, 0xf800, v34
	s_delay_alu instid0(VALU_DEP_3) | instskip(NEXT) | instid1(VALU_DEP_1)
	v_add_nc_u16 v179, 0xf800, v179
	v_lshrrev_b16 v179, 8, v179
	s_delay_alu instid0(VALU_DEP_1) | instskip(SKIP_2) | instid1(VALU_DEP_3)
	v_or_b32_e32 v179, v187, v179
	v_lshlrev_b16 v187, 8, v33
	v_and_b32_e32 v33, 0xf00, v33
	v_add_nc_u16 v179, 0xf800, v179
	s_delay_alu instid0(VALU_DEP_3) | instskip(NEXT) | instid1(VALU_DEP_1)
	v_add_nc_u16 v187, 0xf800, v187
	v_lshrrev_b16 v187, 8, v187
	s_delay_alu instid0(VALU_DEP_1) | instskip(SKIP_2) | instid1(VALU_DEP_3)
	v_or_b32_e32 v33, v33, v187
	v_lshlrev_b16 v187, 8, v35
	v_and_b32_e32 v35, 0xf00, v35
	v_add_nc_u16 v33, 0xf800, v33
	s_delay_alu instid0(VALU_DEP_3) | instskip(NEXT) | instid1(VALU_DEP_1)
	v_add_nc_u16 v187, 0xf800, v187
	v_lshrrev_b16 v187, 8, v187
	s_delay_alu instid0(VALU_DEP_1) | instskip(SKIP_2) | instid1(VALU_DEP_3)
	v_or_b32_e32 v35, v35, v187
	v_lshrrev_b32_e32 v187, 8, v34
	v_bfe_i32 v34, v34, 0, 8
	v_add_nc_u16 v35, 0xf800, v35
	s_delay_alu instid0(VALU_DEP_3) | instskip(NEXT) | instid1(VALU_DEP_3)
	v_bfe_i32 v187, v187, 0, 8
	v_cvt_f16_i16_e32 v34, v34
	s_delay_alu instid0(VALU_DEP_2) | instskip(NEXT) | instid1(VALU_DEP_1)
	v_cvt_f16_i16_e64 v187, v187
	v_pack_b32_f16 v34, v34, v187
	v_lshrrev_b32_e32 v187, 8, v179
	v_bfe_i32 v179, v179, 0, 8
	s_delay_alu instid0(VALU_DEP_2) | instskip(NEXT) | instid1(VALU_DEP_2)
	v_bfe_i32 v187, v187, 0, 8
	v_cvt_f16_i16_e64 v179, v179
	s_delay_alu instid0(VALU_DEP_2) | instskip(NEXT) | instid1(VALU_DEP_1)
	v_cvt_f16_i16_e64 v187, v187
	v_pack_b32_f16 v179, v179, v187
	v_lshrrev_b32_e32 v187, 8, v33
	v_bfe_i32 v33, v33, 0, 8
	s_delay_alu instid0(VALU_DEP_3) | instskip(NEXT) | instid1(VALU_DEP_3)
	v_pk_mul_f16 v189, v179, v32
	v_bfe_i32 v187, v187, 0, 8
	s_delay_alu instid0(VALU_DEP_3) | instskip(NEXT) | instid1(VALU_DEP_2)
	v_cvt_f16_i16_e32 v33, v33
	v_cvt_f16_i16_e64 v187, v187
	s_delay_alu instid0(VALU_DEP_1) | instskip(SKIP_2) | instid1(VALU_DEP_3)
	v_pack_b32_f16 v33, v33, v187
	v_lshrrev_b32_e32 v187, 8, v35
	v_bfe_i32 v35, v35, 0, 8
	v_pk_mul_f16 v188, v33, v178
	s_delay_alu instid0(VALU_DEP_3) | instskip(NEXT) | instid1(VALU_DEP_3)
	v_bfe_i32 v187, v187, 0, 8
	v_cvt_f16_i16_e32 v35, v35
	s_delay_alu instid0(VALU_DEP_2) | instskip(NEXT) | instid1(VALU_DEP_1)
	v_cvt_f16_i16_e64 v187, v187
	v_pack_b32_f16 v35, v35, v187
	v_pk_mul_f16 v187, v34, v178
	ds_load_b64 v[178:179], v127 offset:8
	v_pk_mul_f16 v190, v35, v32
	v_lshrrev_b32_e32 v32, 16, v44
	s_delay_alu instid0(VALU_DEP_1) | instskip(NEXT) | instid1(VALU_DEP_1)
	v_mul_u32_u24_e32 v35, 0x10001, v32
	v_pk_fma_f16 v32, v187, v35, v180
	v_add_co_u32 v180, vcc_lo, v194, s8
	v_pk_fma_f16 v33, v188, v35, v181
	s_wait_alu 0xfffd
	v_add_co_ci_u32_e64 v181, null, 0, v62, vcc_lo
	s_wait_dscnt 0x0
	v_pk_fma_f16 v44, v176, v184, v178
	v_pk_fma_f16 v179, v177, v184, v179
	;; [unrolled: 1-line block ×6, first 2 shown]
	global_load_b32 v44, v[180:181], off
	v_add_co_u32 v180, vcc_lo, v74, s8
	s_wait_alu 0xfffd
	v_add_co_ci_u32_e64 v181, null, 0, v76, vcc_lo
	v_pk_fma_f16 v179, v190, v48, v179
	v_pk_fma_f16 v35, v190, v35, v183
	v_mov_b32_e32 v190, v120
	global_load_b32 v48, v[180:181], off
	v_add_co_u32 v180, vcc_lo, v237, s8
	s_wait_alu 0xfffd
	v_add_co_ci_u32_e64 v181, null, 0, v241, vcc_lo
	ds_store_b128 v127, v[176:179]
	ds_store_b128 v127, v[32:35] offset:16
	v_mov_b32_e32 v188, v20
	global_load_u16 v182, v[180:181], off
	v_add_co_u32 v180, vcc_lo, v223, s8
	s_wait_alu 0xfffd
	v_add_co_ci_u32_e64 v181, null, 0, v104, vcc_lo
	v_mov_b32_e32 v189, v21
	global_load_u16 v180, v[180:181], off
	s_wait_loadcnt 0x3
	v_ashrrev_i32_e32 v44, v175, v44
	s_delay_alu instid0(VALU_DEP_1) | instskip(SKIP_2) | instid1(VALU_DEP_2)
	v_and_b32_e32 v44, 0xf0f0f0f, v44
	s_wait_loadcnt 0x2
	v_ashrrev_i32_e32 v48, v175, v48
	v_lshlrev_b16 v181, 8, v44
	v_and_b32_e32 v183, 0xf00, v44
	v_lshrrev_b32_e32 v44, 16, v44
	s_delay_alu instid0(VALU_DEP_4) | instskip(NEXT) | instid1(VALU_DEP_4)
	v_and_b32_e32 v48, 0xf0f0f0f, v48
	v_add_nc_u16 v181, 0xf800, v181
	s_wait_loadcnt 0x1
	v_mul_u32_u24_e32 v182, 0x10001, v182
	s_delay_alu instid0(VALU_DEP_3) | instskip(NEXT) | instid1(VALU_DEP_3)
	v_and_b32_e32 v184, 0xf00, v48
	v_lshrrev_b16 v181, 8, v181
	s_wait_loadcnt 0x0
	v_mul_u32_u24_e32 v180, 0x10001, v180
	s_delay_alu instid0(VALU_DEP_2) | instskip(SKIP_2) | instid1(VALU_DEP_3)
	v_or_b32_e32 v181, v183, v181
	v_lshlrev_b16 v183, 8, v48
	v_lshrrev_b32_e32 v48, 16, v48
	v_add_nc_u16 v181, 0xf800, v181
	s_delay_alu instid0(VALU_DEP_3) | instskip(NEXT) | instid1(VALU_DEP_1)
	v_add_nc_u16 v183, 0xf800, v183
	v_lshrrev_b16 v183, 8, v183
	s_delay_alu instid0(VALU_DEP_1) | instskip(SKIP_2) | instid1(VALU_DEP_3)
	v_or_b32_e32 v183, v184, v183
	v_lshlrev_b16 v184, 8, v44
	v_and_b32_e32 v44, 0xf00, v44
	v_add_nc_u16 v183, 0xf800, v183
	s_delay_alu instid0(VALU_DEP_3) | instskip(NEXT) | instid1(VALU_DEP_1)
	v_add_nc_u16 v184, 0xf800, v184
	v_lshrrev_b16 v184, 8, v184
	s_delay_alu instid0(VALU_DEP_1) | instskip(SKIP_2) | instid1(VALU_DEP_3)
	v_or_b32_e32 v44, v44, v184
	v_lshlrev_b16 v184, 8, v48
	v_and_b32_e32 v48, 0xf00, v48
	v_add_nc_u16 v44, 0xf800, v44
	s_delay_alu instid0(VALU_DEP_3) | instskip(NEXT) | instid1(VALU_DEP_1)
	v_add_nc_u16 v184, 0xf800, v184
	v_lshrrev_b16 v184, 8, v184
	s_delay_alu instid0(VALU_DEP_1) | instskip(SKIP_2) | instid1(VALU_DEP_3)
	v_or_b32_e32 v48, v48, v184
	v_lshrrev_b32_e32 v184, 8, v181
	v_bfe_i32 v181, v181, 0, 8
	v_add_nc_u16 v48, 0xf800, v48
	s_delay_alu instid0(VALU_DEP_3) | instskip(NEXT) | instid1(VALU_DEP_3)
	v_bfe_i32 v184, v184, 0, 8
	v_cvt_f16_i16_e64 v181, v181
	s_delay_alu instid0(VALU_DEP_2) | instskip(NEXT) | instid1(VALU_DEP_1)
	v_cvt_f16_i16_e64 v184, v184
	v_pack_b32_f16 v181, v181, v184
	v_lshrrev_b32_e32 v184, 8, v183
	v_bfe_i32 v183, v183, 0, 8
	s_delay_alu instid0(VALU_DEP_2) | instskip(NEXT) | instid1(VALU_DEP_2)
	v_bfe_i32 v184, v184, 0, 8
	v_cvt_f16_i16_e64 v183, v183
	s_delay_alu instid0(VALU_DEP_2) | instskip(NEXT) | instid1(VALU_DEP_1)
	v_cvt_f16_i16_e64 v184, v184
	v_pack_b32_f16 v183, v183, v184
	v_lshrrev_b32_e32 v184, 8, v44
	v_bfe_i32 v44, v44, 0, 8
	s_delay_alu instid0(VALU_DEP_3) | instskip(NEXT) | instid1(VALU_DEP_3)
	v_pk_mul_f16 v185, v183, v180
	v_bfe_i32 v184, v184, 0, 8
	s_delay_alu instid0(VALU_DEP_3) | instskip(NEXT) | instid1(VALU_DEP_2)
	v_cvt_f16_i16_e32 v44, v44
	v_cvt_f16_i16_e64 v184, v184
	s_delay_alu instid0(VALU_DEP_1) | instskip(SKIP_2) | instid1(VALU_DEP_3)
	v_pack_b32_f16 v44, v44, v184
	v_lshrrev_b32_e32 v184, 8, v48
	v_bfe_i32 v48, v48, 0, 8
	v_pk_mul_f16 v44, v44, v182
	s_delay_alu instid0(VALU_DEP_3) | instskip(NEXT) | instid1(VALU_DEP_3)
	v_bfe_i32 v184, v184, 0, 8
	v_cvt_f16_i16_e32 v48, v48
	s_delay_alu instid0(VALU_DEP_2) | instskip(NEXT) | instid1(VALU_DEP_1)
	v_cvt_f16_i16_e64 v184, v184
	v_pack_b32_f16 v48, v48, v184
	v_pk_mul_f16 v184, v181, v182
	s_delay_alu instid0(VALU_DEP_2) | instskip(SKIP_1) | instid1(VALU_DEP_1)
	v_pk_mul_f16 v48, v48, v180
	v_and_b32_e32 v180, 0xffff, v49
	v_mul_u32_u24_e32 v183, 0x10001, v180
	s_delay_alu instid0(VALU_DEP_1)
	v_pk_fma_f16 v180, v184, v183, v176
	v_and_b32_e32 v176, 0xffff, v45
	v_pk_fma_f16 v181, v44, v183, v177
	v_pk_fma_f16 v182, v185, v183, v178
	;; [unrolled: 1-line block ×3, first 2 shown]
	v_lshrrev_b32_e32 v45, 16, v45
	v_mul_u32_u24_e32 v179, 0x10001, v176
	s_delay_alu instid0(VALU_DEP_2) | instskip(NEXT) | instid1(VALU_DEP_2)
	v_mul_u32_u24_e32 v45, 0x10001, v45
	v_pk_fma_f16 v176, v184, v179, v32
	v_add_co_u32 v32, vcc_lo, v232, s8
	v_pk_fma_f16 v177, v44, v179, v33
	s_wait_alu 0xfffd
	v_add_co_ci_u32_e64 v33, null, 0, v106, vcc_lo
	v_pk_fma_f16 v178, v185, v179, v34
	v_pk_fma_f16 v179, v48, v179, v35
	ds_store_b128 v127, v[180:183]
	global_load_b32 v34, v[32:33], off
	v_add_co_u32 v32, vcc_lo, v72, s8
	s_wait_alu 0xfffd
	v_add_co_ci_u32_e64 v33, null, 0, v5, vcc_lo
	ds_store_b128 v127, v[176:179] offset:16
	v_mov_b32_e32 v5, v8
	global_load_u16 v35, v[32:33], off
	v_add_co_u32 v32, vcc_lo, v52, s8
	s_wait_alu 0xfffd
	v_add_co_ci_u32_e64 v33, null, 0, v55, vcc_lo
	v_mov_b32_e32 v52, v240
	global_load_b32 v44, v[32:33], off
	v_add_co_u32 v32, vcc_lo, v9, s8
	s_wait_alu 0xfffd
	v_add_co_ci_u32_e64 v33, null, 0, v231, vcc_lo
	v_mov_b32_e32 v9, v246
	global_load_u16 v32, v[32:33], off
	s_wait_loadcnt 0x3
	v_ashrrev_i32_e32 v33, v175, v34
	s_delay_alu instid0(VALU_DEP_1) | instskip(SKIP_2) | instid1(VALU_DEP_2)
	v_and_b32_e32 v33, 0xf0f0f0f, v33
	s_wait_loadcnt 0x2
	v_mul_u32_u24_e32 v35, 0x10001, v35
	v_lshlrev_b16 v34, 8, v33
	v_and_b32_e32 v48, 0xf00, v33
	v_lshrrev_b32_e32 v33, 16, v33
	s_delay_alu instid0(VALU_DEP_3) | instskip(NEXT) | instid1(VALU_DEP_1)
	v_add_nc_u16 v34, 0xf800, v34
	v_lshrrev_b16 v34, 8, v34
	s_wait_loadcnt 0x0
	v_mul_u32_u24_e32 v32, 0x10001, v32
	s_delay_alu instid0(VALU_DEP_2) | instskip(SKIP_2) | instid1(VALU_DEP_3)
	v_or_b32_e32 v34, v48, v34
	v_lshlrev_b16 v48, 8, v33
	v_and_b32_e32 v33, 0xf00, v33
	v_add_nc_u16 v34, 0xf800, v34
	s_delay_alu instid0(VALU_DEP_3) | instskip(NEXT) | instid1(VALU_DEP_1)
	v_add_nc_u16 v48, 0xf800, v48
	v_lshrrev_b16 v48, 8, v48
	s_delay_alu instid0(VALU_DEP_1) | instskip(NEXT) | instid1(VALU_DEP_4)
	v_or_b32_e32 v33, v33, v48
	v_lshrrev_b32_e32 v48, 8, v34
	v_bfe_i32 v34, v34, 0, 8
	s_delay_alu instid0(VALU_DEP_3) | instskip(NEXT) | instid1(VALU_DEP_3)
	v_add_nc_u16 v33, 0xf800, v33
	v_bfe_i32 v48, v48, 0, 8
	s_delay_alu instid0(VALU_DEP_3) | instskip(NEXT) | instid1(VALU_DEP_2)
	v_cvt_f16_i16_e32 v34, v34
	v_cvt_f16_i16_e32 v48, v48
	s_delay_alu instid0(VALU_DEP_1) | instskip(SKIP_2) | instid1(VALU_DEP_2)
	v_pack_b32_f16 v34, v34, v48
	v_lshrrev_b32_e32 v48, 8, v33
	v_bfe_i32 v33, v33, 0, 8
	v_bfe_i32 v48, v48, 0, 8
	s_delay_alu instid0(VALU_DEP_2) | instskip(NEXT) | instid1(VALU_DEP_2)
	v_cvt_f16_i16_e32 v33, v33
	v_cvt_f16_i16_e32 v48, v48
	s_delay_alu instid0(VALU_DEP_1) | instskip(SKIP_1) | instid1(VALU_DEP_2)
	v_pack_b32_f16 v33, v33, v48
	v_pk_mul_f16 v48, v34, v35
	v_pk_mul_f16 v184, v33, v35
	v_ashrrev_i32_e32 v33, v175, v44
	s_delay_alu instid0(VALU_DEP_1) | instskip(NEXT) | instid1(VALU_DEP_1)
	v_and_b32_e32 v33, 0xf0f0f0f, v33
	v_lshlrev_b16 v34, 8, v33
	v_and_b32_e32 v35, 0xf00, v33
	v_lshrrev_b32_e32 v33, 16, v33
	s_delay_alu instid0(VALU_DEP_3) | instskip(NEXT) | instid1(VALU_DEP_1)
	v_add_nc_u16 v34, 0xf800, v34
	v_lshrrev_b16 v34, 8, v34
	s_delay_alu instid0(VALU_DEP_1) | instskip(NEXT) | instid1(VALU_DEP_4)
	v_or_b32_e32 v34, v35, v34
	v_lshlrev_b16 v35, 8, v33
	v_and_b32_e32 v33, 0xf00, v33
	s_delay_alu instid0(VALU_DEP_3) | instskip(NEXT) | instid1(VALU_DEP_3)
	v_add_nc_u16 v34, 0xf800, v34
	v_add_nc_u16 v35, 0xf800, v35
	s_delay_alu instid0(VALU_DEP_1) | instskip(NEXT) | instid1(VALU_DEP_1)
	v_lshrrev_b16 v35, 8, v35
	v_or_b32_e32 v33, v33, v35
	s_delay_alu instid0(VALU_DEP_4) | instskip(SKIP_1) | instid1(VALU_DEP_3)
	v_lshrrev_b32_e32 v35, 8, v34
	v_bfe_i32 v34, v34, 0, 8
	v_add_nc_u16 v33, 0xf800, v33
	s_delay_alu instid0(VALU_DEP_3) | instskip(NEXT) | instid1(VALU_DEP_3)
	v_bfe_i32 v35, v35, 0, 8
	v_cvt_f16_i16_e32 v34, v34
	s_delay_alu instid0(VALU_DEP_2) | instskip(NEXT) | instid1(VALU_DEP_1)
	v_cvt_f16_i16_e32 v35, v35
	v_pack_b32_f16 v34, v34, v35
	v_lshrrev_b32_e32 v35, 8, v33
	v_bfe_i32 v33, v33, 0, 8
	s_delay_alu instid0(VALU_DEP_3) | instskip(NEXT) | instid1(VALU_DEP_3)
	v_pk_mul_f16 v44, v34, v32
	v_bfe_i32 v35, v35, 0, 8
	s_delay_alu instid0(VALU_DEP_3) | instskip(NEXT) | instid1(VALU_DEP_2)
	v_cvt_f16_i16_e32 v33, v33
	v_cvt_f16_i16_e32 v35, v35
	s_delay_alu instid0(VALU_DEP_1) | instskip(NEXT) | instid1(VALU_DEP_1)
	v_pack_b32_f16 v33, v33, v35
	v_pk_mul_f16 v185, v33, v32
	v_lshrrev_b32_e32 v32, 16, v49
	s_delay_alu instid0(VALU_DEP_1) | instskip(NEXT) | instid1(VALU_DEP_1)
	v_mul_u32_u24_e32 v35, 0x10001, v32
	v_pk_fma_f16 v34, v44, v35, v182
	v_pk_fma_f16 v182, v44, v45, v178
	v_add_co_u32 v44, vcc_lo, v214, s8
	v_pk_fma_f16 v32, v48, v35, v180
	v_pk_fma_f16 v33, v184, v35, v181
	;; [unrolled: 1-line block ×6, first 2 shown]
	s_wait_alu 0xfffd
	v_add_co_ci_u32_e64 v45, null, 0, v119, vcc_lo
	ds_store_b128 v127, v[32:35]
	v_mov_b32_e32 v119, v3
	ds_store_b128 v127, v[180:183] offset:16
	global_load_b32 v48, v[44:45], off
	v_add_co_u32 v44, vcc_lo, v77, s8
	s_wait_alu 0xfffd
	v_add_co_ci_u32_e64 v45, null, 0, v218, vcc_lo
	global_load_u16 v49, v[44:45], off
	v_add_co_u32 v44, vcc_lo, v211, s8
	s_wait_alu 0xfffd
	v_add_co_ci_u32_e64 v45, null, 0, v229, vcc_lo
	global_load_b32 v176, v[44:45], off
	v_add_co_u32 v44, vcc_lo, v65, s8
	s_wait_alu 0xfffd
	v_add_co_ci_u32_e64 v45, null, 0, v67, vcc_lo
	global_load_u16 v44, v[44:45], off
	s_wait_loadcnt 0x3
	v_ashrrev_i32_e32 v45, v175, v48
	s_delay_alu instid0(VALU_DEP_1) | instskip(SKIP_2) | instid1(VALU_DEP_2)
	v_and_b32_e32 v45, 0xf0f0f0f, v45
	s_wait_loadcnt 0x2
	v_mul_u32_u24_e32 v49, 0x10001, v49
	v_lshlrev_b16 v48, 8, v45
	v_and_b32_e32 v177, 0xf00, v45
	v_lshrrev_b32_e32 v45, 16, v45
	s_delay_alu instid0(VALU_DEP_3) | instskip(NEXT) | instid1(VALU_DEP_1)
	v_add_nc_u16 v48, 0xf800, v48
	v_lshrrev_b16 v48, 8, v48
	s_wait_loadcnt 0x0
	v_mul_u32_u24_e32 v44, 0x10001, v44
	s_delay_alu instid0(VALU_DEP_2) | instskip(SKIP_2) | instid1(VALU_DEP_3)
	v_or_b32_e32 v48, v177, v48
	v_lshlrev_b16 v177, 8, v45
	v_and_b32_e32 v45, 0xf00, v45
	v_add_nc_u16 v48, 0xf800, v48
	s_delay_alu instid0(VALU_DEP_3) | instskip(NEXT) | instid1(VALU_DEP_1)
	v_add_nc_u16 v177, 0xf800, v177
	v_lshrrev_b16 v177, 8, v177
	s_delay_alu instid0(VALU_DEP_1) | instskip(NEXT) | instid1(VALU_DEP_4)
	v_or_b32_e32 v45, v45, v177
	v_lshrrev_b32_e32 v177, 8, v48
	v_bfe_i32 v48, v48, 0, 8
	s_delay_alu instid0(VALU_DEP_3) | instskip(NEXT) | instid1(VALU_DEP_3)
	v_add_nc_u16 v45, 0xf800, v45
	v_bfe_i32 v177, v177, 0, 8
	s_delay_alu instid0(VALU_DEP_3) | instskip(NEXT) | instid1(VALU_DEP_2)
	v_cvt_f16_i16_e32 v48, v48
	v_cvt_f16_i16_e64 v177, v177
	s_delay_alu instid0(VALU_DEP_1) | instskip(SKIP_2) | instid1(VALU_DEP_3)
	v_pack_b32_f16 v48, v48, v177
	v_lshrrev_b32_e32 v177, 8, v45
	v_bfe_i32 v45, v45, 0, 8
	v_pk_mul_f16 v48, v48, v49
	s_delay_alu instid0(VALU_DEP_3) | instskip(NEXT) | instid1(VALU_DEP_3)
	v_bfe_i32 v177, v177, 0, 8
	v_cvt_f16_i16_e32 v45, v45
	s_delay_alu instid0(VALU_DEP_2) | instskip(NEXT) | instid1(VALU_DEP_1)
	v_cvt_f16_i16_e64 v177, v177
	v_pack_b32_f16 v45, v45, v177
	s_delay_alu instid0(VALU_DEP_1) | instskip(SKIP_1) | instid1(VALU_DEP_1)
	v_pk_mul_f16 v45, v45, v49
	v_ashrrev_i32_e32 v49, v175, v176
	v_and_b32_e32 v49, 0xf0f0f0f, v49
	s_delay_alu instid0(VALU_DEP_1) | instskip(SKIP_2) | instid1(VALU_DEP_3)
	v_lshlrev_b16 v176, 8, v49
	v_and_b32_e32 v177, 0xf00, v49
	v_lshrrev_b32_e32 v49, 16, v49
	v_add_nc_u16 v176, 0xf800, v176
	s_delay_alu instid0(VALU_DEP_1) | instskip(NEXT) | instid1(VALU_DEP_1)
	v_lshrrev_b16 v176, 8, v176
	v_or_b32_e32 v176, v177, v176
	s_delay_alu instid0(VALU_DEP_4) | instskip(SKIP_1) | instid1(VALU_DEP_3)
	v_lshlrev_b16 v177, 8, v49
	v_and_b32_e32 v49, 0xf00, v49
	v_add_nc_u16 v176, 0xf800, v176
	s_delay_alu instid0(VALU_DEP_3) | instskip(NEXT) | instid1(VALU_DEP_1)
	v_add_nc_u16 v177, 0xf800, v177
	v_lshrrev_b16 v177, 8, v177
	s_delay_alu instid0(VALU_DEP_1) | instskip(NEXT) | instid1(VALU_DEP_4)
	v_or_b32_e32 v49, v49, v177
	v_lshrrev_b32_e32 v177, 8, v176
	v_bfe_i32 v176, v176, 0, 8
	s_delay_alu instid0(VALU_DEP_3) | instskip(NEXT) | instid1(VALU_DEP_3)
	v_add_nc_u16 v49, 0xf800, v49
	v_bfe_i32 v177, v177, 0, 8
	s_delay_alu instid0(VALU_DEP_3) | instskip(NEXT) | instid1(VALU_DEP_2)
	v_cvt_f16_i16_e64 v176, v176
	v_cvt_f16_i16_e64 v177, v177
	s_delay_alu instid0(VALU_DEP_1) | instskip(SKIP_2) | instid1(VALU_DEP_3)
	v_pack_b32_f16 v176, v176, v177
	v_lshrrev_b32_e32 v177, 8, v49
	v_bfe_i32 v49, v49, 0, 8
	v_pk_mul_f16 v184, v176, v44
	s_delay_alu instid0(VALU_DEP_3) | instskip(NEXT) | instid1(VALU_DEP_3)
	v_bfe_i32 v177, v177, 0, 8
	v_cvt_f16_i16_e32 v49, v49
	s_delay_alu instid0(VALU_DEP_2) | instskip(NEXT) | instid1(VALU_DEP_1)
	v_cvt_f16_i16_e64 v177, v177
	v_pack_b32_f16 v49, v49, v177
	s_delay_alu instid0(VALU_DEP_1) | instskip(SKIP_1) | instid1(VALU_DEP_1)
	v_pk_mul_f16 v44, v49, v44
	v_and_b32_e32 v49, 0xffff, v50
	v_mul_u32_u24_e32 v49, 0x10001, v49
	s_delay_alu instid0(VALU_DEP_1)
	v_pk_fma_f16 v176, v48, v49, v32
	v_and_b32_e32 v32, 0xffff, v46
	v_pk_fma_f16 v179, v44, v49, v35
	v_pk_fma_f16 v177, v45, v49, v33
	;; [unrolled: 1-line block ×3, first 2 shown]
	v_lshrrev_b32_e32 v46, 16, v46
	v_mul_u32_u24_e32 v35, 0x10001, v32
	s_delay_alu instid0(VALU_DEP_2) | instskip(NEXT) | instid1(VALU_DEP_2)
	v_mul_u32_u24_e32 v46, 0x10001, v46
	v_pk_fma_f16 v32, v48, v35, v180
	v_pk_fma_f16 v33, v45, v35, v181
	;; [unrolled: 1-line block ×4, first 2 shown]
	v_add_co_u32 v44, vcc_lo, v97, s8
	s_wait_alu 0xfffd
	v_add_co_ci_u32_e64 v45, null, 0, v210, vcc_lo
	ds_store_b128 v127, v[176:179]
	ds_store_b128 v127, v[32:35] offset:16
	global_load_b32 v48, v[44:45], off
	v_add_co_u32 v44, vcc_lo, v98, s8
	s_wait_alu 0xfffd
	v_add_co_ci_u32_e64 v45, null, 0, v99, vcc_lo
	v_dual_mov_b32 v98, v139 :: v_dual_mov_b32 v99, v209
	global_load_u16 v49, v[44:45], off
	v_add_co_u32 v44, vcc_lo, v117, s8
	s_wait_alu 0xfffd
	v_add_co_ci_u32_e64 v45, null, 0, v103, vcc_lo
	v_mov_b32_e32 v103, v7
	global_load_b32 v180, v[44:45], off
	v_add_co_u32 v44, vcc_lo, v95, s8
	s_wait_alu 0xfffd
	v_add_co_ci_u32_e64 v45, null, 0, v96, vcc_lo
	global_load_u16 v44, v[44:45], off
	s_wait_loadcnt 0x3
	v_ashrrev_i32_e32 v45, v175, v48
	s_delay_alu instid0(VALU_DEP_1) | instskip(SKIP_2) | instid1(VALU_DEP_2)
	v_and_b32_e32 v45, 0xf0f0f0f, v45
	s_wait_loadcnt 0x2
	v_mul_u32_u24_e32 v49, 0x10001, v49
	v_lshlrev_b16 v48, 8, v45
	v_and_b32_e32 v181, 0xf00, v45
	v_lshrrev_b32_e32 v45, 16, v45
	s_delay_alu instid0(VALU_DEP_3) | instskip(NEXT) | instid1(VALU_DEP_1)
	v_add_nc_u16 v48, 0xf800, v48
	v_lshrrev_b16 v48, 8, v48
	s_wait_loadcnt 0x0
	v_mul_u32_u24_e32 v44, 0x10001, v44
	s_delay_alu instid0(VALU_DEP_2) | instskip(SKIP_2) | instid1(VALU_DEP_3)
	v_or_b32_e32 v48, v181, v48
	v_lshlrev_b16 v181, 8, v45
	v_and_b32_e32 v45, 0xf00, v45
	v_add_nc_u16 v48, 0xf800, v48
	s_delay_alu instid0(VALU_DEP_3) | instskip(NEXT) | instid1(VALU_DEP_1)
	v_add_nc_u16 v181, 0xf800, v181
	v_lshrrev_b16 v181, 8, v181
	s_delay_alu instid0(VALU_DEP_1) | instskip(NEXT) | instid1(VALU_DEP_4)
	v_or_b32_e32 v45, v45, v181
	v_lshrrev_b32_e32 v181, 8, v48
	v_bfe_i32 v48, v48, 0, 8
	s_delay_alu instid0(VALU_DEP_3) | instskip(NEXT) | instid1(VALU_DEP_3)
	v_add_nc_u16 v45, 0xf800, v45
	v_bfe_i32 v181, v181, 0, 8
	s_delay_alu instid0(VALU_DEP_3) | instskip(NEXT) | instid1(VALU_DEP_2)
	v_cvt_f16_i16_e32 v48, v48
	v_cvt_f16_i16_e64 v181, v181
	s_delay_alu instid0(VALU_DEP_1) | instskip(SKIP_2) | instid1(VALU_DEP_3)
	v_pack_b32_f16 v48, v48, v181
	v_lshrrev_b32_e32 v181, 8, v45
	v_bfe_i32 v45, v45, 0, 8
	v_pk_mul_f16 v48, v48, v49
	s_delay_alu instid0(VALU_DEP_3) | instskip(NEXT) | instid1(VALU_DEP_3)
	v_bfe_i32 v181, v181, 0, 8
	v_cvt_f16_i16_e32 v45, v45
	s_delay_alu instid0(VALU_DEP_2) | instskip(NEXT) | instid1(VALU_DEP_1)
	v_cvt_f16_i16_e64 v181, v181
	v_pack_b32_f16 v45, v45, v181
	s_delay_alu instid0(VALU_DEP_1) | instskip(SKIP_1) | instid1(VALU_DEP_1)
	v_pk_mul_f16 v45, v45, v49
	v_ashrrev_i32_e32 v49, v175, v180
	v_and_b32_e32 v49, 0xf0f0f0f, v49
	s_delay_alu instid0(VALU_DEP_1) | instskip(SKIP_2) | instid1(VALU_DEP_3)
	v_lshlrev_b16 v180, 8, v49
	v_and_b32_e32 v181, 0xf00, v49
	v_lshrrev_b32_e32 v49, 16, v49
	v_add_nc_u16 v180, 0xf800, v180
	s_delay_alu instid0(VALU_DEP_1) | instskip(NEXT) | instid1(VALU_DEP_1)
	v_lshrrev_b16 v180, 8, v180
	v_or_b32_e32 v180, v181, v180
	s_delay_alu instid0(VALU_DEP_4) | instskip(SKIP_1) | instid1(VALU_DEP_3)
	v_lshlrev_b16 v181, 8, v49
	v_and_b32_e32 v49, 0xf00, v49
	v_add_nc_u16 v180, 0xf800, v180
	s_delay_alu instid0(VALU_DEP_3) | instskip(NEXT) | instid1(VALU_DEP_1)
	v_add_nc_u16 v181, 0xf800, v181
	v_lshrrev_b16 v181, 8, v181
	s_delay_alu instid0(VALU_DEP_1) | instskip(NEXT) | instid1(VALU_DEP_4)
	v_or_b32_e32 v49, v49, v181
	v_lshrrev_b32_e32 v181, 8, v180
	v_bfe_i32 v180, v180, 0, 8
	s_delay_alu instid0(VALU_DEP_3) | instskip(NEXT) | instid1(VALU_DEP_3)
	v_add_nc_u16 v49, 0xf800, v49
	v_bfe_i32 v181, v181, 0, 8
	s_delay_alu instid0(VALU_DEP_3) | instskip(NEXT) | instid1(VALU_DEP_2)
	v_cvt_f16_i16_e64 v180, v180
	v_cvt_f16_i16_e64 v181, v181
	s_delay_alu instid0(VALU_DEP_1) | instskip(SKIP_2) | instid1(VALU_DEP_3)
	v_pack_b32_f16 v180, v180, v181
	v_lshrrev_b32_e32 v181, 8, v49
	v_bfe_i32 v49, v49, 0, 8
	v_pk_mul_f16 v184, v180, v44
	s_delay_alu instid0(VALU_DEP_3) | instskip(NEXT) | instid1(VALU_DEP_3)
	v_bfe_i32 v181, v181, 0, 8
	v_cvt_f16_i16_e32 v49, v49
	s_delay_alu instid0(VALU_DEP_2) | instskip(NEXT) | instid1(VALU_DEP_1)
	v_cvt_f16_i16_e64 v181, v181
	v_pack_b32_f16 v49, v49, v181
	s_delay_alu instid0(VALU_DEP_1) | instskip(SKIP_1) | instid1(VALU_DEP_1)
	v_pk_mul_f16 v44, v49, v44
	v_lshrrev_b32_e32 v49, 16, v50
	v_mul_u32_u24_e32 v49, 0x10001, v49
	s_delay_alu instid0(VALU_DEP_1)
	v_pk_fma_f16 v180, v48, v49, v176
	v_pk_fma_f16 v176, v48, v46, v32
	v_add_co_u32 v32, vcc_lo, v142, s8
	v_pk_fma_f16 v181, v45, v49, v177
	v_pk_fma_f16 v177, v45, v46, v33
	s_wait_alu 0xfffd
	v_add_co_ci_u32_e64 v33, null, 0, v216, vcc_lo
	v_pk_fma_f16 v182, v184, v49, v178
	v_pk_fma_f16 v178, v184, v46, v34
	;; [unrolled: 1-line block ×3, first 2 shown]
	global_load_b32 v34, v[32:33], off
	v_add_co_u32 v32, vcc_lo, v156, s8
	s_wait_alu 0xfffd
	v_add_co_ci_u32_e64 v33, null, 0, v1, vcc_lo
	v_pk_fma_f16 v179, v44, v46, v35
	v_and_b32_e32 v49, 0xffff, v47
	ds_store_b128 v127, v[180:183]
	global_load_u16 v35, v[32:33], off
	v_add_co_u32 v32, vcc_lo, v64, s8
	s_wait_alu 0xfffd
	v_add_co_ci_u32_e64 v33, null, 0, v66, vcc_lo
	v_mul_u32_u24_e32 v49, 0x10001, v49
	ds_store_b128 v127, v[176:179] offset:16
	global_load_b32 v44, v[32:33], off
	v_add_co_u32 v32, vcc_lo, v68, s8
	s_wait_alu 0xfffd
	v_add_co_ci_u32_e64 v33, null, 0, v70, vcc_lo
	global_load_u16 v32, v[32:33], off
	s_wait_loadcnt 0x3
	v_ashrrev_i32_e32 v33, v175, v34
	s_delay_alu instid0(VALU_DEP_1) | instskip(SKIP_2) | instid1(VALU_DEP_2)
	v_and_b32_e32 v33, 0xf0f0f0f, v33
	s_wait_loadcnt 0x2
	v_mul_u32_u24_e32 v35, 0x10001, v35
	v_lshlrev_b16 v34, 8, v33
	v_and_b32_e32 v45, 0xf00, v33
	v_lshrrev_b32_e32 v33, 16, v33
	s_delay_alu instid0(VALU_DEP_3) | instskip(NEXT) | instid1(VALU_DEP_1)
	v_add_nc_u16 v34, 0xf800, v34
	v_lshrrev_b16 v34, 8, v34
	s_wait_loadcnt 0x0
	v_mul_u32_u24_e32 v32, 0x10001, v32
	s_delay_alu instid0(VALU_DEP_2) | instskip(SKIP_2) | instid1(VALU_DEP_3)
	v_or_b32_e32 v34, v45, v34
	v_lshlrev_b16 v45, 8, v33
	v_and_b32_e32 v33, 0xf00, v33
	v_add_nc_u16 v34, 0xf800, v34
	s_delay_alu instid0(VALU_DEP_3) | instskip(NEXT) | instid1(VALU_DEP_1)
	v_add_nc_u16 v45, 0xf800, v45
	v_lshrrev_b16 v45, 8, v45
	s_delay_alu instid0(VALU_DEP_1) | instskip(NEXT) | instid1(VALU_DEP_4)
	v_or_b32_e32 v33, v33, v45
	v_lshrrev_b32_e32 v45, 8, v34
	v_bfe_i32 v34, v34, 0, 8
	s_delay_alu instid0(VALU_DEP_3) | instskip(NEXT) | instid1(VALU_DEP_3)
	v_add_nc_u16 v33, 0xf800, v33
	v_bfe_i32 v45, v45, 0, 8
	s_delay_alu instid0(VALU_DEP_3) | instskip(NEXT) | instid1(VALU_DEP_2)
	v_cvt_f16_i16_e32 v34, v34
	v_cvt_f16_i16_e32 v45, v45
	s_delay_alu instid0(VALU_DEP_1) | instskip(SKIP_2) | instid1(VALU_DEP_2)
	v_pack_b32_f16 v34, v34, v45
	v_lshrrev_b32_e32 v45, 8, v33
	v_bfe_i32 v33, v33, 0, 8
	v_bfe_i32 v45, v45, 0, 8
	s_delay_alu instid0(VALU_DEP_2) | instskip(NEXT) | instid1(VALU_DEP_2)
	v_cvt_f16_i16_e32 v33, v33
	v_cvt_f16_i16_e32 v45, v45
	s_delay_alu instid0(VALU_DEP_1) | instskip(SKIP_1) | instid1(VALU_DEP_2)
	v_pack_b32_f16 v33, v33, v45
	v_pk_mul_f16 v45, v34, v35
	v_pk_mul_f16 v46, v33, v35
	v_ashrrev_i32_e32 v33, v175, v44
	s_delay_alu instid0(VALU_DEP_1) | instskip(NEXT) | instid1(VALU_DEP_1)
	v_and_b32_e32 v33, 0xf0f0f0f, v33
	v_lshlrev_b16 v34, 8, v33
	v_and_b32_e32 v35, 0xf00, v33
	v_lshrrev_b32_e32 v33, 16, v33
	s_delay_alu instid0(VALU_DEP_3) | instskip(NEXT) | instid1(VALU_DEP_1)
	v_add_nc_u16 v34, 0xf800, v34
	v_lshrrev_b16 v34, 8, v34
	s_delay_alu instid0(VALU_DEP_1) | instskip(NEXT) | instid1(VALU_DEP_4)
	v_or_b32_e32 v34, v35, v34
	v_lshlrev_b16 v35, 8, v33
	v_and_b32_e32 v33, 0xf00, v33
	s_delay_alu instid0(VALU_DEP_3) | instskip(NEXT) | instid1(VALU_DEP_3)
	v_add_nc_u16 v34, 0xf800, v34
	v_add_nc_u16 v35, 0xf800, v35
	s_delay_alu instid0(VALU_DEP_1) | instskip(NEXT) | instid1(VALU_DEP_1)
	v_lshrrev_b16 v35, 8, v35
	v_or_b32_e32 v33, v33, v35
	s_delay_alu instid0(VALU_DEP_4) | instskip(SKIP_1) | instid1(VALU_DEP_3)
	v_lshrrev_b32_e32 v35, 8, v34
	v_bfe_i32 v34, v34, 0, 8
	v_add_nc_u16 v33, 0xf800, v33
	s_delay_alu instid0(VALU_DEP_3) | instskip(NEXT) | instid1(VALU_DEP_3)
	v_bfe_i32 v35, v35, 0, 8
	v_cvt_f16_i16_e32 v34, v34
	s_delay_alu instid0(VALU_DEP_2) | instskip(NEXT) | instid1(VALU_DEP_1)
	v_cvt_f16_i16_e32 v35, v35
	v_pack_b32_f16 v34, v34, v35
	v_lshrrev_b32_e32 v35, 8, v33
	v_bfe_i32 v33, v33, 0, 8
	s_delay_alu instid0(VALU_DEP_3) | instskip(NEXT) | instid1(VALU_DEP_3)
	v_pk_mul_f16 v44, v34, v32
	v_bfe_i32 v35, v35, 0, 8
	s_delay_alu instid0(VALU_DEP_3) | instskip(NEXT) | instid1(VALU_DEP_2)
	v_cvt_f16_i16_e32 v33, v33
	v_cvt_f16_i16_e32 v35, v35
	s_delay_alu instid0(VALU_DEP_1) | instskip(NEXT) | instid1(VALU_DEP_1)
	v_pack_b32_f16 v33, v33, v35
	v_pk_mul_f16 v48, v33, v32
	v_and_b32_e32 v32, 0xffff, v51
	s_delay_alu instid0(VALU_DEP_1) | instskip(NEXT) | instid1(VALU_DEP_1)
	v_mul_u32_u24_e32 v35, 0x10001, v32
	v_pk_fma_f16 v34, v44, v35, v182
	v_pk_fma_f16 v182, v44, v49, v178
	v_add_co_u32 v44, vcc_lo, v81, s8
	v_pk_fma_f16 v32, v45, v35, v180
	v_pk_fma_f16 v180, v45, v49, v176
	s_wait_alu 0xfffd
	v_add_co_ci_u32_e64 v45, null, 0, v83, vcc_lo
	v_pk_fma_f16 v33, v46, v35, v181
	v_pk_fma_f16 v35, v48, v35, v183
	;; [unrolled: 1-line block ×3, first 2 shown]
	global_load_b32 v48, v[44:45], off
	v_add_co_u32 v44, vcc_lo, v236, s8
	s_wait_alu 0xfffd
	v_add_co_ci_u32_e64 v45, null, 0, v239, vcc_lo
	v_pk_fma_f16 v181, v46, v49, v177
	v_lshrrev_b32_e32 v46, 16, v51
	ds_store_b128 v127, v[32:35]
	global_load_u16 v49, v[44:45], off
	v_add_co_u32 v44, vcc_lo, v71, s8
	s_wait_alu 0xfffd
	v_add_co_ci_u32_e64 v45, null, 0, v73, vcc_lo
	v_mul_u32_u24_e32 v46, 0x10001, v46
	ds_store_b128 v127, v[180:183] offset:16
	global_load_b32 v50, v[44:45], off
	v_add_co_u32 v44, vcc_lo, v75, s8
	s_wait_alu 0xfffd
	v_add_co_ci_u32_e64 v45, null, 0, v79, vcc_lo
	global_load_u16 v44, v[44:45], off
	s_wait_loadcnt 0x3
	v_ashrrev_i32_e32 v45, v175, v48
	s_delay_alu instid0(VALU_DEP_1) | instskip(SKIP_2) | instid1(VALU_DEP_2)
	v_and_b32_e32 v45, 0xf0f0f0f, v45
	s_wait_loadcnt 0x2
	v_mul_u32_u24_e32 v49, 0x10001, v49
	v_lshlrev_b16 v48, 8, v45
	v_and_b32_e32 v51, 0xf00, v45
	v_lshrrev_b32_e32 v45, 16, v45
	s_delay_alu instid0(VALU_DEP_3) | instskip(NEXT) | instid1(VALU_DEP_1)
	v_add_nc_u16 v48, 0xf800, v48
	v_lshrrev_b16 v48, 8, v48
	s_wait_loadcnt 0x0
	v_mul_u32_u24_e32 v44, 0x10001, v44
	s_delay_alu instid0(VALU_DEP_2) | instskip(SKIP_2) | instid1(VALU_DEP_3)
	v_or_b32_e32 v48, v51, v48
	v_lshlrev_b16 v51, 8, v45
	v_and_b32_e32 v45, 0xf00, v45
	v_add_nc_u16 v48, 0xf800, v48
	s_delay_alu instid0(VALU_DEP_3) | instskip(NEXT) | instid1(VALU_DEP_1)
	v_add_nc_u16 v51, 0xf800, v51
	v_lshrrev_b16 v51, 8, v51
	s_delay_alu instid0(VALU_DEP_1) | instskip(NEXT) | instid1(VALU_DEP_4)
	v_or_b32_e32 v45, v45, v51
	v_lshrrev_b32_e32 v51, 8, v48
	v_bfe_i32 v48, v48, 0, 8
	s_delay_alu instid0(VALU_DEP_3) | instskip(NEXT) | instid1(VALU_DEP_3)
	v_add_nc_u16 v45, 0xf800, v45
	v_bfe_i32 v51, v51, 0, 8
	s_delay_alu instid0(VALU_DEP_3) | instskip(NEXT) | instid1(VALU_DEP_2)
	v_cvt_f16_i16_e32 v48, v48
	v_cvt_f16_i16_e32 v51, v51
	s_delay_alu instid0(VALU_DEP_1) | instskip(SKIP_2) | instid1(VALU_DEP_3)
	v_pack_b32_f16 v48, v48, v51
	v_lshrrev_b32_e32 v51, 8, v45
	v_bfe_i32 v45, v45, 0, 8
	v_pk_mul_f16 v176, v48, v49
	s_delay_alu instid0(VALU_DEP_3) | instskip(NEXT) | instid1(VALU_DEP_3)
	v_bfe_i32 v51, v51, 0, 8
	v_cvt_f16_i16_e32 v45, v45
	v_ashrrev_i32_e32 v48, v175, v50
	s_delay_alu instid0(VALU_DEP_3) | instskip(NEXT) | instid1(VALU_DEP_2)
	v_cvt_f16_i16_e32 v51, v51
	v_and_b32_e32 v48, 0xf0f0f0f, v48
	s_delay_alu instid0(VALU_DEP_2) | instskip(NEXT) | instid1(VALU_DEP_2)
	v_pack_b32_f16 v45, v45, v51
	v_and_b32_e32 v50, 0xf00, v48
	s_delay_alu instid0(VALU_DEP_2) | instskip(SKIP_2) | instid1(VALU_DEP_2)
	v_pk_mul_f16 v45, v45, v49
	v_lshlrev_b16 v49, 8, v48
	v_lshrrev_b32_e32 v48, 16, v48
	v_add_nc_u16 v49, 0xf800, v49
	s_delay_alu instid0(VALU_DEP_1) | instskip(NEXT) | instid1(VALU_DEP_1)
	v_lshrrev_b16 v49, 8, v49
	v_or_b32_e32 v49, v50, v49
	s_delay_alu instid0(VALU_DEP_4) | instskip(SKIP_1) | instid1(VALU_DEP_3)
	v_lshlrev_b16 v50, 8, v48
	v_and_b32_e32 v48, 0xf00, v48
	v_add_nc_u16 v49, 0xf800, v49
	s_delay_alu instid0(VALU_DEP_3) | instskip(NEXT) | instid1(VALU_DEP_1)
	v_add_nc_u16 v50, 0xf800, v50
	v_lshrrev_b16 v50, 8, v50
	s_delay_alu instid0(VALU_DEP_1) | instskip(NEXT) | instid1(VALU_DEP_4)
	v_or_b32_e32 v48, v48, v50
	v_lshrrev_b32_e32 v50, 8, v49
	v_bfe_i32 v49, v49, 0, 8
	s_delay_alu instid0(VALU_DEP_3) | instskip(NEXT) | instid1(VALU_DEP_3)
	v_add_nc_u16 v48, 0xf800, v48
	v_bfe_i32 v50, v50, 0, 8
	s_delay_alu instid0(VALU_DEP_3) | instskip(NEXT) | instid1(VALU_DEP_2)
	v_cvt_f16_i16_e32 v49, v49
	v_cvt_f16_i16_e32 v50, v50
	s_delay_alu instid0(VALU_DEP_1) | instskip(SKIP_2) | instid1(VALU_DEP_3)
	v_pack_b32_f16 v49, v49, v50
	v_lshrrev_b32_e32 v50, 8, v48
	v_bfe_i32 v48, v48, 0, 8
	v_pk_mul_f16 v177, v49, v44
	s_delay_alu instid0(VALU_DEP_3) | instskip(NEXT) | instid1(VALU_DEP_3)
	v_bfe_i32 v50, v50, 0, 8
	v_cvt_f16_i16_e32 v48, v48
	v_pk_fma_f16 v49, v45, v46, v33
	s_delay_alu instid0(VALU_DEP_3) | instskip(NEXT) | instid1(VALU_DEP_1)
	v_cvt_f16_i16_e32 v50, v50
	v_pack_b32_f16 v48, v48, v50
	v_pk_fma_f16 v50, v177, v46, v34
	s_delay_alu instid0(VALU_DEP_2) | instskip(SKIP_2) | instid1(VALU_DEP_3)
	v_pk_mul_f16 v44, v48, v44
	v_pk_fma_f16 v48, v176, v46, v32
	v_lshrrev_b32_e32 v32, 16, v47
	v_pk_fma_f16 v51, v44, v46, v35
	s_delay_alu instid0(VALU_DEP_2) | instskip(NEXT) | instid1(VALU_DEP_1)
	v_mul_u32_u24_e32 v35, 0x10001, v32
	v_pk_fma_f16 v32, v176, v35, v180
	v_pk_fma_f16 v33, v45, v35, v181
	;; [unrolled: 1-line block ×4, first 2 shown]
	v_add_co_u32 v44, vcc_lo, v219, s8
	s_wait_alu 0xfffd
	v_add_co_ci_u32_e64 v45, null, 0, v209, vcc_lo
	ds_store_b128 v127, v[48:51]
	ds_store_b128 v127, v[32:35] offset:16
	global_load_b32 v46, v[44:45], off
	v_add_co_u32 v44, vcc_lo, v88, s8
	s_wait_alu 0xfffd
	v_add_co_ci_u32_e64 v45, null, 0, v69, vcc_lo
	v_mov_b32_e32 v88, v210
	global_load_u16 v47, v[44:45], off
	v_add_co_u32 v44, vcc_lo, v203, s8
	s_wait_alu 0xfffd
	v_add_co_ci_u32_e64 v45, null, 0, v109, vcc_lo
	global_load_b32 v176, v[44:45], off
	v_add_co_u32 v44, vcc_lo, v102, s8
	s_wait_alu 0xfffd
	v_add_co_ci_u32_e64 v45, null, 0, v7, vcc_lo
	v_mov_b32_e32 v7, v85
	global_load_u16 v44, v[44:45], off
	s_wait_loadcnt 0x3
	v_ashrrev_i32_e32 v45, v175, v46
	s_delay_alu instid0(VALU_DEP_1) | instskip(SKIP_2) | instid1(VALU_DEP_2)
	v_and_b32_e32 v45, 0xf0f0f0f, v45
	s_wait_loadcnt 0x2
	v_mul_u32_u24_e32 v47, 0x10001, v47
	v_lshlrev_b16 v46, 8, v45
	v_and_b32_e32 v177, 0xf00, v45
	v_lshrrev_b32_e32 v45, 16, v45
	s_delay_alu instid0(VALU_DEP_3) | instskip(NEXT) | instid1(VALU_DEP_1)
	v_add_nc_u16 v46, 0xf800, v46
	v_lshrrev_b16 v46, 8, v46
	s_wait_loadcnt 0x0
	v_mul_u32_u24_e32 v44, 0x10001, v44
	s_delay_alu instid0(VALU_DEP_2) | instskip(SKIP_2) | instid1(VALU_DEP_3)
	v_or_b32_e32 v46, v177, v46
	v_lshlrev_b16 v177, 8, v45
	v_and_b32_e32 v45, 0xf00, v45
	v_add_nc_u16 v46, 0xf800, v46
	s_delay_alu instid0(VALU_DEP_3) | instskip(NEXT) | instid1(VALU_DEP_1)
	v_add_nc_u16 v177, 0xf800, v177
	v_lshrrev_b16 v177, 8, v177
	s_delay_alu instid0(VALU_DEP_1) | instskip(NEXT) | instid1(VALU_DEP_4)
	v_or_b32_e32 v45, v45, v177
	v_lshrrev_b32_e32 v177, 8, v46
	v_bfe_i32 v46, v46, 0, 8
	s_delay_alu instid0(VALU_DEP_3) | instskip(NEXT) | instid1(VALU_DEP_3)
	v_add_nc_u16 v45, 0xf800, v45
	v_bfe_i32 v177, v177, 0, 8
	s_delay_alu instid0(VALU_DEP_3) | instskip(NEXT) | instid1(VALU_DEP_2)
	v_cvt_f16_i16_e32 v46, v46
	v_cvt_f16_i16_e64 v177, v177
	s_delay_alu instid0(VALU_DEP_1) | instskip(SKIP_2) | instid1(VALU_DEP_2)
	v_pack_b32_f16 v46, v46, v177
	v_lshrrev_b32_e32 v177, 8, v45
	v_bfe_i32 v45, v45, 0, 8
	v_bfe_i32 v177, v177, 0, 8
	s_delay_alu instid0(VALU_DEP_2) | instskip(NEXT) | instid1(VALU_DEP_2)
	v_cvt_f16_i16_e32 v45, v45
	v_cvt_f16_i16_e64 v177, v177
	s_delay_alu instid0(VALU_DEP_1) | instskip(SKIP_1) | instid1(VALU_DEP_2)
	v_pack_b32_f16 v45, v45, v177
	v_pk_mul_f16 v177, v46, v47
	v_pk_mul_f16 v178, v45, v47
	v_ashrrev_i32_e32 v45, v175, v176
	s_delay_alu instid0(VALU_DEP_1) | instskip(NEXT) | instid1(VALU_DEP_1)
	v_and_b32_e32 v45, 0xf0f0f0f, v45
	v_lshlrev_b16 v46, 8, v45
	v_and_b32_e32 v47, 0xf00, v45
	v_lshrrev_b32_e32 v45, 16, v45
	s_delay_alu instid0(VALU_DEP_3) | instskip(NEXT) | instid1(VALU_DEP_1)
	v_add_nc_u16 v46, 0xf800, v46
	v_lshrrev_b16 v46, 8, v46
	s_delay_alu instid0(VALU_DEP_1) | instskip(NEXT) | instid1(VALU_DEP_4)
	v_or_b32_e32 v46, v47, v46
	v_lshlrev_b16 v47, 8, v45
	v_and_b32_e32 v45, 0xf00, v45
	s_delay_alu instid0(VALU_DEP_3) | instskip(NEXT) | instid1(VALU_DEP_3)
	v_add_nc_u16 v46, 0xf800, v46
	v_add_nc_u16 v47, 0xf800, v47
	s_delay_alu instid0(VALU_DEP_1) | instskip(NEXT) | instid1(VALU_DEP_1)
	v_lshrrev_b16 v47, 8, v47
	v_or_b32_e32 v45, v45, v47
	s_delay_alu instid0(VALU_DEP_4) | instskip(SKIP_1) | instid1(VALU_DEP_3)
	v_lshrrev_b32_e32 v47, 8, v46
	v_bfe_i32 v46, v46, 0, 8
	v_add_nc_u16 v45, 0xf800, v45
	s_delay_alu instid0(VALU_DEP_3) | instskip(NEXT) | instid1(VALU_DEP_3)
	v_bfe_i32 v47, v47, 0, 8
	v_cvt_f16_i16_e32 v46, v46
	s_delay_alu instid0(VALU_DEP_2) | instskip(NEXT) | instid1(VALU_DEP_1)
	v_cvt_f16_i16_e32 v47, v47
	v_pack_b32_f16 v46, v46, v47
	v_lshrrev_b32_e32 v47, 8, v45
	v_bfe_i32 v45, v45, 0, 8
	s_delay_alu instid0(VALU_DEP_3) | instskip(NEXT) | instid1(VALU_DEP_3)
	v_pk_mul_f16 v176, v46, v44
	v_bfe_i32 v47, v47, 0, 8
	s_delay_alu instid0(VALU_DEP_3) | instskip(NEXT) | instid1(VALU_DEP_2)
	v_cvt_f16_i16_e32 v45, v45
	v_cvt_f16_i16_e32 v47, v47
	s_delay_alu instid0(VALU_DEP_1) | instskip(NEXT) | instid1(VALU_DEP_1)
	v_pack_b32_f16 v45, v45, v47
	v_pk_mul_f16 v179, v45, v44
	v_and_b32_e32 v44, 0xffff, v40
	s_delay_alu instid0(VALU_DEP_1) | instskip(NEXT) | instid1(VALU_DEP_1)
	v_mul_u32_u24_e32 v47, 0x10001, v44
	v_pk_fma_f16 v44, v177, v47, v48
	v_and_b32_e32 v48, 0xffff, v36
	v_pk_fma_f16 v45, v178, v47, v49
	v_pk_fma_f16 v46, v176, v47, v50
	;; [unrolled: 1-line block ×3, first 2 shown]
	v_lshrrev_b32_e32 v36, 16, v36
	v_mul_u32_u24_e32 v51, 0x10001, v48
	s_delay_alu instid0(VALU_DEP_2) | instskip(NEXT) | instid1(VALU_DEP_2)
	v_mul_u32_u24_e32 v36, 0x10001, v36
	v_pk_fma_f16 v48, v177, v51, v32
	v_add_co_u32 v32, vcc_lo, v90, s8
	v_pk_fma_f16 v49, v178, v51, v33
	s_wait_alu 0xfffd
	v_add_co_ci_u32_e64 v33, null, 0, v235, vcc_lo
	v_pk_fma_f16 v50, v176, v51, v34
	v_pk_fma_f16 v51, v179, v51, v35
	ds_store_b128 v127, v[44:47]
	global_load_b32 v34, v[32:33], off
	v_add_co_u32 v32, vcc_lo, v238, s8
	s_wait_alu 0xfffd
	v_add_co_ci_u32_e64 v33, null, 0, v221, vcc_lo
	ds_store_b128 v127, v[48:51] offset:16
	global_load_u16 v35, v[32:33], off
	v_add_co_u32 v32, vcc_lo, v6, s8
	s_wait_alu 0xfffd
	v_add_co_ci_u32_e64 v33, null, 0, v2, vcc_lo
	v_mov_b32_e32 v2, v15
	global_load_b32 v176, v[32:33], off
	v_add_co_u32 v32, vcc_lo, v87, s8
	s_wait_alu 0xfffd
	v_add_co_ci_u32_e64 v33, null, 0, v136, vcc_lo
	v_mov_b32_e32 v136, v173
	global_load_u16 v32, v[32:33], off
	s_wait_loadcnt 0x3
	v_ashrrev_i32_e32 v33, v175, v34
	s_delay_alu instid0(VALU_DEP_1) | instskip(SKIP_2) | instid1(VALU_DEP_2)
	v_and_b32_e32 v33, 0xf0f0f0f, v33
	s_wait_loadcnt 0x2
	v_mul_u32_u24_e32 v35, 0x10001, v35
	v_lshlrev_b16 v34, 8, v33
	v_and_b32_e32 v177, 0xf00, v33
	v_lshrrev_b32_e32 v33, 16, v33
	s_delay_alu instid0(VALU_DEP_3) | instskip(NEXT) | instid1(VALU_DEP_1)
	v_add_nc_u16 v34, 0xf800, v34
	v_lshrrev_b16 v34, 8, v34
	s_wait_loadcnt 0x0
	v_mul_u32_u24_e32 v32, 0x10001, v32
	s_delay_alu instid0(VALU_DEP_2) | instskip(SKIP_2) | instid1(VALU_DEP_3)
	v_or_b32_e32 v34, v177, v34
	v_lshlrev_b16 v177, 8, v33
	v_and_b32_e32 v33, 0xf00, v33
	v_add_nc_u16 v34, 0xf800, v34
	s_delay_alu instid0(VALU_DEP_3) | instskip(NEXT) | instid1(VALU_DEP_1)
	v_add_nc_u16 v177, 0xf800, v177
	v_lshrrev_b16 v177, 8, v177
	s_delay_alu instid0(VALU_DEP_1) | instskip(NEXT) | instid1(VALU_DEP_4)
	v_or_b32_e32 v33, v33, v177
	v_lshrrev_b32_e32 v177, 8, v34
	v_bfe_i32 v34, v34, 0, 8
	s_delay_alu instid0(VALU_DEP_3) | instskip(NEXT) | instid1(VALU_DEP_3)
	v_add_nc_u16 v33, 0xf800, v33
	v_bfe_i32 v177, v177, 0, 8
	s_delay_alu instid0(VALU_DEP_3) | instskip(NEXT) | instid1(VALU_DEP_2)
	v_cvt_f16_i16_e32 v34, v34
	v_cvt_f16_i16_e64 v177, v177
	s_delay_alu instid0(VALU_DEP_1) | instskip(SKIP_2) | instid1(VALU_DEP_2)
	v_pack_b32_f16 v34, v34, v177
	v_lshrrev_b32_e32 v177, 8, v33
	v_bfe_i32 v33, v33, 0, 8
	v_bfe_i32 v177, v177, 0, 8
	s_delay_alu instid0(VALU_DEP_2) | instskip(NEXT) | instid1(VALU_DEP_2)
	v_cvt_f16_i16_e32 v33, v33
	v_cvt_f16_i16_e64 v177, v177
	s_delay_alu instid0(VALU_DEP_1) | instskip(SKIP_1) | instid1(VALU_DEP_2)
	v_pack_b32_f16 v33, v33, v177
	v_pk_mul_f16 v177, v34, v35
	v_pk_mul_f16 v178, v33, v35
	v_ashrrev_i32_e32 v33, v175, v176
	s_delay_alu instid0(VALU_DEP_1) | instskip(NEXT) | instid1(VALU_DEP_1)
	v_and_b32_e32 v33, 0xf0f0f0f, v33
	v_lshlrev_b16 v34, 8, v33
	v_and_b32_e32 v35, 0xf00, v33
	v_lshrrev_b32_e32 v33, 16, v33
	s_delay_alu instid0(VALU_DEP_3) | instskip(NEXT) | instid1(VALU_DEP_1)
	v_add_nc_u16 v34, 0xf800, v34
	v_lshrrev_b16 v34, 8, v34
	s_delay_alu instid0(VALU_DEP_1) | instskip(NEXT) | instid1(VALU_DEP_4)
	v_or_b32_e32 v34, v35, v34
	v_lshlrev_b16 v35, 8, v33
	v_and_b32_e32 v33, 0xf00, v33
	s_delay_alu instid0(VALU_DEP_3) | instskip(NEXT) | instid1(VALU_DEP_3)
	v_add_nc_u16 v34, 0xf800, v34
	v_add_nc_u16 v35, 0xf800, v35
	s_delay_alu instid0(VALU_DEP_1) | instskip(NEXT) | instid1(VALU_DEP_1)
	v_lshrrev_b16 v35, 8, v35
	v_or_b32_e32 v33, v33, v35
	s_delay_alu instid0(VALU_DEP_4) | instskip(SKIP_1) | instid1(VALU_DEP_3)
	v_lshrrev_b32_e32 v35, 8, v34
	v_bfe_i32 v34, v34, 0, 8
	v_add_nc_u16 v33, 0xf800, v33
	s_delay_alu instid0(VALU_DEP_3) | instskip(NEXT) | instid1(VALU_DEP_3)
	v_bfe_i32 v35, v35, 0, 8
	v_cvt_f16_i16_e32 v34, v34
	s_delay_alu instid0(VALU_DEP_2) | instskip(NEXT) | instid1(VALU_DEP_1)
	v_cvt_f16_i16_e32 v35, v35
	v_pack_b32_f16 v34, v34, v35
	v_lshrrev_b32_e32 v35, 8, v33
	v_bfe_i32 v33, v33, 0, 8
	s_delay_alu instid0(VALU_DEP_3) | instskip(NEXT) | instid1(VALU_DEP_3)
	v_pk_mul_f16 v176, v34, v32
	v_bfe_i32 v35, v35, 0, 8
	s_delay_alu instid0(VALU_DEP_3) | instskip(NEXT) | instid1(VALU_DEP_2)
	v_cvt_f16_i16_e32 v33, v33
	v_cvt_f16_i16_e32 v35, v35
	s_delay_alu instid0(VALU_DEP_1) | instskip(NEXT) | instid1(VALU_DEP_1)
	v_pack_b32_f16 v33, v33, v35
	v_pk_mul_f16 v179, v33, v32
	v_lshrrev_b32_e32 v32, 16, v40
	s_delay_alu instid0(VALU_DEP_1) | instskip(NEXT) | instid1(VALU_DEP_1)
	v_mul_u32_u24_e32 v35, 0x10001, v32
	v_pk_fma_f16 v32, v177, v35, v44
	v_pk_fma_f16 v44, v177, v36, v48
	v_add_co_u32 v48, vcc_lo, v105, s8
	v_pk_fma_f16 v33, v178, v35, v45
	v_pk_fma_f16 v45, v178, v36, v49
	s_wait_alu 0xfffd
	v_add_co_ci_u32_e64 v49, null, 0, v240, vcc_lo
	v_pk_fma_f16 v34, v176, v35, v46
	v_pk_fma_f16 v35, v179, v35, v47
	;; [unrolled: 1-line block ×4, first 2 shown]
	global_load_b32 v36, v[48:49], off
	v_add_co_u32 v48, vcc_lo, v246, s8
	s_wait_alu 0xfffd
	v_add_co_ci_u32_e64 v49, null, 0, v112, vcc_lo
	ds_store_b128 v127, v[32:35]
	ds_store_b128 v127, v[44:47] offset:16
	v_mov_b32_e32 v240, v14
	global_load_u16 v40, v[48:49], off
	v_add_co_u32 v48, vcc_lo, v191, s8
	s_wait_alu 0xfffd
	v_add_co_ci_u32_e64 v49, null, 0, v207, vcc_lo
	global_load_b32 v50, v[48:49], off
	v_add_co_u32 v48, vcc_lo, v224, s8
	s_wait_alu 0xfffd
	v_add_co_ci_u32_e64 v49, null, 0, v225, vcc_lo
	global_load_u16 v48, v[48:49], off
	s_wait_loadcnt 0x3
	v_ashrrev_i32_e32 v36, v175, v36
	s_delay_alu instid0(VALU_DEP_1) | instskip(SKIP_2) | instid1(VALU_DEP_2)
	v_and_b32_e32 v36, 0xf0f0f0f, v36
	s_wait_loadcnt 0x2
	v_mul_u32_u24_e32 v40, 0x10001, v40
	v_lshlrev_b16 v49, 8, v36
	v_and_b32_e32 v51, 0xf00, v36
	v_lshrrev_b32_e32 v36, 16, v36
	s_delay_alu instid0(VALU_DEP_3) | instskip(NEXT) | instid1(VALU_DEP_1)
	v_add_nc_u16 v49, 0xf800, v49
	v_lshrrev_b16 v49, 8, v49
	s_wait_loadcnt 0x0
	v_mul_u32_u24_e32 v48, 0x10001, v48
	s_delay_alu instid0(VALU_DEP_2) | instskip(SKIP_2) | instid1(VALU_DEP_3)
	v_or_b32_e32 v49, v51, v49
	v_lshlrev_b16 v51, 8, v36
	v_and_b32_e32 v36, 0xf00, v36
	v_add_nc_u16 v49, 0xf800, v49
	s_delay_alu instid0(VALU_DEP_3) | instskip(NEXT) | instid1(VALU_DEP_1)
	v_add_nc_u16 v51, 0xf800, v51
	v_lshrrev_b16 v51, 8, v51
	s_delay_alu instid0(VALU_DEP_1) | instskip(NEXT) | instid1(VALU_DEP_4)
	v_or_b32_e32 v36, v36, v51
	v_lshrrev_b32_e32 v51, 8, v49
	v_bfe_i32 v49, v49, 0, 8
	s_delay_alu instid0(VALU_DEP_3) | instskip(NEXT) | instid1(VALU_DEP_3)
	v_add_nc_u16 v36, 0xf800, v36
	v_bfe_i32 v51, v51, 0, 8
	s_delay_alu instid0(VALU_DEP_3) | instskip(NEXT) | instid1(VALU_DEP_2)
	v_cvt_f16_i16_e32 v49, v49
	v_cvt_f16_i16_e32 v51, v51
	s_delay_alu instid0(VALU_DEP_1) | instskip(SKIP_2) | instid1(VALU_DEP_3)
	v_pack_b32_f16 v49, v49, v51
	v_lshrrev_b32_e32 v51, 8, v36
	v_bfe_i32 v36, v36, 0, 8
	v_pk_mul_f16 v176, v49, v40
	s_delay_alu instid0(VALU_DEP_3) | instskip(NEXT) | instid1(VALU_DEP_3)
	v_bfe_i32 v51, v51, 0, 8
	v_cvt_f16_i16_e32 v36, v36
	s_delay_alu instid0(VALU_DEP_2) | instskip(NEXT) | instid1(VALU_DEP_1)
	v_cvt_f16_i16_e32 v51, v51
	v_pack_b32_f16 v36, v36, v51
	s_delay_alu instid0(VALU_DEP_1) | instskip(SKIP_1) | instid1(VALU_DEP_1)
	v_pk_mul_f16 v36, v36, v40
	v_ashrrev_i32_e32 v40, v175, v50
	v_and_b32_e32 v40, 0xf0f0f0f, v40
	s_delay_alu instid0(VALU_DEP_1) | instskip(SKIP_2) | instid1(VALU_DEP_3)
	v_lshlrev_b16 v49, 8, v40
	v_and_b32_e32 v50, 0xf00, v40
	v_lshrrev_b32_e32 v40, 16, v40
	v_add_nc_u16 v49, 0xf800, v49
	s_delay_alu instid0(VALU_DEP_1) | instskip(NEXT) | instid1(VALU_DEP_1)
	v_lshrrev_b16 v49, 8, v49
	v_or_b32_e32 v49, v50, v49
	s_delay_alu instid0(VALU_DEP_4) | instskip(SKIP_1) | instid1(VALU_DEP_3)
	v_lshlrev_b16 v50, 8, v40
	v_and_b32_e32 v40, 0xf00, v40
	v_add_nc_u16 v49, 0xf800, v49
	s_delay_alu instid0(VALU_DEP_3) | instskip(NEXT) | instid1(VALU_DEP_1)
	v_add_nc_u16 v50, 0xf800, v50
	v_lshrrev_b16 v50, 8, v50
	s_delay_alu instid0(VALU_DEP_1) | instskip(NEXT) | instid1(VALU_DEP_4)
	v_or_b32_e32 v40, v40, v50
	v_lshrrev_b32_e32 v50, 8, v49
	v_bfe_i32 v49, v49, 0, 8
	s_delay_alu instid0(VALU_DEP_3) | instskip(NEXT) | instid1(VALU_DEP_3)
	v_add_nc_u16 v40, 0xf800, v40
	v_bfe_i32 v50, v50, 0, 8
	s_delay_alu instid0(VALU_DEP_3) | instskip(NEXT) | instid1(VALU_DEP_2)
	v_cvt_f16_i16_e32 v49, v49
	v_cvt_f16_i16_e32 v50, v50
	s_delay_alu instid0(VALU_DEP_1) | instskip(SKIP_2) | instid1(VALU_DEP_3)
	v_pack_b32_f16 v49, v49, v50
	v_lshrrev_b32_e32 v50, 8, v40
	v_bfe_i32 v40, v40, 0, 8
	v_pk_mul_f16 v177, v49, v48
	s_delay_alu instid0(VALU_DEP_3) | instskip(NEXT) | instid1(VALU_DEP_3)
	v_bfe_i32 v50, v50, 0, 8
	v_cvt_f16_i16_e32 v40, v40
	s_delay_alu instid0(VALU_DEP_2) | instskip(NEXT) | instid1(VALU_DEP_1)
	v_cvt_f16_i16_e32 v50, v50
	v_pack_b32_f16 v40, v40, v50
	s_delay_alu instid0(VALU_DEP_1) | instskip(SKIP_2) | instid1(VALU_DEP_2)
	v_pk_mul_f16 v40, v40, v48
	v_and_b32_e32 v48, 0xffff, v41
	v_lshrrev_b32_e32 v41, 16, v41
	v_mul_u32_u24_e32 v51, 0x10001, v48
	s_delay_alu instid0(VALU_DEP_2) | instskip(NEXT) | instid1(VALU_DEP_2)
	v_mul_u32_u24_e32 v41, 0x10001, v41
	v_pk_fma_f16 v48, v176, v51, v32
	v_and_b32_e32 v32, 0xffff, v37
	v_pk_fma_f16 v49, v36, v51, v33
	v_pk_fma_f16 v50, v177, v51, v34
	;; [unrolled: 1-line block ×3, first 2 shown]
	v_lshrrev_b32_e32 v37, 16, v37
	v_mul_u32_u24_e32 v35, 0x10001, v32
	s_delay_alu instid0(VALU_DEP_2) | instskip(NEXT) | instid1(VALU_DEP_2)
	v_mul_u32_u24_e32 v37, 0x10001, v37
	v_pk_fma_f16 v32, v176, v35, v44
	v_add_co_u32 v44, vcc_lo, v202, s8
	v_pk_fma_f16 v33, v36, v35, v45
	s_wait_alu 0xfffd
	v_add_co_ci_u32_e64 v45, null, 0, v23, vcc_lo
	v_pk_fma_f16 v34, v177, v35, v46
	v_pk_fma_f16 v35, v40, v35, v47
	ds_store_b128 v127, v[48:51]
	global_load_b32 v36, v[44:45], off
	v_add_co_u32 v44, vcc_lo, v24, s8
	s_wait_alu 0xfffd
	v_add_co_ci_u32_e64 v45, null, 0, v139, vcc_lo
	ds_store_b128 v127, v[32:35] offset:16
	global_load_u16 v40, v[44:45], off
	v_add_co_u32 v44, vcc_lo, v198, s8
	s_wait_alu 0xfffd
	v_add_co_ci_u32_e64 v45, null, 0, v199, vcc_lo
	global_load_b32 v46, v[44:45], off
	v_add_co_u32 v44, vcc_lo, v200, s8
	s_wait_alu 0xfffd
	v_add_co_ci_u32_e64 v45, null, 0, v201, vcc_lo
	global_load_u16 v44, v[44:45], off
	s_wait_loadcnt 0x3
	v_ashrrev_i32_e32 v36, v175, v36
	s_delay_alu instid0(VALU_DEP_1) | instskip(SKIP_2) | instid1(VALU_DEP_2)
	v_and_b32_e32 v36, 0xf0f0f0f, v36
	s_wait_loadcnt 0x2
	v_mul_u32_u24_e32 v40, 0x10001, v40
	v_lshlrev_b16 v45, 8, v36
	v_and_b32_e32 v47, 0xf00, v36
	v_lshrrev_b32_e32 v36, 16, v36
	s_delay_alu instid0(VALU_DEP_3) | instskip(NEXT) | instid1(VALU_DEP_1)
	v_add_nc_u16 v45, 0xf800, v45
	v_lshrrev_b16 v45, 8, v45
	s_wait_loadcnt 0x0
	v_mul_u32_u24_e32 v44, 0x10001, v44
	s_delay_alu instid0(VALU_DEP_2) | instskip(SKIP_2) | instid1(VALU_DEP_3)
	v_or_b32_e32 v45, v47, v45
	v_lshlrev_b16 v47, 8, v36
	v_and_b32_e32 v36, 0xf00, v36
	v_add_nc_u16 v45, 0xf800, v45
	s_delay_alu instid0(VALU_DEP_3) | instskip(NEXT) | instid1(VALU_DEP_1)
	v_add_nc_u16 v47, 0xf800, v47
	v_lshrrev_b16 v47, 8, v47
	s_delay_alu instid0(VALU_DEP_1) | instskip(NEXT) | instid1(VALU_DEP_4)
	v_or_b32_e32 v36, v36, v47
	v_lshrrev_b32_e32 v47, 8, v45
	v_bfe_i32 v45, v45, 0, 8
	s_delay_alu instid0(VALU_DEP_3) | instskip(NEXT) | instid1(VALU_DEP_3)
	v_add_nc_u16 v36, 0xf800, v36
	v_bfe_i32 v47, v47, 0, 8
	s_delay_alu instid0(VALU_DEP_3) | instskip(NEXT) | instid1(VALU_DEP_2)
	v_cvt_f16_i16_e32 v45, v45
	v_cvt_f16_i16_e32 v47, v47
	s_delay_alu instid0(VALU_DEP_1) | instskip(SKIP_2) | instid1(VALU_DEP_3)
	v_pack_b32_f16 v45, v45, v47
	v_lshrrev_b32_e32 v47, 8, v36
	v_bfe_i32 v36, v36, 0, 8
	v_pk_mul_f16 v176, v45, v40
	s_delay_alu instid0(VALU_DEP_3) | instskip(NEXT) | instid1(VALU_DEP_3)
	v_bfe_i32 v47, v47, 0, 8
	v_cvt_f16_i16_e32 v36, v36
	s_delay_alu instid0(VALU_DEP_2) | instskip(NEXT) | instid1(VALU_DEP_1)
	v_cvt_f16_i16_e32 v47, v47
	v_pack_b32_f16 v36, v36, v47
	s_delay_alu instid0(VALU_DEP_1) | instskip(SKIP_1) | instid1(VALU_DEP_1)
	v_pk_mul_f16 v36, v36, v40
	v_ashrrev_i32_e32 v40, v175, v46
	v_and_b32_e32 v40, 0xf0f0f0f, v40
	s_delay_alu instid0(VALU_DEP_1) | instskip(SKIP_2) | instid1(VALU_DEP_3)
	v_lshlrev_b16 v45, 8, v40
	v_and_b32_e32 v46, 0xf00, v40
	v_lshrrev_b32_e32 v40, 16, v40
	v_add_nc_u16 v45, 0xf800, v45
	s_delay_alu instid0(VALU_DEP_1) | instskip(NEXT) | instid1(VALU_DEP_1)
	v_lshrrev_b16 v45, 8, v45
	v_or_b32_e32 v45, v46, v45
	s_delay_alu instid0(VALU_DEP_4) | instskip(SKIP_1) | instid1(VALU_DEP_3)
	v_lshlrev_b16 v46, 8, v40
	v_and_b32_e32 v40, 0xf00, v40
	v_add_nc_u16 v45, 0xf800, v45
	s_delay_alu instid0(VALU_DEP_3) | instskip(NEXT) | instid1(VALU_DEP_1)
	v_add_nc_u16 v46, 0xf800, v46
	v_lshrrev_b16 v46, 8, v46
	s_delay_alu instid0(VALU_DEP_1) | instskip(NEXT) | instid1(VALU_DEP_4)
	v_or_b32_e32 v40, v40, v46
	v_lshrrev_b32_e32 v46, 8, v45
	v_bfe_i32 v45, v45, 0, 8
	s_delay_alu instid0(VALU_DEP_3) | instskip(NEXT) | instid1(VALU_DEP_3)
	v_add_nc_u16 v40, 0xf800, v40
	v_bfe_i32 v46, v46, 0, 8
	s_delay_alu instid0(VALU_DEP_3) | instskip(NEXT) | instid1(VALU_DEP_2)
	v_cvt_f16_i16_e32 v45, v45
	v_cvt_f16_i16_e32 v46, v46
	s_delay_alu instid0(VALU_DEP_1) | instskip(SKIP_2) | instid1(VALU_DEP_3)
	v_pack_b32_f16 v45, v45, v46
	v_lshrrev_b32_e32 v46, 8, v40
	v_bfe_i32 v40, v40, 0, 8
	v_pk_mul_f16 v177, v45, v44
	s_delay_alu instid0(VALU_DEP_3) | instskip(NEXT) | instid1(VALU_DEP_3)
	v_bfe_i32 v46, v46, 0, 8
	v_cvt_f16_i16_e32 v40, v40
	v_pk_fma_f16 v45, v36, v41, v49
	v_pk_fma_f16 v49, v36, v37, v33
	s_delay_alu instid0(VALU_DEP_4) | instskip(NEXT) | instid1(VALU_DEP_1)
	v_cvt_f16_i16_e32 v46, v46
	v_pack_b32_f16 v40, v40, v46
	v_pk_fma_f16 v46, v177, v41, v50
	v_pk_fma_f16 v50, v177, v37, v34
	s_delay_alu instid0(VALU_DEP_3)
	v_pk_mul_f16 v40, v40, v44
	v_pk_fma_f16 v44, v176, v41, v48
	v_pk_fma_f16 v48, v176, v37, v32
	v_add_co_u32 v32, vcc_lo, v21, s8
	s_wait_alu 0xfffd
	v_add_co_ci_u32_e64 v33, null, 0, v213, vcc_lo
	v_pk_fma_f16 v47, v40, v41, v51
	v_pk_fma_f16 v51, v40, v37, v35
	v_mov_b32_e32 v21, v104
	global_load_b32 v34, v[32:33], off
	v_add_co_u32 v32, vcc_lo, v196, s8
	s_wait_alu 0xfffd
	v_add_co_ci_u32_e64 v33, null, 0, v197, vcc_lo
	ds_store_b128 v127, v[44:47]
	ds_store_b128 v127, v[48:51] offset:16
	global_load_u16 v35, v[32:33], off
	v_add_co_u32 v32, vcc_lo, v16, s8
	s_wait_alu 0xfffd
	v_add_co_ci_u32_e64 v33, null, 0, v82, vcc_lo
	global_load_b32 v36, v[32:33], off
	v_add_co_u32 v32, vcc_lo, v29, s8
	s_wait_alu 0xfffd
	v_add_co_ci_u32_e64 v33, null, 0, v20, vcc_lo
	v_mov_b32_e32 v20, v106
	global_load_u16 v32, v[32:33], off
	s_wait_loadcnt 0x3
	v_ashrrev_i32_e32 v33, v175, v34
	s_delay_alu instid0(VALU_DEP_1) | instskip(SKIP_2) | instid1(VALU_DEP_2)
	v_and_b32_e32 v33, 0xf0f0f0f, v33
	s_wait_loadcnt 0x2
	v_mul_u32_u24_e32 v35, 0x10001, v35
	v_lshlrev_b16 v34, 8, v33
	v_and_b32_e32 v37, 0xf00, v33
	v_lshrrev_b32_e32 v33, 16, v33
	s_delay_alu instid0(VALU_DEP_3) | instskip(NEXT) | instid1(VALU_DEP_1)
	v_add_nc_u16 v34, 0xf800, v34
	v_lshrrev_b16 v34, 8, v34
	s_wait_loadcnt 0x0
	v_mul_u32_u24_e32 v32, 0x10001, v32
	s_delay_alu instid0(VALU_DEP_2) | instskip(SKIP_2) | instid1(VALU_DEP_3)
	v_or_b32_e32 v34, v37, v34
	v_lshlrev_b16 v37, 8, v33
	v_and_b32_e32 v33, 0xf00, v33
	v_add_nc_u16 v34, 0xf800, v34
	s_delay_alu instid0(VALU_DEP_3) | instskip(NEXT) | instid1(VALU_DEP_1)
	v_add_nc_u16 v37, 0xf800, v37
	v_lshrrev_b16 v37, 8, v37
	s_delay_alu instid0(VALU_DEP_1) | instskip(NEXT) | instid1(VALU_DEP_4)
	v_or_b32_e32 v33, v33, v37
	v_lshrrev_b32_e32 v37, 8, v34
	v_bfe_i32 v34, v34, 0, 8
	s_delay_alu instid0(VALU_DEP_3) | instskip(NEXT) | instid1(VALU_DEP_3)
	v_add_nc_u16 v33, 0xf800, v33
	v_bfe_i32 v37, v37, 0, 8
	s_delay_alu instid0(VALU_DEP_3) | instskip(NEXT) | instid1(VALU_DEP_2)
	v_cvt_f16_i16_e32 v34, v34
	v_cvt_f16_i16_e32 v37, v37
	s_delay_alu instid0(VALU_DEP_1) | instskip(SKIP_2) | instid1(VALU_DEP_2)
	v_pack_b32_f16 v34, v34, v37
	v_lshrrev_b32_e32 v37, 8, v33
	v_bfe_i32 v33, v33, 0, 8
	v_bfe_i32 v37, v37, 0, 8
	s_delay_alu instid0(VALU_DEP_2) | instskip(NEXT) | instid1(VALU_DEP_2)
	v_cvt_f16_i16_e32 v33, v33
	v_cvt_f16_i16_e32 v37, v37
	s_delay_alu instid0(VALU_DEP_1) | instskip(SKIP_1) | instid1(VALU_DEP_2)
	v_pack_b32_f16 v33, v33, v37
	v_pk_mul_f16 v37, v34, v35
	v_pk_mul_f16 v40, v33, v35
	v_ashrrev_i32_e32 v33, v175, v36
	s_delay_alu instid0(VALU_DEP_1) | instskip(NEXT) | instid1(VALU_DEP_1)
	v_and_b32_e32 v33, 0xf0f0f0f, v33
	v_lshlrev_b16 v34, 8, v33
	v_and_b32_e32 v35, 0xf00, v33
	v_lshrrev_b32_e32 v33, 16, v33
	s_delay_alu instid0(VALU_DEP_3) | instskip(NEXT) | instid1(VALU_DEP_1)
	v_add_nc_u16 v34, 0xf800, v34
	v_lshrrev_b16 v34, 8, v34
	s_delay_alu instid0(VALU_DEP_1) | instskip(NEXT) | instid1(VALU_DEP_4)
	v_or_b32_e32 v34, v35, v34
	v_lshlrev_b16 v35, 8, v33
	v_and_b32_e32 v33, 0xf00, v33
	s_delay_alu instid0(VALU_DEP_3) | instskip(NEXT) | instid1(VALU_DEP_3)
	v_add_nc_u16 v34, 0xf800, v34
	v_add_nc_u16 v35, 0xf800, v35
	s_delay_alu instid0(VALU_DEP_1) | instskip(NEXT) | instid1(VALU_DEP_1)
	v_lshrrev_b16 v35, 8, v35
	v_or_b32_e32 v33, v33, v35
	s_delay_alu instid0(VALU_DEP_4) | instskip(SKIP_1) | instid1(VALU_DEP_3)
	v_lshrrev_b32_e32 v35, 8, v34
	v_bfe_i32 v34, v34, 0, 8
	v_add_nc_u16 v33, 0xf800, v33
	s_delay_alu instid0(VALU_DEP_3) | instskip(NEXT) | instid1(VALU_DEP_3)
	v_bfe_i32 v35, v35, 0, 8
	v_cvt_f16_i16_e32 v34, v34
	s_delay_alu instid0(VALU_DEP_2) | instskip(NEXT) | instid1(VALU_DEP_1)
	v_cvt_f16_i16_e32 v35, v35
	v_pack_b32_f16 v34, v34, v35
	v_lshrrev_b32_e32 v35, 8, v33
	v_bfe_i32 v33, v33, 0, 8
	s_delay_alu instid0(VALU_DEP_3) | instskip(NEXT) | instid1(VALU_DEP_3)
	v_pk_mul_f16 v36, v34, v32
	v_bfe_i32 v35, v35, 0, 8
	s_delay_alu instid0(VALU_DEP_3) | instskip(NEXT) | instid1(VALU_DEP_2)
	v_cvt_f16_i16_e32 v33, v33
	v_cvt_f16_i16_e32 v35, v35
	s_delay_alu instid0(VALU_DEP_1) | instskip(NEXT) | instid1(VALU_DEP_1)
	v_pack_b32_f16 v33, v33, v35
	v_pk_mul_f16 v41, v33, v32
	v_and_b32_e32 v32, 0xffff, v42
	s_delay_alu instid0(VALU_DEP_1) | instskip(NEXT) | instid1(VALU_DEP_1)
	v_mul_u32_u24_e32 v35, 0x10001, v32
	v_pk_fma_f16 v32, v37, v35, v44
	v_and_b32_e32 v44, 0xffff, v38
	v_pk_fma_f16 v33, v40, v35, v45
	v_pk_fma_f16 v34, v36, v35, v46
	;; [unrolled: 1-line block ×3, first 2 shown]
	s_delay_alu instid0(VALU_DEP_4) | instskip(NEXT) | instid1(VALU_DEP_1)
	v_mul_u32_u24_e32 v47, 0x10001, v44
	v_pk_fma_f16 v46, v36, v47, v50
	v_add_co_u32 v36, vcc_lo, v11, s8
	v_pk_fma_f16 v44, v37, v47, v48
	s_wait_alu 0xfffd
	v_add_co_ci_u32_e64 v37, null, 0, v12, vcc_lo
	v_pk_fma_f16 v45, v40, v47, v49
	v_pk_fma_f16 v47, v41, v47, v51
	ds_store_b128 v127, v[32:35]
	global_load_b32 v40, v[36:37], off
	v_add_co_u32 v36, vcc_lo, v13, s8
	s_wait_alu 0xfffd
	v_add_co_ci_u32_e64 v37, null, 0, v14, vcc_lo
	ds_store_b128 v127, v[44:47] offset:16
	v_dual_mov_b32 v12, v109 :: v_dual_mov_b32 v109, v26
	global_load_u16 v41, v[36:37], off
	v_add_co_u32 v36, vcc_lo, v28, s8
	s_wait_alu 0xfffd
	v_add_co_ci_u32_e64 v37, null, 0, v8, vcc_lo
	v_mov_b32_e32 v8, v102
	v_mov_b32_e32 v102, v91
	;; [unrolled: 1-line block ×3, first 2 shown]
	global_load_b32 v48, v[36:37], off
	v_add_co_u32 v36, vcc_lo, v10, s8
	s_wait_alu 0xfffd
	v_add_co_ci_u32_e64 v37, null, 0, v25, vcc_lo
	global_load_u16 v36, v[36:37], off
	s_wait_loadcnt 0x3
	v_ashrrev_i32_e32 v37, v175, v40
	s_delay_alu instid0(VALU_DEP_1) | instskip(SKIP_2) | instid1(VALU_DEP_2)
	v_and_b32_e32 v37, 0xf0f0f0f, v37
	s_wait_loadcnt 0x2
	v_mul_u32_u24_e32 v41, 0x10001, v41
	v_lshlrev_b16 v40, 8, v37
	v_and_b32_e32 v49, 0xf00, v37
	v_lshrrev_b32_e32 v37, 16, v37
	s_delay_alu instid0(VALU_DEP_3) | instskip(NEXT) | instid1(VALU_DEP_1)
	v_add_nc_u16 v40, 0xf800, v40
	v_lshrrev_b16 v40, 8, v40
	s_wait_loadcnt 0x0
	v_mul_u32_u24_e32 v36, 0x10001, v36
	s_delay_alu instid0(VALU_DEP_2) | instskip(SKIP_2) | instid1(VALU_DEP_3)
	v_or_b32_e32 v40, v49, v40
	v_lshlrev_b16 v49, 8, v37
	v_and_b32_e32 v37, 0xf00, v37
	v_add_nc_u16 v40, 0xf800, v40
	s_delay_alu instid0(VALU_DEP_3) | instskip(NEXT) | instid1(VALU_DEP_1)
	v_add_nc_u16 v49, 0xf800, v49
	v_lshrrev_b16 v49, 8, v49
	s_delay_alu instid0(VALU_DEP_1) | instskip(NEXT) | instid1(VALU_DEP_4)
	v_or_b32_e32 v37, v37, v49
	v_lshrrev_b32_e32 v49, 8, v40
	v_bfe_i32 v40, v40, 0, 8
	s_delay_alu instid0(VALU_DEP_3) | instskip(NEXT) | instid1(VALU_DEP_3)
	v_add_nc_u16 v37, 0xf800, v37
	v_bfe_i32 v49, v49, 0, 8
	s_delay_alu instid0(VALU_DEP_3) | instskip(NEXT) | instid1(VALU_DEP_2)
	v_cvt_f16_i16_e32 v40, v40
	v_cvt_f16_i16_e32 v49, v49
	s_delay_alu instid0(VALU_DEP_1) | instskip(SKIP_2) | instid1(VALU_DEP_3)
	v_pack_b32_f16 v40, v40, v49
	v_lshrrev_b32_e32 v49, 8, v37
	v_bfe_i32 v37, v37, 0, 8
	v_pk_mul_f16 v40, v40, v41
	s_delay_alu instid0(VALU_DEP_3) | instskip(NEXT) | instid1(VALU_DEP_3)
	v_bfe_i32 v49, v49, 0, 8
	v_cvt_f16_i16_e32 v37, v37
	s_delay_alu instid0(VALU_DEP_2) | instskip(NEXT) | instid1(VALU_DEP_1)
	v_cvt_f16_i16_e32 v49, v49
	v_pack_b32_f16 v37, v37, v49
	s_delay_alu instid0(VALU_DEP_1) | instskip(SKIP_1) | instid1(VALU_DEP_1)
	v_pk_mul_f16 v37, v37, v41
	v_ashrrev_i32_e32 v41, v175, v48
	v_and_b32_e32 v41, 0xf0f0f0f, v41
	s_delay_alu instid0(VALU_DEP_1) | instskip(SKIP_2) | instid1(VALU_DEP_3)
	v_lshlrev_b16 v48, 8, v41
	v_and_b32_e32 v49, 0xf00, v41
	v_lshrrev_b32_e32 v41, 16, v41
	v_add_nc_u16 v48, 0xf800, v48
	s_delay_alu instid0(VALU_DEP_1) | instskip(NEXT) | instid1(VALU_DEP_1)
	v_lshrrev_b16 v48, 8, v48
	v_or_b32_e32 v48, v49, v48
	s_delay_alu instid0(VALU_DEP_4) | instskip(SKIP_1) | instid1(VALU_DEP_3)
	v_lshlrev_b16 v49, 8, v41
	v_and_b32_e32 v41, 0xf00, v41
	v_add_nc_u16 v48, 0xf800, v48
	s_delay_alu instid0(VALU_DEP_3) | instskip(NEXT) | instid1(VALU_DEP_1)
	v_add_nc_u16 v49, 0xf800, v49
	v_lshrrev_b16 v49, 8, v49
	s_delay_alu instid0(VALU_DEP_1) | instskip(NEXT) | instid1(VALU_DEP_4)
	v_or_b32_e32 v41, v41, v49
	v_lshrrev_b32_e32 v49, 8, v48
	v_bfe_i32 v48, v48, 0, 8
	s_delay_alu instid0(VALU_DEP_3) | instskip(NEXT) | instid1(VALU_DEP_3)
	v_add_nc_u16 v41, 0xf800, v41
	v_bfe_i32 v49, v49, 0, 8
	s_delay_alu instid0(VALU_DEP_3) | instskip(NEXT) | instid1(VALU_DEP_2)
	v_cvt_f16_i16_e32 v48, v48
	v_cvt_f16_i16_e32 v49, v49
	s_delay_alu instid0(VALU_DEP_1) | instskip(SKIP_2) | instid1(VALU_DEP_3)
	v_pack_b32_f16 v48, v48, v49
	v_lshrrev_b32_e32 v49, 8, v41
	v_bfe_i32 v41, v41, 0, 8
	v_pk_mul_f16 v176, v48, v36
	s_delay_alu instid0(VALU_DEP_3) | instskip(NEXT) | instid1(VALU_DEP_3)
	v_bfe_i32 v49, v49, 0, 8
	v_cvt_f16_i16_e32 v41, v41
	s_delay_alu instid0(VALU_DEP_2) | instskip(NEXT) | instid1(VALU_DEP_1)
	v_cvt_f16_i16_e32 v49, v49
	v_pack_b32_f16 v41, v41, v49
	s_delay_alu instid0(VALU_DEP_1) | instskip(SKIP_1) | instid1(VALU_DEP_1)
	v_pk_mul_f16 v36, v41, v36
	v_lshrrev_b32_e32 v41, 16, v42
	v_mul_u32_u24_e32 v41, 0x10001, v41
	s_delay_alu instid0(VALU_DEP_1) | instskip(SKIP_4) | instid1(VALU_DEP_4)
	v_pk_fma_f16 v48, v40, v41, v32
	v_lshrrev_b32_e32 v32, 16, v38
	v_pk_fma_f16 v51, v36, v41, v35
	v_pk_fma_f16 v49, v37, v41, v33
	;; [unrolled: 1-line block ×3, first 2 shown]
	v_mul_u32_u24_e32 v35, 0x10001, v32
	s_delay_alu instid0(VALU_DEP_1)
	v_pk_fma_f16 v32, v40, v35, v44
	v_pk_fma_f16 v33, v37, v35, v45
	;; [unrolled: 1-line block ×4, first 2 shown]
	v_add_co_u32 v36, vcc_lo, v22, s8
	s_wait_alu 0xfffd
	v_add_co_ci_u32_e64 v37, null, 0, v15, vcc_lo
	ds_store_b128 v127, v[48:51]
	ds_store_b128 v127, v[32:35] offset:16
	v_mov_b32_e32 v15, v22
	global_load_b32 v38, v[36:37], off
	v_add_co_u32 v36, vcc_lo, v4, s8
	s_wait_alu 0xfffd
	v_add_co_ci_u32_e64 v37, null, 0, v122, vcc_lo
	v_dual_mov_b32 v22, v215 :: v_dual_mov_b32 v215, v11
	v_mov_b32_e32 v11, v203
	global_load_u16 v40, v[36:37], off
	v_add_co_u32 v36, vcc_lo, v118, s8
	s_wait_alu 0xfffd
	v_add_co_ci_u32_e64 v37, null, 0, v3, vcc_lo
	v_mov_b32_e32 v203, v23
	global_load_b32 v41, v[36:37], off
	v_add_co_u32 v36, vcc_lo, v195, s8
	s_wait_alu 0xfffd
	v_add_co_ci_u32_e64 v37, null, 0, v208, vcc_lo
	global_load_u16 v36, v[36:37], off
	s_wait_loadcnt 0x3
	v_ashrrev_i32_e32 v37, v175, v38
	s_delay_alu instid0(VALU_DEP_1) | instskip(SKIP_2) | instid1(VALU_DEP_2)
	v_and_b32_e32 v37, 0xf0f0f0f, v37
	s_wait_loadcnt 0x2
	v_mul_u32_u24_e32 v40, 0x10001, v40
	v_lshlrev_b16 v38, 8, v37
	v_and_b32_e32 v42, 0xf00, v37
	v_lshrrev_b32_e32 v37, 16, v37
	s_delay_alu instid0(VALU_DEP_3) | instskip(NEXT) | instid1(VALU_DEP_1)
	v_add_nc_u16 v38, 0xf800, v38
	v_lshrrev_b16 v38, 8, v38
	s_wait_loadcnt 0x0
	v_mul_u32_u24_e32 v36, 0x10001, v36
	s_delay_alu instid0(VALU_DEP_2) | instskip(SKIP_2) | instid1(VALU_DEP_3)
	v_or_b32_e32 v38, v42, v38
	v_lshlrev_b16 v42, 8, v37
	v_and_b32_e32 v37, 0xf00, v37
	v_add_nc_u16 v38, 0xf800, v38
	s_delay_alu instid0(VALU_DEP_3) | instskip(NEXT) | instid1(VALU_DEP_1)
	v_add_nc_u16 v42, 0xf800, v42
	v_lshrrev_b16 v42, 8, v42
	s_delay_alu instid0(VALU_DEP_1) | instskip(NEXT) | instid1(VALU_DEP_4)
	v_or_b32_e32 v37, v37, v42
	v_lshrrev_b32_e32 v42, 8, v38
	v_bfe_i32 v38, v38, 0, 8
	s_delay_alu instid0(VALU_DEP_3) | instskip(NEXT) | instid1(VALU_DEP_3)
	v_add_nc_u16 v37, 0xf800, v37
	v_bfe_i32 v42, v42, 0, 8
	s_delay_alu instid0(VALU_DEP_3) | instskip(NEXT) | instid1(VALU_DEP_2)
	v_cvt_f16_i16_e32 v38, v38
	v_cvt_f16_i16_e32 v42, v42
	s_delay_alu instid0(VALU_DEP_1) | instskip(SKIP_2) | instid1(VALU_DEP_3)
	v_pack_b32_f16 v38, v38, v42
	v_lshrrev_b32_e32 v42, 8, v37
	v_bfe_i32 v37, v37, 0, 8
	v_pk_mul_f16 v38, v38, v40
	s_delay_alu instid0(VALU_DEP_3) | instskip(NEXT) | instid1(VALU_DEP_3)
	v_bfe_i32 v42, v42, 0, 8
	v_cvt_f16_i16_e32 v37, v37
	s_delay_alu instid0(VALU_DEP_2) | instskip(NEXT) | instid1(VALU_DEP_1)
	v_cvt_f16_i16_e32 v42, v42
	v_pack_b32_f16 v37, v37, v42
	s_delay_alu instid0(VALU_DEP_1) | instskip(SKIP_1) | instid1(VALU_DEP_1)
	v_pk_mul_f16 v37, v37, v40
	v_ashrrev_i32_e32 v40, v175, v41
	v_and_b32_e32 v40, 0xf0f0f0f, v40
	s_delay_alu instid0(VALU_DEP_1) | instskip(SKIP_2) | instid1(VALU_DEP_3)
	v_lshlrev_b16 v41, 8, v40
	v_and_b32_e32 v42, 0xf00, v40
	v_lshrrev_b32_e32 v40, 16, v40
	v_add_nc_u16 v41, 0xf800, v41
	s_delay_alu instid0(VALU_DEP_1) | instskip(NEXT) | instid1(VALU_DEP_1)
	v_lshrrev_b16 v41, 8, v41
	v_or_b32_e32 v41, v42, v41
	s_delay_alu instid0(VALU_DEP_4) | instskip(SKIP_1) | instid1(VALU_DEP_3)
	v_lshlrev_b16 v42, 8, v40
	v_and_b32_e32 v40, 0xf00, v40
	v_add_nc_u16 v41, 0xf800, v41
	s_delay_alu instid0(VALU_DEP_3) | instskip(NEXT) | instid1(VALU_DEP_1)
	v_add_nc_u16 v42, 0xf800, v42
	v_lshrrev_b16 v42, 8, v42
	s_delay_alu instid0(VALU_DEP_1) | instskip(NEXT) | instid1(VALU_DEP_4)
	v_or_b32_e32 v40, v40, v42
	v_lshrrev_b32_e32 v42, 8, v41
	v_bfe_i32 v41, v41, 0, 8
	s_delay_alu instid0(VALU_DEP_3) | instskip(NEXT) | instid1(VALU_DEP_3)
	v_add_nc_u16 v40, 0xf800, v40
	v_bfe_i32 v42, v42, 0, 8
	s_delay_alu instid0(VALU_DEP_3) | instskip(NEXT) | instid1(VALU_DEP_2)
	v_cvt_f16_i16_e32 v41, v41
	v_cvt_f16_i16_e32 v42, v42
	s_delay_alu instid0(VALU_DEP_1) | instskip(SKIP_2) | instid1(VALU_DEP_3)
	v_pack_b32_f16 v41, v41, v42
	v_lshrrev_b32_e32 v42, 8, v40
	v_bfe_i32 v40, v40, 0, 8
	v_pk_mul_f16 v41, v41, v36
	s_delay_alu instid0(VALU_DEP_3) | instskip(NEXT) | instid1(VALU_DEP_3)
	v_bfe_i32 v42, v42, 0, 8
	v_cvt_f16_i16_e32 v40, v40
	s_delay_alu instid0(VALU_DEP_2) | instskip(NEXT) | instid1(VALU_DEP_1)
	v_cvt_f16_i16_e32 v42, v42
	v_pack_b32_f16 v40, v40, v42
	s_delay_alu instid0(VALU_DEP_1) | instskip(SKIP_1) | instid1(VALU_DEP_1)
	v_pk_mul_f16 v36, v40, v36
	v_and_b32_e32 v40, 0xffff, v43
	v_mul_u32_u24_e32 v40, 0x10001, v40
	s_delay_alu instid0(VALU_DEP_1) | instskip(SKIP_4) | instid1(VALU_DEP_1)
	v_pk_fma_f16 v44, v38, v40, v48
	v_pk_fma_f16 v45, v37, v40, v49
	;; [unrolled: 1-line block ×4, first 2 shown]
	v_and_b32_e32 v40, 0xffff, v39
	v_mul_u32_u24_e32 v40, 0x10001, v40
	s_delay_alu instid0(VALU_DEP_1)
	v_pk_fma_f16 v176, v38, v40, v32
	v_add_co_u32 v32, vcc_lo, v170, s8
	v_pk_fma_f16 v177, v37, v40, v33
	s_wait_alu 0xfffd
	v_add_co_ci_u32_e64 v33, null, 0, v171, vcc_lo
	v_pk_fma_f16 v179, v36, v40, v35
	v_pk_fma_f16 v178, v41, v40, v34
	v_lshrrev_b32_e32 v34, 16, v43
	global_load_b32 v35, v[32:33], off
	v_add_co_u32 v32, vcc_lo, v85, s8
	s_wait_alu 0xfffd
	v_add_co_ci_u32_e64 v33, null, 0, v173, vcc_lo
	v_mul_u32_u24_e32 v34, 0x10001, v34
	ds_store_b128 v127, v[44:47]
	ds_store_b128 v127, v[176:179] offset:16
	global_load_u16 v36, v[32:33], off
	v_add_co_u32 v32, vcc_lo, v166, s8
	s_wait_alu 0xfffd
	v_add_co_ci_u32_e64 v33, null, 0, v167, vcc_lo
	v_dual_mov_b32 v85, v156 :: v_dual_mov_b32 v156, v226
	v_mov_b32_e32 v173, v118
	global_load_b32 v37, v[32:33], off
	v_add_co_u32 v32, vcc_lo, v168, s8
	s_wait_alu 0xfffd
	v_add_co_ci_u32_e64 v33, null, 0, v169, vcc_lo
	v_mov_b32_e32 v118, v214
	v_mov_b32_e32 v214, v219
	global_load_u16 v32, v[32:33], off
	s_wait_loadcnt 0x3
	v_ashrrev_i32_e32 v33, v175, v35
	s_delay_alu instid0(VALU_DEP_1) | instskip(SKIP_2) | instid1(VALU_DEP_2)
	v_and_b32_e32 v33, 0xf0f0f0f, v33
	s_wait_loadcnt 0x2
	v_mul_u32_u24_e32 v36, 0x10001, v36
	v_lshlrev_b16 v35, 8, v33
	v_and_b32_e32 v38, 0xf00, v33
	v_lshrrev_b32_e32 v33, 16, v33
	s_delay_alu instid0(VALU_DEP_3) | instskip(NEXT) | instid1(VALU_DEP_1)
	v_add_nc_u16 v35, 0xf800, v35
	v_lshrrev_b16 v35, 8, v35
	s_wait_loadcnt 0x0
	v_mul_u32_u24_e32 v32, 0x10001, v32
	s_delay_alu instid0(VALU_DEP_2) | instskip(SKIP_2) | instid1(VALU_DEP_3)
	v_or_b32_e32 v35, v38, v35
	v_lshlrev_b16 v38, 8, v33
	v_and_b32_e32 v33, 0xf00, v33
	v_add_nc_u16 v35, 0xf800, v35
	s_delay_alu instid0(VALU_DEP_3) | instskip(NEXT) | instid1(VALU_DEP_1)
	v_add_nc_u16 v38, 0xf800, v38
	v_lshrrev_b16 v38, 8, v38
	s_delay_alu instid0(VALU_DEP_1) | instskip(NEXT) | instid1(VALU_DEP_4)
	v_or_b32_e32 v33, v33, v38
	v_lshrrev_b32_e32 v38, 8, v35
	v_bfe_i32 v35, v35, 0, 8
	s_delay_alu instid0(VALU_DEP_3) | instskip(NEXT) | instid1(VALU_DEP_3)
	v_add_nc_u16 v33, 0xf800, v33
	v_bfe_i32 v38, v38, 0, 8
	s_delay_alu instid0(VALU_DEP_3) | instskip(NEXT) | instid1(VALU_DEP_2)
	v_cvt_f16_i16_e32 v35, v35
	v_cvt_f16_i16_e32 v38, v38
	s_delay_alu instid0(VALU_DEP_1) | instskip(SKIP_2) | instid1(VALU_DEP_3)
	v_pack_b32_f16 v35, v35, v38
	v_lshrrev_b32_e32 v38, 8, v33
	v_bfe_i32 v33, v33, 0, 8
	v_pk_mul_f16 v35, v35, v36
	s_delay_alu instid0(VALU_DEP_3) | instskip(NEXT) | instid1(VALU_DEP_3)
	v_bfe_i32 v38, v38, 0, 8
	v_cvt_f16_i16_e32 v33, v33
	s_delay_alu instid0(VALU_DEP_3) | instskip(NEXT) | instid1(VALU_DEP_3)
	v_pk_fma_f16 v48, v35, v34, v44
	v_cvt_f16_i16_e32 v38, v38
	s_delay_alu instid0(VALU_DEP_1) | instskip(NEXT) | instid1(VALU_DEP_1)
	v_pack_b32_f16 v33, v33, v38
	v_pk_mul_f16 v33, v33, v36
	v_ashrrev_i32_e32 v36, v175, v37
	s_delay_alu instid0(VALU_DEP_2) | instskip(NEXT) | instid1(VALU_DEP_2)
	v_pk_fma_f16 v49, v33, v34, v45
	v_and_b32_e32 v36, 0xf0f0f0f, v36
	s_delay_alu instid0(VALU_DEP_1) | instskip(SKIP_2) | instid1(VALU_DEP_3)
	v_lshlrev_b16 v37, 8, v36
	v_and_b32_e32 v38, 0xf00, v36
	v_lshrrev_b32_e32 v36, 16, v36
	v_add_nc_u16 v37, 0xf800, v37
	s_delay_alu instid0(VALU_DEP_1) | instskip(NEXT) | instid1(VALU_DEP_1)
	v_lshrrev_b16 v37, 8, v37
	v_or_b32_e32 v37, v38, v37
	s_delay_alu instid0(VALU_DEP_4) | instskip(SKIP_1) | instid1(VALU_DEP_3)
	v_lshlrev_b16 v38, 8, v36
	v_and_b32_e32 v36, 0xf00, v36
	v_add_nc_u16 v37, 0xf800, v37
	s_delay_alu instid0(VALU_DEP_3) | instskip(NEXT) | instid1(VALU_DEP_1)
	v_add_nc_u16 v38, 0xf800, v38
	v_lshrrev_b16 v38, 8, v38
	s_delay_alu instid0(VALU_DEP_1) | instskip(NEXT) | instid1(VALU_DEP_4)
	v_or_b32_e32 v36, v36, v38
	v_lshrrev_b32_e32 v38, 8, v37
	v_bfe_i32 v37, v37, 0, 8
	s_delay_alu instid0(VALU_DEP_3) | instskip(NEXT) | instid1(VALU_DEP_3)
	v_add_nc_u16 v36, 0xf800, v36
	v_bfe_i32 v38, v38, 0, 8
	s_delay_alu instid0(VALU_DEP_3) | instskip(NEXT) | instid1(VALU_DEP_2)
	v_cvt_f16_i16_e32 v37, v37
	v_cvt_f16_i16_e32 v38, v38
	s_delay_alu instid0(VALU_DEP_1) | instskip(SKIP_2) | instid1(VALU_DEP_3)
	v_pack_b32_f16 v37, v37, v38
	v_lshrrev_b32_e32 v38, 8, v36
	v_bfe_i32 v36, v36, 0, 8
	v_pk_mul_f16 v37, v37, v32
	s_delay_alu instid0(VALU_DEP_3) | instskip(NEXT) | instid1(VALU_DEP_3)
	v_bfe_i32 v38, v38, 0, 8
	v_cvt_f16_i16_e32 v36, v36
	s_delay_alu instid0(VALU_DEP_3) | instskip(NEXT) | instid1(VALU_DEP_3)
	v_pk_fma_f16 v50, v37, v34, v46
	v_cvt_f16_i16_e32 v38, v38
	s_delay_alu instid0(VALU_DEP_1) | instskip(NEXT) | instid1(VALU_DEP_1)
	v_pack_b32_f16 v36, v36, v38
	v_pk_mul_f16 v32, v36, v32
	s_delay_alu instid0(VALU_DEP_1) | instskip(SKIP_1) | instid1(VALU_DEP_1)
	v_pk_fma_f16 v51, v32, v34, v47
	v_lshrrev_b32_e32 v34, 16, v39
	v_mul_u32_u24_e32 v34, 0x10001, v34
	s_delay_alu instid0(VALU_DEP_1)
	v_pk_fma_f16 v47, v32, v34, v179
	v_add_co_u32 v32, vcc_lo, v162, s8
	v_pk_fma_f16 v45, v33, v34, v177
	s_wait_alu 0xfffd
	v_add_co_ci_u32_e64 v33, null, 0, v163, vcc_lo
	v_pk_fma_f16 v44, v35, v34, v176
	v_pk_fma_f16 v46, v37, v34, v178
	global_load_b32 v34, v[32:33], off
	v_add_co_u32 v32, vcc_lo, v164, s8
	s_wait_alu 0xfffd
	v_add_co_ci_u32_e64 v33, null, 0, v165, vcc_lo
	global_load_u16 v35, v[32:33], off
	v_add_co_u32 v32, vcc_lo, v158, s8
	s_wait_alu 0xfffd
	v_add_co_ci_u32_e64 v33, null, 0, v159, vcc_lo
	global_load_b32 v36, v[32:33], off
	v_add_co_u32 v32, vcc_lo, v160, s8
	s_wait_alu 0xfffd
	v_add_co_ci_u32_e64 v33, null, 0, v161, vcc_lo
	global_load_u16 v32, v[32:33], off
	s_wait_loadcnt 0x3
	v_ashrrev_i32_e32 v33, v175, v34
	s_delay_alu instid0(VALU_DEP_1) | instskip(SKIP_2) | instid1(VALU_DEP_2)
	v_and_b32_e32 v33, 0xf0f0f0f, v33
	s_wait_loadcnt 0x2
	v_mul_u32_u24_e32 v35, 0x10001, v35
	v_lshlrev_b16 v34, 8, v33
	v_and_b32_e32 v37, 0xf00, v33
	v_lshrrev_b32_e32 v33, 16, v33
	s_delay_alu instid0(VALU_DEP_3) | instskip(NEXT) | instid1(VALU_DEP_1)
	v_add_nc_u16 v34, 0xf800, v34
	v_lshrrev_b16 v34, 8, v34
	s_wait_loadcnt 0x0
	v_mul_u32_u24_e32 v32, 0x10001, v32
	s_delay_alu instid0(VALU_DEP_2) | instskip(SKIP_2) | instid1(VALU_DEP_3)
	v_or_b32_e32 v34, v37, v34
	v_lshlrev_b16 v37, 8, v33
	v_and_b32_e32 v33, 0xf00, v33
	v_add_nc_u16 v34, 0xf800, v34
	s_delay_alu instid0(VALU_DEP_3) | instskip(NEXT) | instid1(VALU_DEP_1)
	v_add_nc_u16 v37, 0xf800, v37
	v_lshrrev_b16 v37, 8, v37
	s_delay_alu instid0(VALU_DEP_1) | instskip(NEXT) | instid1(VALU_DEP_4)
	v_or_b32_e32 v33, v33, v37
	v_lshrrev_b32_e32 v37, 8, v34
	v_bfe_i32 v34, v34, 0, 8
	s_delay_alu instid0(VALU_DEP_3) | instskip(NEXT) | instid1(VALU_DEP_3)
	v_add_nc_u16 v33, 0xf800, v33
	v_bfe_i32 v37, v37, 0, 8
	s_delay_alu instid0(VALU_DEP_3) | instskip(NEXT) | instid1(VALU_DEP_2)
	v_cvt_f16_i16_e32 v34, v34
	v_cvt_f16_i16_e32 v37, v37
	s_delay_alu instid0(VALU_DEP_1) | instskip(SKIP_2) | instid1(VALU_DEP_3)
	v_pack_b32_f16 v34, v34, v37
	v_lshrrev_b32_e32 v37, 8, v33
	v_bfe_i32 v33, v33, 0, 8
	v_pk_mul_f16 v176, v34, v35
	s_delay_alu instid0(VALU_DEP_3) | instskip(NEXT) | instid1(VALU_DEP_3)
	v_bfe_i32 v37, v37, 0, 8
	v_cvt_f16_i16_e32 v33, v33
	s_delay_alu instid0(VALU_DEP_2) | instskip(NEXT) | instid1(VALU_DEP_1)
	v_cvt_f16_i16_e32 v37, v37
	v_pack_b32_f16 v33, v33, v37
	s_delay_alu instid0(VALU_DEP_1) | instskip(SKIP_1) | instid1(VALU_DEP_1)
	v_pk_mul_f16 v177, v33, v35
	v_ashrrev_i32_e32 v33, v175, v36
	v_and_b32_e32 v33, 0xf0f0f0f, v33
	s_delay_alu instid0(VALU_DEP_1) | instskip(SKIP_2) | instid1(VALU_DEP_3)
	v_lshlrev_b16 v34, 8, v33
	v_and_b32_e32 v35, 0xf00, v33
	v_lshrrev_b32_e32 v33, 16, v33
	v_add_nc_u16 v34, 0xf800, v34
	s_delay_alu instid0(VALU_DEP_1) | instskip(NEXT) | instid1(VALU_DEP_1)
	v_lshrrev_b16 v34, 8, v34
	v_or_b32_e32 v34, v35, v34
	s_delay_alu instid0(VALU_DEP_4) | instskip(SKIP_1) | instid1(VALU_DEP_3)
	v_lshlrev_b16 v35, 8, v33
	v_and_b32_e32 v33, 0xf00, v33
	v_add_nc_u16 v34, 0xf800, v34
	s_delay_alu instid0(VALU_DEP_3) | instskip(NEXT) | instid1(VALU_DEP_1)
	v_add_nc_u16 v35, 0xf800, v35
	v_lshrrev_b16 v35, 8, v35
	s_delay_alu instid0(VALU_DEP_1) | instskip(NEXT) | instid1(VALU_DEP_4)
	v_or_b32_e32 v33, v33, v35
	v_lshrrev_b32_e32 v35, 8, v34
	v_bfe_i32 v34, v34, 0, 8
	s_delay_alu instid0(VALU_DEP_3) | instskip(NEXT) | instid1(VALU_DEP_3)
	v_add_nc_u16 v33, 0xf800, v33
	v_bfe_i32 v35, v35, 0, 8
	s_delay_alu instid0(VALU_DEP_3) | instskip(NEXT) | instid1(VALU_DEP_2)
	v_cvt_f16_i16_e32 v34, v34
	v_cvt_f16_i16_e32 v35, v35
	s_delay_alu instid0(VALU_DEP_1) | instskip(SKIP_2) | instid1(VALU_DEP_3)
	v_pack_b32_f16 v34, v34, v35
	v_lshrrev_b32_e32 v35, 8, v33
	v_bfe_i32 v33, v33, 0, 8
	v_pk_mul_f16 v178, v34, v32
	s_delay_alu instid0(VALU_DEP_3) | instskip(NEXT) | instid1(VALU_DEP_3)
	v_bfe_i32 v35, v35, 0, 8
	v_cvt_f16_i16_e32 v33, v33
	s_delay_alu instid0(VALU_DEP_2) | instskip(NEXT) | instid1(VALU_DEP_1)
	v_cvt_f16_i16_e32 v35, v35
	v_pack_b32_f16 v33, v33, v35
	s_delay_alu instid0(VALU_DEP_1)
	v_pk_mul_f16 v179, v33, v32
	ds_load_b128 v[32:35], v18 offset:32
	ds_load_b128 v[40:43], v18 offset:48
	ds_store_b128 v127, v[48:51]
	s_wait_dscnt 0x2
	v_and_b32_e32 v36, 0xffff, v32
	v_lshrrev_b32_e32 v32, 16, v32
	s_delay_alu instid0(VALU_DEP_2) | instskip(NEXT) | instid1(VALU_DEP_2)
	v_mul_u32_u24_e32 v36, 0x10001, v36
	v_mul_u32_u24_e32 v32, 0x10001, v32
	s_delay_alu instid0(VALU_DEP_2)
	v_pk_fma_f16 v180, v176, v36, v48
	v_pk_fma_f16 v181, v177, v36, v49
	;; [unrolled: 1-line block ×4, first 2 shown]
	ds_load_b128 v[48:51], v18 offset:288
	ds_load_b128 v[36:39], v18 offset:304
	ds_store_b128 v127, v[44:47] offset:16
	v_mov_b32_e32 v18, v129
	s_wait_dscnt 0x2
	v_and_b32_e32 v184, 0xffff, v48
	s_delay_alu instid0(VALU_DEP_1) | instskip(NEXT) | instid1(VALU_DEP_1)
	v_mul_u32_u24_e32 v184, 0x10001, v184
	v_pk_fma_f16 v176, v176, v184, v44
	v_add_co_u32 v44, vcc_lo, v155, s8
	v_pk_fma_f16 v177, v177, v184, v45
	s_wait_alu 0xfffd
	v_add_co_ci_u32_e64 v45, null, 0, v234, vcc_lo
	v_pk_fma_f16 v178, v178, v184, v46
	global_load_b32 v46, v[44:45], off
	scratch_load_b32 v157, off, off offset:1084 th:TH_LOAD_LU ; 4-byte Folded Reload
	v_pk_fma_f16 v179, v179, v184, v47
	ds_store_b128 v127, v[180:183]
	ds_store_b128 v127, v[176:179] offset:16
	s_wait_loadcnt 0x0
	v_add_co_u32 v44, vcc_lo, v157, s8
	s_wait_alu 0xfffd
	v_add_co_ci_u32_e64 v45, null, 0, v115, vcc_lo
	global_load_u16 v47, v[44:45], off
	v_add_co_u32 v44, vcc_lo, v233, s8
	s_wait_alu 0xfffd
	v_add_co_ci_u32_e64 v45, null, 0, v151, vcc_lo
	global_load_b32 v184, v[44:45], off
	v_add_co_u32 v44, vcc_lo, v152, s8
	s_wait_alu 0xfffd
	v_add_co_ci_u32_e64 v45, null, 0, v226, vcc_lo
	v_mov_b32_e32 v226, v10
	v_dual_mov_b32 v10, v105 :: v_dual_mov_b32 v105, v58
	global_load_u16 v44, v[44:45], off
	v_ashrrev_i32_e32 v45, v175, v46
	s_delay_alu instid0(VALU_DEP_1) | instskip(NEXT) | instid1(VALU_DEP_1)
	v_and_b32_e32 v45, 0xf0f0f0f, v45
	v_lshlrev_b16 v46, 8, v45
	v_and_b32_e32 v185, 0xf00, v45
	v_lshrrev_b32_e32 v45, 16, v45
	s_delay_alu instid0(VALU_DEP_3) | instskip(NEXT) | instid1(VALU_DEP_1)
	v_add_nc_u16 v46, 0xf800, v46
	v_lshrrev_b16 v46, 8, v46
	s_delay_alu instid0(VALU_DEP_1) | instskip(NEXT) | instid1(VALU_DEP_4)
	v_or_b32_e32 v46, v185, v46
	v_lshlrev_b16 v185, 8, v45
	v_and_b32_e32 v45, 0xf00, v45
	s_delay_alu instid0(VALU_DEP_3) | instskip(NEXT) | instid1(VALU_DEP_3)
	v_add_nc_u16 v46, 0xf800, v46
	v_add_nc_u16 v185, 0xf800, v185
	s_delay_alu instid0(VALU_DEP_1) | instskip(NEXT) | instid1(VALU_DEP_1)
	v_lshrrev_b16 v185, 8, v185
	v_or_b32_e32 v45, v45, v185
	s_delay_alu instid0(VALU_DEP_4) | instskip(SKIP_1) | instid1(VALU_DEP_3)
	v_lshrrev_b32_e32 v185, 8, v46
	v_bfe_i32 v46, v46, 0, 8
	v_add_nc_u16 v45, 0xf800, v45
	s_delay_alu instid0(VALU_DEP_3) | instskip(NEXT) | instid1(VALU_DEP_3)
	v_bfe_i32 v185, v185, 0, 8
	v_cvt_f16_i16_e32 v46, v46
	s_delay_alu instid0(VALU_DEP_2) | instskip(NEXT) | instid1(VALU_DEP_1)
	v_cvt_f16_i16_e64 v185, v185
	v_pack_b32_f16 v46, v46, v185
	v_lshrrev_b32_e32 v185, 8, v45
	v_bfe_i32 v45, v45, 0, 8
	s_delay_alu instid0(VALU_DEP_2) | instskip(NEXT) | instid1(VALU_DEP_2)
	v_bfe_i32 v185, v185, 0, 8
	v_cvt_f16_i16_e32 v45, v45
	s_delay_alu instid0(VALU_DEP_2) | instskip(NEXT) | instid1(VALU_DEP_1)
	v_cvt_f16_i16_e64 v185, v185
	v_pack_b32_f16 v45, v45, v185
	s_wait_loadcnt 0x2
	v_mul_u32_u24_e32 v47, 0x10001, v47
	s_delay_alu instid0(VALU_DEP_1) | instskip(SKIP_3) | instid1(VALU_DEP_1)
	v_pk_mul_f16 v186, v45, v47
	v_pk_mul_f16 v185, v46, v47
	s_wait_loadcnt 0x1
	v_ashrrev_i32_e32 v45, v175, v184
	v_and_b32_e32 v45, 0xf0f0f0f, v45
	s_wait_loadcnt 0x0
	v_mul_u32_u24_e32 v44, 0x10001, v44
	s_delay_alu instid0(VALU_DEP_2) | instskip(SKIP_2) | instid1(VALU_DEP_3)
	v_lshlrev_b16 v46, 8, v45
	v_and_b32_e32 v47, 0xf00, v45
	v_lshrrev_b32_e32 v45, 16, v45
	v_add_nc_u16 v46, 0xf800, v46
	s_delay_alu instid0(VALU_DEP_1) | instskip(NEXT) | instid1(VALU_DEP_1)
	v_lshrrev_b16 v46, 8, v46
	v_or_b32_e32 v46, v47, v46
	s_delay_alu instid0(VALU_DEP_4) | instskip(SKIP_1) | instid1(VALU_DEP_3)
	v_lshlrev_b16 v47, 8, v45
	v_and_b32_e32 v45, 0xf00, v45
	v_add_nc_u16 v46, 0xf800, v46
	s_delay_alu instid0(VALU_DEP_3) | instskip(NEXT) | instid1(VALU_DEP_1)
	v_add_nc_u16 v47, 0xf800, v47
	v_lshrrev_b16 v47, 8, v47
	s_delay_alu instid0(VALU_DEP_1) | instskip(NEXT) | instid1(VALU_DEP_4)
	v_or_b32_e32 v45, v45, v47
	v_lshrrev_b32_e32 v47, 8, v46
	v_bfe_i32 v46, v46, 0, 8
	s_delay_alu instid0(VALU_DEP_3) | instskip(NEXT) | instid1(VALU_DEP_3)
	v_add_nc_u16 v45, 0xf800, v45
	v_bfe_i32 v47, v47, 0, 8
	s_delay_alu instid0(VALU_DEP_3) | instskip(NEXT) | instid1(VALU_DEP_2)
	v_cvt_f16_i16_e32 v46, v46
	v_cvt_f16_i16_e32 v47, v47
	s_delay_alu instid0(VALU_DEP_1) | instskip(SKIP_2) | instid1(VALU_DEP_3)
	v_pack_b32_f16 v46, v46, v47
	v_lshrrev_b32_e32 v47, 8, v45
	v_bfe_i32 v45, v45, 0, 8
	v_pk_mul_f16 v184, v46, v44
	s_delay_alu instid0(VALU_DEP_3) | instskip(NEXT) | instid1(VALU_DEP_3)
	v_bfe_i32 v47, v47, 0, 8
	v_cvt_f16_i16_e32 v45, v45
	s_delay_alu instid0(VALU_DEP_3) | instskip(NEXT) | instid1(VALU_DEP_3)
	v_pk_fma_f16 v46, v184, v32, v182
	v_cvt_f16_i16_e32 v47, v47
	s_delay_alu instid0(VALU_DEP_1) | instskip(NEXT) | instid1(VALU_DEP_1)
	v_pack_b32_f16 v45, v45, v47
	v_pk_mul_f16 v187, v45, v44
	v_pk_fma_f16 v44, v185, v32, v180
	v_pk_fma_f16 v45, v186, v32, v181
	s_delay_alu instid0(VALU_DEP_3) | instskip(SKIP_1) | instid1(VALU_DEP_1)
	v_pk_fma_f16 v47, v187, v32, v183
	v_lshrrev_b32_e32 v32, 16, v48
	v_mul_u32_u24_e32 v32, 0x10001, v32
	s_delay_alu instid0(VALU_DEP_1)
	v_pk_fma_f16 v180, v185, v32, v176
	v_add_co_u32 v176, vcc_lo, v146, s8
	v_pk_fma_f16 v181, v186, v32, v177
	s_wait_alu 0xfffd
	v_add_co_ci_u32_e64 v177, null, 0, v172, vcc_lo
	v_pk_fma_f16 v182, v184, v32, v178
	v_pk_fma_f16 v183, v187, v32, v179
	ds_store_b128 v127, v[44:47]
	global_load_b32 v32, v[176:177], off
	v_add_co_u32 v176, vcc_lo, v149, s8
	s_wait_alu 0xfffd
	v_add_co_ci_u32_e64 v177, null, 0, v148, vcc_lo
	ds_store_b128 v127, v[180:183] offset:16
	v_mov_b32_e32 v148, v140
	v_mov_b32_e32 v186, v16
	global_load_u16 v48, v[176:177], off
	v_add_co_u32 v176, vcc_lo, v143, s8
	s_wait_alu 0xfffd
	v_add_co_ci_u32_e64 v177, null, 0, v144, vcc_lo
	v_mov_b32_e32 v187, v82
	global_load_b32 v178, v[176:177], off
	v_add_co_u32 v176, vcc_lo, v140, s8
	s_wait_alu 0xfffd
	v_add_co_ci_u32_e64 v177, null, 0, v145, vcc_lo
	v_mov_b32_e32 v140, v108
	global_load_u16 v176, v[176:177], off
	s_wait_loadcnt 0x3
	v_ashrrev_i32_e32 v32, v175, v32
	s_delay_alu instid0(VALU_DEP_1) | instskip(SKIP_2) | instid1(VALU_DEP_2)
	v_and_b32_e32 v32, 0xf0f0f0f, v32
	s_wait_loadcnt 0x2
	v_mul_u32_u24_e32 v48, 0x10001, v48
	v_lshlrev_b16 v177, 8, v32
	v_and_b32_e32 v179, 0xf00, v32
	v_lshrrev_b32_e32 v32, 16, v32
	s_delay_alu instid0(VALU_DEP_3) | instskip(NEXT) | instid1(VALU_DEP_1)
	v_add_nc_u16 v177, 0xf800, v177
	v_lshrrev_b16 v177, 8, v177
	s_wait_loadcnt 0x0
	v_mul_u32_u24_e32 v176, 0x10001, v176
	s_delay_alu instid0(VALU_DEP_2) | instskip(SKIP_2) | instid1(VALU_DEP_3)
	v_or_b32_e32 v177, v179, v177
	v_lshlrev_b16 v179, 8, v32
	v_and_b32_e32 v32, 0xf00, v32
	v_add_nc_u16 v177, 0xf800, v177
	s_delay_alu instid0(VALU_DEP_3) | instskip(NEXT) | instid1(VALU_DEP_1)
	v_add_nc_u16 v179, 0xf800, v179
	v_lshrrev_b16 v179, 8, v179
	s_delay_alu instid0(VALU_DEP_1) | instskip(NEXT) | instid1(VALU_DEP_4)
	v_or_b32_e32 v32, v32, v179
	v_lshrrev_b32_e32 v179, 8, v177
	v_bfe_i32 v177, v177, 0, 8
	s_delay_alu instid0(VALU_DEP_3) | instskip(NEXT) | instid1(VALU_DEP_3)
	v_add_nc_u16 v32, 0xf800, v32
	v_bfe_i32 v179, v179, 0, 8
	s_delay_alu instid0(VALU_DEP_3) | instskip(NEXT) | instid1(VALU_DEP_2)
	v_cvt_f16_i16_e64 v177, v177
	v_cvt_f16_i16_e64 v179, v179
	s_delay_alu instid0(VALU_DEP_1) | instskip(SKIP_2) | instid1(VALU_DEP_3)
	v_pack_b32_f16 v177, v177, v179
	v_lshrrev_b32_e32 v179, 8, v32
	v_bfe_i32 v32, v32, 0, 8
	v_pk_mul_f16 v184, v177, v48
	s_delay_alu instid0(VALU_DEP_3) | instskip(NEXT) | instid1(VALU_DEP_3)
	v_bfe_i32 v179, v179, 0, 8
	v_cvt_f16_i16_e32 v32, v32
	s_delay_alu instid0(VALU_DEP_2) | instskip(NEXT) | instid1(VALU_DEP_1)
	v_cvt_f16_i16_e64 v179, v179
	v_pack_b32_f16 v32, v32, v179
	s_delay_alu instid0(VALU_DEP_1) | instskip(SKIP_1) | instid1(VALU_DEP_1)
	v_pk_mul_f16 v32, v32, v48
	v_ashrrev_i32_e32 v48, v175, v178
	v_and_b32_e32 v48, 0xf0f0f0f, v48
	s_delay_alu instid0(VALU_DEP_1) | instskip(SKIP_2) | instid1(VALU_DEP_3)
	v_lshlrev_b16 v177, 8, v48
	v_and_b32_e32 v178, 0xf00, v48
	v_lshrrev_b32_e32 v48, 16, v48
	v_add_nc_u16 v177, 0xf800, v177
	s_delay_alu instid0(VALU_DEP_1) | instskip(NEXT) | instid1(VALU_DEP_1)
	v_lshrrev_b16 v177, 8, v177
	v_or_b32_e32 v177, v178, v177
	s_delay_alu instid0(VALU_DEP_4) | instskip(SKIP_1) | instid1(VALU_DEP_3)
	v_lshlrev_b16 v178, 8, v48
	v_and_b32_e32 v48, 0xf00, v48
	v_add_nc_u16 v177, 0xf800, v177
	s_delay_alu instid0(VALU_DEP_3) | instskip(NEXT) | instid1(VALU_DEP_1)
	v_add_nc_u16 v178, 0xf800, v178
	v_lshrrev_b16 v178, 8, v178
	s_delay_alu instid0(VALU_DEP_1) | instskip(NEXT) | instid1(VALU_DEP_4)
	v_or_b32_e32 v48, v48, v178
	v_lshrrev_b32_e32 v178, 8, v177
	v_bfe_i32 v177, v177, 0, 8
	s_delay_alu instid0(VALU_DEP_3) | instskip(NEXT) | instid1(VALU_DEP_3)
	v_add_nc_u16 v48, 0xf800, v48
	v_bfe_i32 v178, v178, 0, 8
	s_delay_alu instid0(VALU_DEP_3) | instskip(NEXT) | instid1(VALU_DEP_2)
	v_cvt_f16_i16_e64 v177, v177
	v_cvt_f16_i16_e64 v178, v178
	s_delay_alu instid0(VALU_DEP_1) | instskip(SKIP_2) | instid1(VALU_DEP_3)
	v_pack_b32_f16 v177, v177, v178
	v_lshrrev_b32_e32 v178, 8, v48
	v_bfe_i32 v48, v48, 0, 8
	v_pk_mul_f16 v185, v177, v176
	s_delay_alu instid0(VALU_DEP_3) | instskip(NEXT) | instid1(VALU_DEP_3)
	v_bfe_i32 v178, v178, 0, 8
	v_cvt_f16_i16_e32 v48, v48
	s_delay_alu instid0(VALU_DEP_2) | instskip(NEXT) | instid1(VALU_DEP_1)
	v_cvt_f16_i16_e64 v178, v178
	v_pack_b32_f16 v48, v48, v178
	s_delay_alu instid0(VALU_DEP_1) | instskip(SKIP_2) | instid1(VALU_DEP_2)
	v_pk_mul_f16 v48, v48, v176
	v_and_b32_e32 v176, 0xffff, v33
	v_lshrrev_b32_e32 v33, 16, v33
	v_mul_u32_u24_e32 v179, 0x10001, v176
	s_delay_alu instid0(VALU_DEP_2) | instskip(NEXT) | instid1(VALU_DEP_2)
	v_mul_u32_u24_e32 v33, 0x10001, v33
	v_pk_fma_f16 v176, v184, v179, v44
	v_and_b32_e32 v44, 0xffff, v49
	v_pk_fma_f16 v177, v32, v179, v45
	v_pk_fma_f16 v178, v185, v179, v46
	;; [unrolled: 1-line block ×3, first 2 shown]
	s_delay_alu instid0(VALU_DEP_4) | instskip(NEXT) | instid1(VALU_DEP_1)
	v_mul_u32_u24_e32 v47, 0x10001, v44
	v_pk_fma_f16 v44, v184, v47, v180
	v_add_co_u32 v180, vcc_lo, v137, s8
	v_pk_fma_f16 v45, v32, v47, v181
	s_wait_alu 0xfffd
	v_add_co_ci_u32_e64 v181, null, 0, v108, vcc_lo
	v_pk_fma_f16 v46, v185, v47, v182
	v_pk_fma_f16 v47, v48, v47, v183
	v_mov_b32_e32 v108, v59
	global_load_b32 v32, v[180:181], off
	v_add_co_u32 v180, vcc_lo, v222, s8
	s_wait_alu 0xfffd
	v_add_co_ci_u32_e64 v181, null, 0, v138, vcc_lo
	global_load_u16 v48, v[180:181], off
	s_clause 0x3
	scratch_load_b32 v250, off, off offset:1112 th:TH_LOAD_LU
	scratch_load_b32 v147, off, off offset:1108 th:TH_LOAD_LU
	scratch_load_b32 v6, off, off offset:1104 th:TH_LOAD_LU
	scratch_load_b32 v1, off, off offset:1100 th:TH_LOAD_LU
	ds_store_b128 v127, v[176:179]
	ds_store_b128 v127, v[44:47] offset:16
	v_mov_b32_e32 v138, v204
	s_wait_loadcnt 0x5
	v_ashrrev_i32_e32 v32, v175, v32
	s_wait_loadcnt 0x4
	v_mul_u32_u24_e32 v48, 0x10001, v48
	s_wait_loadcnt 0x3
	v_add_co_u32 v180, vcc_lo, v250, s8
	s_wait_loadcnt 0x2
	s_wait_alu 0xfffd
	v_add_co_ci_u32_e64 v181, null, 0, v147, vcc_lo
	s_wait_loadcnt 0x0
	v_mov_b32_e32 v248, v1
	v_and_b32_e32 v32, 0xf0f0f0f, v32
	global_load_b32 v182, v[180:181], off
	v_add_co_u32 v180, vcc_lo, v6, s8
	s_wait_alu 0xfffd
	v_add_co_ci_u32_e64 v181, null, 0, v154, vcc_lo
	v_mov_b32_e32 v247, v248
	v_and_b32_e32 v183, 0xf00, v32
	global_load_u16 v180, v[180:181], off
	v_lshlrev_b16 v181, 8, v32
	v_lshrrev_b32_e32 v32, 16, v32
	s_delay_alu instid0(VALU_DEP_2) | instskip(NEXT) | instid1(VALU_DEP_1)
	v_add_nc_u16 v181, 0xf800, v181
	v_lshrrev_b16 v181, 8, v181
	s_delay_alu instid0(VALU_DEP_1) | instskip(NEXT) | instid1(VALU_DEP_4)
	v_or_b32_e32 v181, v183, v181
	v_lshlrev_b16 v183, 8, v32
	v_and_b32_e32 v32, 0xf00, v32
	s_delay_alu instid0(VALU_DEP_3) | instskip(NEXT) | instid1(VALU_DEP_3)
	v_add_nc_u16 v181, 0xf800, v181
	v_add_nc_u16 v183, 0xf800, v183
	s_delay_alu instid0(VALU_DEP_1) | instskip(NEXT) | instid1(VALU_DEP_1)
	v_lshrrev_b16 v183, 8, v183
	v_or_b32_e32 v32, v32, v183
	s_delay_alu instid0(VALU_DEP_4) | instskip(SKIP_1) | instid1(VALU_DEP_3)
	v_lshrrev_b32_e32 v183, 8, v181
	v_bfe_i32 v181, v181, 0, 8
	v_add_nc_u16 v32, 0xf800, v32
	s_delay_alu instid0(VALU_DEP_3) | instskip(NEXT) | instid1(VALU_DEP_3)
	v_bfe_i32 v183, v183, 0, 8
	v_cvt_f16_i16_e64 v181, v181
	s_delay_alu instid0(VALU_DEP_2) | instskip(NEXT) | instid1(VALU_DEP_1)
	v_cvt_f16_i16_e64 v183, v183
	v_pack_b32_f16 v181, v181, v183
	v_lshrrev_b32_e32 v183, 8, v32
	v_bfe_i32 v32, v32, 0, 8
	s_delay_alu instid0(VALU_DEP_3) | instskip(NEXT) | instid1(VALU_DEP_3)
	v_pk_mul_f16 v184, v181, v48
	v_bfe_i32 v183, v183, 0, 8
	s_delay_alu instid0(VALU_DEP_3) | instskip(NEXT) | instid1(VALU_DEP_2)
	v_cvt_f16_i16_e32 v32, v32
	v_cvt_f16_i16_e64 v183, v183
	s_delay_alu instid0(VALU_DEP_1) | instskip(NEXT) | instid1(VALU_DEP_1)
	v_pack_b32_f16 v32, v32, v183
	v_pk_mul_f16 v32, v32, v48
	s_wait_loadcnt 0x1
	v_ashrrev_i32_e32 v48, v175, v182
	s_delay_alu instid0(VALU_DEP_1) | instskip(SKIP_2) | instid1(VALU_DEP_2)
	v_and_b32_e32 v48, 0xf0f0f0f, v48
	s_wait_loadcnt 0x0
	v_mul_u32_u24_e32 v180, 0x10001, v180
	v_lshlrev_b16 v181, 8, v48
	v_and_b32_e32 v182, 0xf00, v48
	v_lshrrev_b32_e32 v48, 16, v48
	s_delay_alu instid0(VALU_DEP_3) | instskip(NEXT) | instid1(VALU_DEP_1)
	v_add_nc_u16 v181, 0xf800, v181
	v_lshrrev_b16 v181, 8, v181
	s_delay_alu instid0(VALU_DEP_1) | instskip(NEXT) | instid1(VALU_DEP_4)
	v_or_b32_e32 v181, v182, v181
	v_lshlrev_b16 v182, 8, v48
	v_and_b32_e32 v48, 0xf00, v48
	s_delay_alu instid0(VALU_DEP_3) | instskip(NEXT) | instid1(VALU_DEP_3)
	v_add_nc_u16 v181, 0xf800, v181
	v_add_nc_u16 v182, 0xf800, v182
	s_delay_alu instid0(VALU_DEP_1) | instskip(NEXT) | instid1(VALU_DEP_1)
	v_lshrrev_b16 v182, 8, v182
	v_or_b32_e32 v48, v48, v182
	s_delay_alu instid0(VALU_DEP_4) | instskip(SKIP_1) | instid1(VALU_DEP_3)
	v_lshrrev_b32_e32 v182, 8, v181
	v_bfe_i32 v181, v181, 0, 8
	v_add_nc_u16 v48, 0xf800, v48
	s_delay_alu instid0(VALU_DEP_3) | instskip(NEXT) | instid1(VALU_DEP_3)
	v_bfe_i32 v182, v182, 0, 8
	v_cvt_f16_i16_e64 v181, v181
	s_delay_alu instid0(VALU_DEP_2) | instskip(NEXT) | instid1(VALU_DEP_1)
	v_cvt_f16_i16_e64 v182, v182
	v_pack_b32_f16 v181, v181, v182
	v_lshrrev_b32_e32 v182, 8, v48
	v_bfe_i32 v48, v48, 0, 8
	s_delay_alu instid0(VALU_DEP_3) | instskip(NEXT) | instid1(VALU_DEP_3)
	v_pk_mul_f16 v185, v181, v180
	v_bfe_i32 v182, v182, 0, 8
	s_delay_alu instid0(VALU_DEP_3) | instskip(SKIP_1) | instid1(VALU_DEP_3)
	v_cvt_f16_i16_e32 v48, v48
	v_pk_fma_f16 v181, v32, v33, v177
	v_cvt_f16_i16_e64 v182, v182
	s_delay_alu instid0(VALU_DEP_1) | instskip(SKIP_1) | instid1(VALU_DEP_2)
	v_pack_b32_f16 v48, v48, v182
	v_pk_fma_f16 v182, v185, v33, v178
	v_pk_mul_f16 v48, v48, v180
	v_pk_fma_f16 v180, v184, v33, v176
	s_delay_alu instid0(VALU_DEP_2) | instskip(SKIP_1) | instid1(VALU_DEP_1)
	v_pk_fma_f16 v183, v48, v33, v179
	v_lshrrev_b32_e32 v33, 16, v49
	v_mul_u32_u24_e32 v33, 0x10001, v33
	s_delay_alu instid0(VALU_DEP_1)
	v_pk_fma_f16 v177, v32, v33, v45
	v_add_co_u32 v32, vcc_lo, v17, s8
	v_pk_fma_f16 v176, v184, v33, v44
	v_pk_fma_f16 v178, v185, v33, v46
	;; [unrolled: 1-line block ×3, first 2 shown]
	s_wait_alu 0xfffd
	v_add_co_ci_u32_e64 v33, null, 0, v1, vcc_lo
	global_load_b32 v44, v[32:33], off
	s_clause 0x1
	scratch_load_b32 v1, off, off offset:1096 th:TH_LOAD_LU
	scratch_load_b32 v59, off, off offset:1284 th:TH_LOAD_LU
	v_dual_mov_b32 v185, v146 :: v_dual_mov_b32 v146, v144
	ds_store_b128 v127, v[180:183]
	ds_store_b128 v127, v[176:179] offset:16
	s_clause 0x6
	scratch_load_b32 v96, off, off offset:1228 th:TH_LOAD_LU
	scratch_load_b32 v3, off, off offset:1072 th:TH_LOAD_LU
	scratch_load_b32 v55, off, off offset:1052 th:TH_LOAD_LU
	scratch_load_b32 v106, off, off offset:1064 th:TH_LOAD_LU
	scratch_load_b32 v112, off, off offset:1056 th:TH_LOAD_LU
	scratch_load_b32 v126, off, off offset:1076 th:TH_LOAD_LU
	scratch_load_b32 v95, off, off offset:1116 th:TH_LOAD_LU
	v_mov_b32_e32 v144, v222
	v_mov_b32_e32 v222, v122
	;; [unrolled: 1-line block ×3, first 2 shown]
	scratch_load_b32 v87, off, off offset:1120 th:TH_LOAD_LU ; 4-byte Folded Reload
	s_wait_loadcnt 0x9
	v_add_co_u32 v32, vcc_lo, v1, s8
	v_mov_b32_e32 v251, v1
	scratch_load_b32 v1, off, off offset:1092 th:TH_LOAD_LU ; 4-byte Folded Reload
	v_dual_mov_b32 v248, v251 :: v_dual_mov_b32 v251, v147
	v_dual_mov_b32 v147, v172 :: v_dual_mov_b32 v172, v136
	s_wait_loadcnt 0x7
	v_dual_mov_b32 v136, v195 :: v_dual_mov_b32 v107, v3
	s_delay_alu instid0(VALU_DEP_1)
	v_dual_mov_b32 v195, v218 :: v_dual_mov_b32 v104, v107
	v_mov_b32_e32 v107, v109
	s_wait_loadcnt 0x0
	s_wait_alu 0xfffd
	v_add_co_ci_u32_e64 v33, null, 0, v1, vcc_lo
	v_mov_b32_e32 v252, v1
	scratch_load_b32 v1, off, off offset:1088 th:TH_LOAD_LU ; 4-byte Folded Reload
	global_load_u16 v45, v[32:33], off
	v_add_co_u32 v32, vcc_lo, v227, s8
	s_wait_alu 0xfffd
	v_add_co_ci_u32_e64 v33, null, 0, v0, vcc_lo
	global_load_b32 v46, v[32:33], off
	v_add_co_u32 v32, vcc_lo, v204, s8
	s_wait_alu 0xfffd
	v_add_co_ci_u32_e64 v33, null, 0, v245, vcc_lo
	v_mov_b32_e32 v204, v24
	global_load_u16 v32, v[32:33], off
	v_ashrrev_i32_e32 v33, v175, v44
	s_delay_alu instid0(VALU_DEP_1) | instskip(NEXT) | instid1(VALU_DEP_1)
	v_and_b32_e32 v33, 0xf0f0f0f, v33
	v_lshlrev_b16 v44, 8, v33
	v_and_b32_e32 v47, 0xf00, v33
	v_lshrrev_b32_e32 v33, 16, v33
	s_delay_alu instid0(VALU_DEP_3) | instskip(NEXT) | instid1(VALU_DEP_1)
	v_add_nc_u16 v44, 0xf800, v44
	v_lshrrev_b16 v44, 8, v44
	s_delay_alu instid0(VALU_DEP_1) | instskip(NEXT) | instid1(VALU_DEP_4)
	v_or_b32_e32 v44, v47, v44
	v_lshlrev_b16 v47, 8, v33
	v_and_b32_e32 v33, 0xf00, v33
	s_delay_alu instid0(VALU_DEP_3) | instskip(NEXT) | instid1(VALU_DEP_3)
	v_add_nc_u16 v44, 0xf800, v44
	v_add_nc_u16 v47, 0xf800, v47
	s_delay_alu instid0(VALU_DEP_1) | instskip(NEXT) | instid1(VALU_DEP_1)
	v_lshrrev_b16 v47, 8, v47
	v_or_b32_e32 v33, v33, v47
	s_delay_alu instid0(VALU_DEP_4) | instskip(SKIP_1) | instid1(VALU_DEP_3)
	v_lshrrev_b32_e32 v47, 8, v44
	v_bfe_i32 v44, v44, 0, 8
	v_add_nc_u16 v33, 0xf800, v33
	s_delay_alu instid0(VALU_DEP_3) | instskip(NEXT) | instid1(VALU_DEP_3)
	v_bfe_i32 v47, v47, 0, 8
	v_cvt_f16_i16_e32 v44, v44
	s_delay_alu instid0(VALU_DEP_2) | instskip(NEXT) | instid1(VALU_DEP_1)
	v_cvt_f16_i16_e32 v47, v47
	v_pack_b32_f16 v44, v44, v47
	v_lshrrev_b32_e32 v47, 8, v33
	v_bfe_i32 v33, v33, 0, 8
	s_delay_alu instid0(VALU_DEP_2) | instskip(NEXT) | instid1(VALU_DEP_2)
	v_bfe_i32 v47, v47, 0, 8
	v_cvt_f16_i16_e32 v33, v33
	s_delay_alu instid0(VALU_DEP_2) | instskip(NEXT) | instid1(VALU_DEP_1)
	v_cvt_f16_i16_e32 v47, v47
	v_pack_b32_f16 v33, v33, v47
	s_wait_loadcnt 0x3
	v_mov_b32_e32 v141, v1
	s_wait_loadcnt 0x2
	v_mul_u32_u24_e32 v45, 0x10001, v45
	s_delay_alu instid0(VALU_DEP_1) | instskip(SKIP_3) | instid1(VALU_DEP_1)
	v_pk_mul_f16 v48, v44, v45
	v_pk_mul_f16 v33, v33, v45
	s_wait_loadcnt 0x1
	v_ashrrev_i32_e32 v44, v175, v46
	v_and_b32_e32 v44, 0xf0f0f0f, v44
	s_wait_loadcnt 0x0
	v_mul_u32_u24_e32 v32, 0x10001, v32
	s_delay_alu instid0(VALU_DEP_2) | instskip(SKIP_2) | instid1(VALU_DEP_3)
	v_lshlrev_b16 v45, 8, v44
	v_and_b32_e32 v46, 0xf00, v44
	v_lshrrev_b32_e32 v44, 16, v44
	v_add_nc_u16 v45, 0xf800, v45
	s_delay_alu instid0(VALU_DEP_1) | instskip(NEXT) | instid1(VALU_DEP_1)
	v_lshrrev_b16 v45, 8, v45
	v_or_b32_e32 v45, v46, v45
	s_delay_alu instid0(VALU_DEP_4) | instskip(SKIP_1) | instid1(VALU_DEP_3)
	v_lshlrev_b16 v46, 8, v44
	v_and_b32_e32 v44, 0xf00, v44
	v_add_nc_u16 v45, 0xf800, v45
	s_delay_alu instid0(VALU_DEP_3) | instskip(NEXT) | instid1(VALU_DEP_1)
	v_add_nc_u16 v46, 0xf800, v46
	v_lshrrev_b16 v46, 8, v46
	s_delay_alu instid0(VALU_DEP_1) | instskip(NEXT) | instid1(VALU_DEP_4)
	v_or_b32_e32 v44, v44, v46
	v_lshrrev_b32_e32 v46, 8, v45
	v_bfe_i32 v45, v45, 0, 8
	s_delay_alu instid0(VALU_DEP_3) | instskip(NEXT) | instid1(VALU_DEP_3)
	v_add_nc_u16 v44, 0xf800, v44
	v_bfe_i32 v46, v46, 0, 8
	s_delay_alu instid0(VALU_DEP_3) | instskip(NEXT) | instid1(VALU_DEP_2)
	v_cvt_f16_i16_e32 v45, v45
	v_cvt_f16_i16_e32 v46, v46
	s_delay_alu instid0(VALU_DEP_1) | instskip(SKIP_2) | instid1(VALU_DEP_3)
	v_pack_b32_f16 v45, v45, v46
	v_lshrrev_b32_e32 v46, 8, v44
	v_bfe_i32 v44, v44, 0, 8
	v_pk_mul_f16 v49, v45, v32
	s_delay_alu instid0(VALU_DEP_3) | instskip(NEXT) | instid1(VALU_DEP_3)
	v_bfe_i32 v46, v46, 0, 8
	v_cvt_f16_i16_e32 v44, v44
	s_delay_alu instid0(VALU_DEP_2) | instskip(NEXT) | instid1(VALU_DEP_1)
	v_cvt_f16_i16_e32 v46, v46
	v_pack_b32_f16 v44, v44, v46
	s_delay_alu instid0(VALU_DEP_1) | instskip(SKIP_2) | instid1(VALU_DEP_2)
	v_pk_mul_f16 v32, v44, v32
	v_and_b32_e32 v44, 0xffff, v34
	v_lshrrev_b32_e32 v34, 16, v34
	v_mul_u32_u24_e32 v47, 0x10001, v44
	s_delay_alu instid0(VALU_DEP_2) | instskip(NEXT) | instid1(VALU_DEP_2)
	v_mul_u32_u24_e32 v34, 0x10001, v34
	v_pk_fma_f16 v44, v48, v47, v180
	v_and_b32_e32 v180, 0xffff, v50
	v_pk_fma_f16 v45, v33, v47, v181
	v_pk_fma_f16 v46, v49, v47, v182
	;; [unrolled: 1-line block ×3, first 2 shown]
	s_delay_alu instid0(VALU_DEP_4) | instskip(NEXT) | instid1(VALU_DEP_1)
	v_mul_u32_u24_e32 v183, 0x10001, v180
	v_pk_fma_f16 v180, v48, v183, v176
	v_pk_fma_f16 v181, v33, v183, v177
	;; [unrolled: 1-line block ×4, first 2 shown]
	v_add_co_u32 v32, vcc_lo, v134, s8
	s_wait_alu 0xfffd
	v_add_co_ci_u32_e64 v33, null, 0, v128, vcc_lo
	ds_store_b128 v127, v[44:47]
	ds_store_b128 v127, v[180:183] offset:16
	v_mov_b32_e32 v134, v141
	global_load_b32 v48, v[32:33], off
	v_add_co_u32 v32, vcc_lo, v135, s8
	s_wait_alu 0xfffd
	v_add_co_ci_u32_e64 v33, null, 0, v125, vcc_lo
	v_dual_mov_b32 v141, v0 :: v_dual_mov_b32 v0, v10
	v_mov_b32_e32 v128, v53
	global_load_u16 v49, v[32:33], off
	v_add_co_u32 v32, vcc_lo, v123, s8
	s_wait_alu 0xfffd
	v_add_co_ci_u32_e64 v33, null, 0, v243, vcc_lo
	v_mov_b32_e32 v123, v111
	global_load_b32 v176, v[32:33], off
	v_add_co_u32 v32, vcc_lo, v133, s8
	s_wait_alu 0xfffd
	v_add_co_ci_u32_e64 v33, null, 0, v1, vcc_lo
	scratch_load_b32 v1, off, off offset:1060 th:TH_LOAD_LU ; 4-byte Folded Reload
	global_load_u16 v32, v[32:33], off
	s_wait_loadcnt 0x4
	v_ashrrev_i32_e32 v33, v175, v48
	s_delay_alu instid0(VALU_DEP_1) | instskip(SKIP_2) | instid1(VALU_DEP_2)
	v_and_b32_e32 v33, 0xf0f0f0f, v33
	s_wait_loadcnt 0x3
	v_mul_u32_u24_e32 v49, 0x10001, v49
	v_lshlrev_b16 v48, 8, v33
	v_and_b32_e32 v177, 0xf00, v33
	v_lshrrev_b32_e32 v33, 16, v33
	s_delay_alu instid0(VALU_DEP_3) | instskip(NEXT) | instid1(VALU_DEP_1)
	v_add_nc_u16 v48, 0xf800, v48
	v_lshrrev_b16 v48, 8, v48
	s_wait_loadcnt 0x1
	v_mov_b32_e32 v242, v1
	s_wait_loadcnt 0x0
	v_mul_u32_u24_e32 v32, 0x10001, v32
	v_or_b32_e32 v48, v177, v48
	v_lshlrev_b16 v177, 8, v33
	v_and_b32_e32 v33, 0xf00, v33
	s_delay_alu instid0(VALU_DEP_3) | instskip(NEXT) | instid1(VALU_DEP_3)
	v_add_nc_u16 v48, 0xf800, v48
	v_add_nc_u16 v177, 0xf800, v177
	s_delay_alu instid0(VALU_DEP_1) | instskip(NEXT) | instid1(VALU_DEP_1)
	v_lshrrev_b16 v177, 8, v177
	v_or_b32_e32 v33, v33, v177
	s_delay_alu instid0(VALU_DEP_4) | instskip(SKIP_1) | instid1(VALU_DEP_3)
	v_lshrrev_b32_e32 v177, 8, v48
	v_bfe_i32 v48, v48, 0, 8
	v_add_nc_u16 v33, 0xf800, v33
	s_delay_alu instid0(VALU_DEP_3) | instskip(NEXT) | instid1(VALU_DEP_3)
	v_bfe_i32 v177, v177, 0, 8
	v_cvt_f16_i16_e32 v48, v48
	s_delay_alu instid0(VALU_DEP_2) | instskip(NEXT) | instid1(VALU_DEP_1)
	v_cvt_f16_i16_e64 v177, v177
	v_pack_b32_f16 v48, v48, v177
	v_lshrrev_b32_e32 v177, 8, v33
	v_bfe_i32 v33, v33, 0, 8
	s_delay_alu instid0(VALU_DEP_3) | instskip(NEXT) | instid1(VALU_DEP_3)
	v_pk_mul_f16 v48, v48, v49
	v_bfe_i32 v177, v177, 0, 8
	s_delay_alu instid0(VALU_DEP_3) | instskip(NEXT) | instid1(VALU_DEP_2)
	v_cvt_f16_i16_e32 v33, v33
	v_cvt_f16_i16_e64 v177, v177
	s_delay_alu instid0(VALU_DEP_1) | instskip(NEXT) | instid1(VALU_DEP_1)
	v_pack_b32_f16 v33, v33, v177
	v_pk_mul_f16 v33, v33, v49
	v_ashrrev_i32_e32 v49, v175, v176
	s_delay_alu instid0(VALU_DEP_1) | instskip(NEXT) | instid1(VALU_DEP_1)
	v_and_b32_e32 v49, 0xf0f0f0f, v49
	v_lshlrev_b16 v176, 8, v49
	v_and_b32_e32 v177, 0xf00, v49
	v_lshrrev_b32_e32 v49, 16, v49
	s_delay_alu instid0(VALU_DEP_3) | instskip(NEXT) | instid1(VALU_DEP_1)
	v_add_nc_u16 v176, 0xf800, v176
	v_lshrrev_b16 v176, 8, v176
	s_delay_alu instid0(VALU_DEP_1) | instskip(NEXT) | instid1(VALU_DEP_4)
	v_or_b32_e32 v176, v177, v176
	v_lshlrev_b16 v177, 8, v49
	v_and_b32_e32 v49, 0xf00, v49
	s_delay_alu instid0(VALU_DEP_3) | instskip(NEXT) | instid1(VALU_DEP_3)
	v_add_nc_u16 v176, 0xf800, v176
	v_add_nc_u16 v177, 0xf800, v177
	s_delay_alu instid0(VALU_DEP_1) | instskip(NEXT) | instid1(VALU_DEP_1)
	v_lshrrev_b16 v177, 8, v177
	v_or_b32_e32 v49, v49, v177
	s_delay_alu instid0(VALU_DEP_4) | instskip(SKIP_1) | instid1(VALU_DEP_3)
	v_lshrrev_b32_e32 v177, 8, v176
	v_bfe_i32 v176, v176, 0, 8
	v_add_nc_u16 v49, 0xf800, v49
	s_delay_alu instid0(VALU_DEP_3) | instskip(NEXT) | instid1(VALU_DEP_3)
	v_bfe_i32 v177, v177, 0, 8
	v_cvt_f16_i16_e64 v176, v176
	s_delay_alu instid0(VALU_DEP_2) | instskip(NEXT) | instid1(VALU_DEP_1)
	v_cvt_f16_i16_e64 v177, v177
	v_pack_b32_f16 v176, v176, v177
	v_lshrrev_b32_e32 v177, 8, v49
	v_bfe_i32 v49, v49, 0, 8
	s_delay_alu instid0(VALU_DEP_3) | instskip(NEXT) | instid1(VALU_DEP_3)
	v_pk_mul_f16 v184, v176, v32
	v_bfe_i32 v177, v177, 0, 8
	s_delay_alu instid0(VALU_DEP_3) | instskip(SKIP_1) | instid1(VALU_DEP_4)
	v_cvt_f16_i16_e32 v49, v49
	v_pk_fma_f16 v176, v48, v34, v44
	v_pk_fma_f16 v178, v184, v34, v46
	s_delay_alu instid0(VALU_DEP_4) | instskip(NEXT) | instid1(VALU_DEP_1)
	v_cvt_f16_i16_e64 v177, v177
	v_pack_b32_f16 v49, v49, v177
	v_pk_fma_f16 v177, v33, v34, v45
	s_delay_alu instid0(VALU_DEP_2) | instskip(NEXT) | instid1(VALU_DEP_1)
	v_pk_mul_f16 v32, v49, v32
	v_pk_fma_f16 v179, v32, v34, v47
	v_lshrrev_b32_e32 v34, 16, v50
	s_delay_alu instid0(VALU_DEP_1) | instskip(NEXT) | instid1(VALU_DEP_1)
	v_mul_u32_u24_e32 v34, 0x10001, v34
	v_pk_fma_f16 v47, v32, v34, v183
	v_add_co_u32 v32, vcc_lo, v89, s8
	v_pk_fma_f16 v45, v33, v34, v181
	s_wait_alu 0xfffd
	v_add_co_ci_u32_e64 v33, null, 0, v130, vcc_lo
	v_pk_fma_f16 v44, v48, v34, v180
	v_pk_fma_f16 v46, v184, v34, v182
	ds_store_b128 v127, v[176:179]
	global_load_b32 v34, v[32:33], off
	v_add_co_u32 v32, vcc_lo, v120, s8
	s_wait_alu 0xfffd
	v_add_co_ci_u32_e64 v33, null, 0, v129, vcc_lo
	scratch_load_b32 v120, off, off offset:1224 th:TH_LOAD_LU ; 4-byte Folded Reload
	ds_store_b128 v127, v[44:47] offset:16
	v_mov_b32_e32 v129, v113
	global_load_u16 v48, v[32:33], off
	v_add_co_u32 v32, vcc_lo, v113, s8
	s_wait_alu 0xfffd
	v_add_co_ci_u32_e64 v33, null, 0, v1, vcc_lo
	scratch_load_b32 v1, off, off offset:1068 th:TH_LOAD_LU ; 4-byte Folded Reload
	v_mov_b32_e32 v113, v94
	v_mov_b32_e32 v89, v142
	global_load_b32 v49, v[32:33], off
	v_add_co_u32 v32, vcc_lo, v174, s8
	v_dual_mov_b32 v142, v125 :: v_dual_mov_b32 v125, v110
	v_dual_mov_b32 v184, v13 :: v_dual_mov_b32 v13, v90
	s_wait_loadcnt 0x2
	v_mul_u32_u24_e32 v48, 0x10001, v48
	s_wait_loadcnt 0x1
	s_wait_alu 0xfffd
	v_add_co_ci_u32_e64 v33, null, 0, v1, vcc_lo
	global_load_u16 v32, v[32:33], off
	v_ashrrev_i32_e32 v33, v175, v34
	s_delay_alu instid0(VALU_DEP_1) | instskip(NEXT) | instid1(VALU_DEP_1)
	v_and_b32_e32 v33, 0xf0f0f0f, v33
	v_lshlrev_b16 v34, 8, v33
	v_and_b32_e32 v50, 0xf00, v33
	v_lshrrev_b32_e32 v33, 16, v33
	s_delay_alu instid0(VALU_DEP_3) | instskip(NEXT) | instid1(VALU_DEP_1)
	v_add_nc_u16 v34, 0xf800, v34
	v_lshrrev_b16 v34, 8, v34
	s_delay_alu instid0(VALU_DEP_1) | instskip(NEXT) | instid1(VALU_DEP_4)
	v_or_b32_e32 v34, v50, v34
	v_lshlrev_b16 v50, 8, v33
	v_and_b32_e32 v33, 0xf00, v33
	s_delay_alu instid0(VALU_DEP_3) | instskip(NEXT) | instid1(VALU_DEP_3)
	v_add_nc_u16 v34, 0xf800, v34
	v_add_nc_u16 v50, 0xf800, v50
	s_delay_alu instid0(VALU_DEP_1) | instskip(NEXT) | instid1(VALU_DEP_1)
	v_lshrrev_b16 v50, 8, v50
	v_or_b32_e32 v33, v33, v50
	s_delay_alu instid0(VALU_DEP_4) | instskip(SKIP_1) | instid1(VALU_DEP_3)
	v_lshrrev_b32_e32 v50, 8, v34
	v_bfe_i32 v34, v34, 0, 8
	v_add_nc_u16 v33, 0xf800, v33
	s_delay_alu instid0(VALU_DEP_3) | instskip(NEXT) | instid1(VALU_DEP_3)
	v_bfe_i32 v50, v50, 0, 8
	v_cvt_f16_i16_e32 v34, v34
	s_delay_alu instid0(VALU_DEP_2) | instskip(NEXT) | instid1(VALU_DEP_1)
	v_cvt_f16_i16_e32 v50, v50
	v_pack_b32_f16 v34, v34, v50
	v_lshrrev_b32_e32 v50, 8, v33
	v_bfe_i32 v33, v33, 0, 8
	s_delay_alu instid0(VALU_DEP_3) | instskip(NEXT) | instid1(VALU_DEP_3)
	v_pk_mul_f16 v34, v34, v48
	v_bfe_i32 v50, v50, 0, 8
	s_delay_alu instid0(VALU_DEP_3) | instskip(NEXT) | instid1(VALU_DEP_2)
	v_cvt_f16_i16_e32 v33, v33
	v_cvt_f16_i16_e32 v50, v50
	s_delay_alu instid0(VALU_DEP_1) | instskip(NEXT) | instid1(VALU_DEP_1)
	v_pack_b32_f16 v33, v33, v50
	v_pk_mul_f16 v33, v33, v48
	s_wait_loadcnt 0x1
	v_ashrrev_i32_e32 v48, v175, v49
	s_delay_alu instid0(VALU_DEP_1) | instskip(NEXT) | instid1(VALU_DEP_1)
	v_and_b32_e32 v48, 0xf0f0f0f, v48
	v_lshlrev_b16 v49, 8, v48
	v_and_b32_e32 v50, 0xf00, v48
	v_lshrrev_b32_e32 v48, 16, v48
	s_delay_alu instid0(VALU_DEP_3) | instskip(NEXT) | instid1(VALU_DEP_1)
	v_add_nc_u16 v49, 0xf800, v49
	v_lshrrev_b16 v49, 8, v49
	s_delay_alu instid0(VALU_DEP_1) | instskip(NEXT) | instid1(VALU_DEP_4)
	v_or_b32_e32 v49, v50, v49
	v_lshlrev_b16 v50, 8, v48
	v_and_b32_e32 v48, 0xf00, v48
	s_delay_alu instid0(VALU_DEP_3) | instskip(NEXT) | instid1(VALU_DEP_3)
	v_add_nc_u16 v49, 0xf800, v49
	v_add_nc_u16 v50, 0xf800, v50
	s_delay_alu instid0(VALU_DEP_1) | instskip(NEXT) | instid1(VALU_DEP_1)
	v_lshrrev_b16 v50, 8, v50
	v_or_b32_e32 v48, v48, v50
	s_delay_alu instid0(VALU_DEP_4) | instskip(SKIP_1) | instid1(VALU_DEP_3)
	v_lshrrev_b32_e32 v50, 8, v49
	v_bfe_i32 v49, v49, 0, 8
	v_add_nc_u16 v48, 0xf800, v48
	s_delay_alu instid0(VALU_DEP_3) | instskip(NEXT) | instid1(VALU_DEP_3)
	v_bfe_i32 v50, v50, 0, 8
	v_cvt_f16_i16_e32 v49, v49
	s_delay_alu instid0(VALU_DEP_2) | instskip(NEXT) | instid1(VALU_DEP_1)
	v_cvt_f16_i16_e32 v50, v50
	v_pack_b32_f16 v49, v49, v50
	v_lshrrev_b32_e32 v50, 8, v48
	v_bfe_i32 v48, v48, 0, 8
	s_delay_alu instid0(VALU_DEP_2) | instskip(NEXT) | instid1(VALU_DEP_2)
	v_bfe_i32 v50, v50, 0, 8
	v_cvt_f16_i16_e32 v48, v48
	s_delay_alu instid0(VALU_DEP_2) | instskip(NEXT) | instid1(VALU_DEP_1)
	v_cvt_f16_i16_e32 v50, v50
	v_pack_b32_f16 v48, v48, v50
	s_wait_loadcnt 0x0
	v_mul_u32_u24_e32 v32, 0x10001, v32
	s_delay_alu instid0(VALU_DEP_1) | instskip(NEXT) | instid1(VALU_DEP_3)
	v_pk_mul_f16 v49, v49, v32
	v_pk_mul_f16 v32, v48, v32
	v_and_b32_e32 v48, 0xffff, v35
	s_delay_alu instid0(VALU_DEP_1) | instskip(NEXT) | instid1(VALU_DEP_1)
	v_mul_u32_u24_e32 v48, 0x10001, v48
	v_pk_fma_f16 v180, v34, v48, v176
	v_pk_fma_f16 v181, v33, v48, v177
	;; [unrolled: 1-line block ×4, first 2 shown]
	v_and_b32_e32 v48, 0xffff, v51
	s_delay_alu instid0(VALU_DEP_1) | instskip(NEXT) | instid1(VALU_DEP_1)
	v_mul_u32_u24_e32 v48, 0x10001, v48
	v_pk_fma_f16 v179, v32, v48, v47
	v_add_co_u32 v32, vcc_lo, v120, s8
	v_pk_fma_f16 v177, v33, v48, v45
	s_wait_alu 0xfffd
	v_add_co_ci_u32_e64 v33, null, 0, v53, vcc_lo
	v_pk_fma_f16 v176, v34, v48, v44
	v_lshrrev_b32_e32 v34, 16, v35
	v_pk_fma_f16 v178, v49, v48, v46
	global_load_b32 v35, v[32:33], off
	v_add_co_u32 v32, vcc_lo, v55, s8
	s_wait_alu 0xfffd
	v_add_co_ci_u32_e64 v33, null, 0, v126, vcc_lo
	ds_store_b128 v127, v[180:183]
	ds_store_b128 v127, v[176:179] offset:16
	global_load_u16 v44, v[32:33], off
	v_add_co_u32 v32, vcc_lo, v108, s8
	s_wait_alu 0xfffd
	v_add_co_ci_u32_e64 v33, null, 0, v110, vcc_lo
	v_mov_b32_e32 v110, v93
	global_load_b32 v45, v[32:33], off
	v_add_co_u32 v32, vcc_lo, v30, s8
	s_wait_alu 0xfffd
	v_add_co_ci_u32_e64 v33, null, 0, v31, vcc_lo
	v_dual_mov_b32 v109, v110 :: v_dual_mov_b32 v110, v125
	v_mov_b32_e32 v125, v1
	global_load_u16 v32, v[32:33], off
	v_mov_b32_e32 v1, v52
	s_wait_loadcnt 0x3
	v_ashrrev_i32_e32 v33, v175, v35
	s_delay_alu instid0(VALU_DEP_1) | instskip(SKIP_2) | instid1(VALU_DEP_2)
	v_and_b32_e32 v33, 0xf0f0f0f, v33
	s_wait_loadcnt 0x2
	v_mul_u32_u24_e32 v44, 0x10001, v44
	v_lshlrev_b16 v35, 8, v33
	v_and_b32_e32 v46, 0xf00, v33
	v_lshrrev_b32_e32 v33, 16, v33
	s_delay_alu instid0(VALU_DEP_3) | instskip(NEXT) | instid1(VALU_DEP_1)
	v_add_nc_u16 v35, 0xf800, v35
	v_lshrrev_b16 v35, 8, v35
	s_wait_loadcnt 0x0
	v_mul_u32_u24_e32 v32, 0x10001, v32
	s_delay_alu instid0(VALU_DEP_2) | instskip(SKIP_2) | instid1(VALU_DEP_3)
	v_or_b32_e32 v35, v46, v35
	v_lshlrev_b16 v46, 8, v33
	v_and_b32_e32 v33, 0xf00, v33
	v_add_nc_u16 v35, 0xf800, v35
	s_delay_alu instid0(VALU_DEP_3) | instskip(NEXT) | instid1(VALU_DEP_1)
	v_add_nc_u16 v46, 0xf800, v46
	v_lshrrev_b16 v46, 8, v46
	s_delay_alu instid0(VALU_DEP_1) | instskip(NEXT) | instid1(VALU_DEP_4)
	v_or_b32_e32 v33, v33, v46
	v_lshrrev_b32_e32 v46, 8, v35
	v_bfe_i32 v35, v35, 0, 8
	s_delay_alu instid0(VALU_DEP_3) | instskip(NEXT) | instid1(VALU_DEP_3)
	v_add_nc_u16 v33, 0xf800, v33
	v_bfe_i32 v46, v46, 0, 8
	s_delay_alu instid0(VALU_DEP_3) | instskip(NEXT) | instid1(VALU_DEP_2)
	v_cvt_f16_i16_e32 v35, v35
	v_cvt_f16_i16_e32 v46, v46
	s_delay_alu instid0(VALU_DEP_1) | instskip(SKIP_2) | instid1(VALU_DEP_2)
	v_pack_b32_f16 v35, v35, v46
	v_lshrrev_b32_e32 v46, 8, v33
	v_bfe_i32 v33, v33, 0, 8
	v_bfe_i32 v46, v46, 0, 8
	s_delay_alu instid0(VALU_DEP_2) | instskip(NEXT) | instid1(VALU_DEP_2)
	v_cvt_f16_i16_e32 v33, v33
	v_cvt_f16_i16_e32 v46, v46
	s_delay_alu instid0(VALU_DEP_1) | instskip(SKIP_1) | instid1(VALU_DEP_2)
	v_pack_b32_f16 v33, v33, v46
	v_pk_mul_f16 v46, v35, v44
	v_pk_mul_f16 v47, v33, v44
	v_ashrrev_i32_e32 v33, v175, v45
	s_delay_alu instid0(VALU_DEP_1) | instskip(NEXT) | instid1(VALU_DEP_1)
	v_and_b32_e32 v33, 0xf0f0f0f, v33
	v_lshlrev_b16 v35, 8, v33
	v_and_b32_e32 v44, 0xf00, v33
	v_lshrrev_b32_e32 v33, 16, v33
	s_delay_alu instid0(VALU_DEP_3) | instskip(NEXT) | instid1(VALU_DEP_1)
	v_add_nc_u16 v35, 0xf800, v35
	v_lshrrev_b16 v35, 8, v35
	s_delay_alu instid0(VALU_DEP_1) | instskip(NEXT) | instid1(VALU_DEP_4)
	v_or_b32_e32 v35, v44, v35
	v_lshlrev_b16 v44, 8, v33
	v_and_b32_e32 v33, 0xf00, v33
	s_delay_alu instid0(VALU_DEP_3) | instskip(NEXT) | instid1(VALU_DEP_3)
	v_add_nc_u16 v35, 0xf800, v35
	v_add_nc_u16 v44, 0xf800, v44
	s_delay_alu instid0(VALU_DEP_1) | instskip(NEXT) | instid1(VALU_DEP_1)
	v_lshrrev_b16 v44, 8, v44
	v_or_b32_e32 v33, v33, v44
	s_delay_alu instid0(VALU_DEP_4) | instskip(SKIP_1) | instid1(VALU_DEP_3)
	v_lshrrev_b32_e32 v44, 8, v35
	v_bfe_i32 v35, v35, 0, 8
	v_add_nc_u16 v33, 0xf800, v33
	s_delay_alu instid0(VALU_DEP_3) | instskip(NEXT) | instid1(VALU_DEP_3)
	v_bfe_i32 v44, v44, 0, 8
	v_cvt_f16_i16_e32 v35, v35
	s_delay_alu instid0(VALU_DEP_2) | instskip(NEXT) | instid1(VALU_DEP_1)
	v_cvt_f16_i16_e32 v44, v44
	v_pack_b32_f16 v35, v35, v44
	v_lshrrev_b32_e32 v44, 8, v33
	v_bfe_i32 v33, v33, 0, 8
	s_delay_alu instid0(VALU_DEP_3) | instskip(NEXT) | instid1(VALU_DEP_3)
	v_pk_mul_f16 v48, v35, v32
	v_bfe_i32 v44, v44, 0, 8
	s_delay_alu instid0(VALU_DEP_3) | instskip(SKIP_1) | instid1(VALU_DEP_3)
	v_cvt_f16_i16_e32 v33, v33
	v_mul_u32_u24_e32 v35, 0x10001, v34
	v_cvt_f16_i16_e32 v44, v44
	s_delay_alu instid0(VALU_DEP_2) | instskip(SKIP_1) | instid1(VALU_DEP_3)
	v_pk_fma_f16 v34, v48, v35, v182
	v_dual_mov_b32 v182, v215 :: v_dual_mov_b32 v215, v13
	v_pack_b32_f16 v33, v33, v44
	v_lshrrev_b32_e32 v44, 16, v51
	s_delay_alu instid0(VALU_DEP_2) | instskip(NEXT) | instid1(VALU_DEP_2)
	v_pk_mul_f16 v49, v33, v32
	v_mul_u32_u24_e32 v50, 0x10001, v44
	v_pk_fma_f16 v32, v46, v35, v180
	v_pk_fma_f16 v33, v47, v35, v181
	v_mov_b32_e32 v180, v226
	v_pk_fma_f16 v35, v49, v35, v183
	v_pk_fma_f16 v44, v46, v50, v176
	v_pk_fma_f16 v46, v48, v50, v178
	v_add_co_u32 v48, vcc_lo, v112, s8
	v_pk_fma_f16 v45, v47, v50, v177
	v_pk_fma_f16 v47, v49, v50, v179
	s_wait_alu 0xfffd
	v_add_co_ci_u32_e64 v49, null, 0, v111, vcc_lo
	ds_store_b128 v127, v[32:35]
	v_mov_b32_e32 v111, v92
	ds_store_b128 v127, v[44:47] offset:16
	global_load_b32 v50, v[48:49], off
	v_add_co_u32 v48, vcc_lo, v192, s8
	s_wait_alu 0xfffd
	v_add_co_ci_u32_e64 v49, null, 0, v116, vcc_lo
	v_dual_mov_b32 v226, v12 :: v_dual_mov_b32 v181, v25
	v_mov_b32_e32 v183, v205
	global_load_u16 v51, v[48:49], off
	v_add_co_u32 v48, vcc_lo, v132, s8
	s_wait_alu 0xfffd
	v_add_co_ci_u32_e64 v49, null, 0, v92, vcc_lo
	v_mov_b32_e32 v92, v61
	scratch_load_b32 v61, off, off offset:1080 th:TH_LOAD_LU ; 4-byte Folded Reload
	global_load_b32 v176, v[48:49], off
	v_add_co_u32 v48, vcc_lo, v93, s8
	s_wait_alu 0xfffd
	v_add_co_ci_u32_e64 v49, null, 0, v94, vcc_lo
	scratch_load_b32 v93, off, off offset:1236 th:TH_LOAD_LU ; 4-byte Folded Reload
	global_load_u16 v48, v[48:49], off
	s_wait_loadcnt 0x5
	v_ashrrev_i32_e32 v49, v175, v50
	s_delay_alu instid0(VALU_DEP_1) | instskip(SKIP_2) | instid1(VALU_DEP_2)
	v_and_b32_e32 v49, 0xf0f0f0f, v49
	s_wait_loadcnt 0x4
	v_mul_u32_u24_e32 v51, 0x10001, v51
	v_lshlrev_b16 v50, 8, v49
	v_and_b32_e32 v177, 0xf00, v49
	v_lshrrev_b32_e32 v49, 16, v49
	s_delay_alu instid0(VALU_DEP_3) | instskip(NEXT) | instid1(VALU_DEP_1)
	v_add_nc_u16 v50, 0xf800, v50
	v_lshrrev_b16 v50, 8, v50
	s_wait_loadcnt 0x0
	v_mul_u32_u24_e32 v48, 0x10001, v48
	s_delay_alu instid0(VALU_DEP_2) | instskip(SKIP_2) | instid1(VALU_DEP_3)
	v_or_b32_e32 v50, v177, v50
	v_lshlrev_b16 v177, 8, v49
	v_and_b32_e32 v49, 0xf00, v49
	v_add_nc_u16 v50, 0xf800, v50
	s_delay_alu instid0(VALU_DEP_3) | instskip(NEXT) | instid1(VALU_DEP_1)
	v_add_nc_u16 v177, 0xf800, v177
	v_lshrrev_b16 v177, 8, v177
	s_delay_alu instid0(VALU_DEP_1) | instskip(NEXT) | instid1(VALU_DEP_4)
	v_or_b32_e32 v49, v49, v177
	v_lshrrev_b32_e32 v177, 8, v50
	v_bfe_i32 v50, v50, 0, 8
	s_delay_alu instid0(VALU_DEP_3) | instskip(NEXT) | instid1(VALU_DEP_3)
	v_add_nc_u16 v49, 0xf800, v49
	v_bfe_i32 v177, v177, 0, 8
	s_delay_alu instid0(VALU_DEP_3) | instskip(NEXT) | instid1(VALU_DEP_2)
	v_cvt_f16_i16_e32 v50, v50
	v_cvt_f16_i16_e64 v177, v177
	s_delay_alu instid0(VALU_DEP_1) | instskip(SKIP_2) | instid1(VALU_DEP_2)
	v_pack_b32_f16 v50, v50, v177
	v_lshrrev_b32_e32 v177, 8, v49
	v_bfe_i32 v49, v49, 0, 8
	v_bfe_i32 v177, v177, 0, 8
	s_delay_alu instid0(VALU_DEP_2) | instskip(NEXT) | instid1(VALU_DEP_2)
	v_cvt_f16_i16_e32 v49, v49
	v_cvt_f16_i16_e64 v177, v177
	s_delay_alu instid0(VALU_DEP_1) | instskip(SKIP_1) | instid1(VALU_DEP_2)
	v_pack_b32_f16 v49, v49, v177
	v_pk_mul_f16 v177, v50, v51
	v_pk_mul_f16 v178, v49, v51
	v_ashrrev_i32_e32 v49, v175, v176
	s_delay_alu instid0(VALU_DEP_1) | instskip(NEXT) | instid1(VALU_DEP_1)
	v_and_b32_e32 v49, 0xf0f0f0f, v49
	v_lshlrev_b16 v50, 8, v49
	v_and_b32_e32 v51, 0xf00, v49
	v_lshrrev_b32_e32 v49, 16, v49
	s_delay_alu instid0(VALU_DEP_3) | instskip(NEXT) | instid1(VALU_DEP_1)
	v_add_nc_u16 v50, 0xf800, v50
	v_lshrrev_b16 v50, 8, v50
	s_delay_alu instid0(VALU_DEP_1) | instskip(NEXT) | instid1(VALU_DEP_4)
	v_or_b32_e32 v50, v51, v50
	v_lshlrev_b16 v51, 8, v49
	v_and_b32_e32 v49, 0xf00, v49
	s_delay_alu instid0(VALU_DEP_3) | instskip(NEXT) | instid1(VALU_DEP_3)
	v_add_nc_u16 v50, 0xf800, v50
	v_add_nc_u16 v51, 0xf800, v51
	s_delay_alu instid0(VALU_DEP_1) | instskip(NEXT) | instid1(VALU_DEP_1)
	v_lshrrev_b16 v51, 8, v51
	v_or_b32_e32 v49, v49, v51
	s_delay_alu instid0(VALU_DEP_4) | instskip(SKIP_1) | instid1(VALU_DEP_3)
	v_lshrrev_b32_e32 v51, 8, v50
	v_bfe_i32 v50, v50, 0, 8
	v_add_nc_u16 v49, 0xf800, v49
	s_delay_alu instid0(VALU_DEP_3) | instskip(NEXT) | instid1(VALU_DEP_3)
	v_bfe_i32 v51, v51, 0, 8
	v_cvt_f16_i16_e32 v50, v50
	s_delay_alu instid0(VALU_DEP_2) | instskip(NEXT) | instid1(VALU_DEP_1)
	v_cvt_f16_i16_e32 v51, v51
	v_pack_b32_f16 v50, v50, v51
	v_lshrrev_b32_e32 v51, 8, v49
	v_bfe_i32 v49, v49, 0, 8
	s_delay_alu instid0(VALU_DEP_3) | instskip(NEXT) | instid1(VALU_DEP_3)
	v_pk_mul_f16 v176, v50, v48
	v_bfe_i32 v51, v51, 0, 8
	s_delay_alu instid0(VALU_DEP_3) | instskip(NEXT) | instid1(VALU_DEP_2)
	v_cvt_f16_i16_e32 v49, v49
	v_cvt_f16_i16_e32 v51, v51
	s_delay_alu instid0(VALU_DEP_1) | instskip(NEXT) | instid1(VALU_DEP_1)
	v_pack_b32_f16 v49, v49, v51
	v_pk_mul_f16 v179, v49, v48
	v_and_b32_e32 v48, 0xffff, v40
	v_lshrrev_b32_e32 v40, 16, v40
	s_delay_alu instid0(VALU_DEP_2) | instskip(NEXT) | instid1(VALU_DEP_2)
	v_mul_u32_u24_e32 v51, 0x10001, v48
	v_mul_u32_u24_e32 v40, 0x10001, v40
	s_delay_alu instid0(VALU_DEP_2)
	v_pk_fma_f16 v48, v177, v51, v32
	s_wait_dscnt 0x11
	v_and_b32_e32 v32, 0xffff, v36
	v_pk_fma_f16 v49, v178, v51, v33
	v_pk_fma_f16 v50, v176, v51, v34
	;; [unrolled: 1-line block ×3, first 2 shown]
	v_lshrrev_b32_e32 v36, 16, v36
	v_mul_u32_u24_e32 v35, 0x10001, v32
	s_delay_alu instid0(VALU_DEP_2) | instskip(NEXT) | instid1(VALU_DEP_2)
	v_mul_u32_u24_e32 v36, 0x10001, v36
	v_pk_fma_f16 v32, v177, v35, v44
	v_add_co_u32 v44, vcc_lo, v3, s8
	scratch_load_b32 v3, off, off offset:1244 th:TH_LOAD_LU ; 4-byte Folded Reload
	v_pk_fma_f16 v33, v178, v35, v45
	s_wait_alu 0xfffd
	v_add_co_ci_u32_e64 v45, null, 0, v58, vcc_lo
	v_pk_fma_f16 v34, v176, v35, v46
	v_pk_fma_f16 v35, v179, v35, v47
	ds_store_b128 v127, v[48:51]
	global_load_b32 v46, v[44:45], off
	v_add_co_u32 v44, vcc_lo, v106, s8
	s_wait_alu 0xfffd
	v_add_co_ci_u32_e64 v45, null, 0, v26, vcc_lo
	ds_store_b128 v127, v[32:35] offset:16
	global_load_u16 v47, v[44:45], off
	s_wait_loadcnt 0x2
	v_add_co_u32 v44, vcc_lo, v3, s8
	s_wait_alu 0xfffd
	v_add_co_ci_u32_e64 v45, null, 0, v101, vcc_lo
	v_mov_b32_e32 v94, v3
	scratch_load_b32 v3, off, off offset:1240 th:TH_LOAD_LU ; 4-byte Folded Reload
	global_load_b32 v176, v[44:45], off
	v_add_co_u32 v44, vcc_lo, v91, s8
	s_wait_alu 0xfffd
	v_add_co_ci_u32_e64 v45, null, 0, v100, vcc_lo
	v_mov_b32_e32 v91, v86
	global_load_u16 v44, v[44:45], off
	s_wait_loadcnt 0x4
	v_ashrrev_i32_e32 v45, v175, v46
	s_wait_loadcnt 0x3
	v_mul_u32_u24_e32 v47, 0x10001, v47
	s_delay_alu instid0(VALU_DEP_2) | instskip(NEXT) | instid1(VALU_DEP_1)
	v_and_b32_e32 v45, 0xf0f0f0f, v45
	v_lshlrev_b16 v46, 8, v45
	v_and_b32_e32 v177, 0xf00, v45
	v_lshrrev_b32_e32 v45, 16, v45
	s_delay_alu instid0(VALU_DEP_3) | instskip(NEXT) | instid1(VALU_DEP_1)
	v_add_nc_u16 v46, 0xf800, v46
	v_lshrrev_b16 v46, 8, v46
	s_delay_alu instid0(VALU_DEP_1) | instskip(NEXT) | instid1(VALU_DEP_4)
	v_or_b32_e32 v46, v177, v46
	v_lshlrev_b16 v177, 8, v45
	v_and_b32_e32 v45, 0xf00, v45
	s_delay_alu instid0(VALU_DEP_3) | instskip(NEXT) | instid1(VALU_DEP_3)
	v_add_nc_u16 v46, 0xf800, v46
	v_add_nc_u16 v177, 0xf800, v177
	s_delay_alu instid0(VALU_DEP_1) | instskip(NEXT) | instid1(VALU_DEP_1)
	v_lshrrev_b16 v177, 8, v177
	v_or_b32_e32 v45, v45, v177
	s_delay_alu instid0(VALU_DEP_4) | instskip(SKIP_1) | instid1(VALU_DEP_3)
	v_lshrrev_b32_e32 v177, 8, v46
	v_bfe_i32 v46, v46, 0, 8
	v_add_nc_u16 v45, 0xf800, v45
	s_delay_alu instid0(VALU_DEP_3) | instskip(NEXT) | instid1(VALU_DEP_3)
	v_bfe_i32 v177, v177, 0, 8
	v_cvt_f16_i16_e32 v46, v46
	s_delay_alu instid0(VALU_DEP_2) | instskip(NEXT) | instid1(VALU_DEP_1)
	v_cvt_f16_i16_e64 v177, v177
	v_pack_b32_f16 v46, v46, v177
	v_lshrrev_b32_e32 v177, 8, v45
	v_bfe_i32 v45, v45, 0, 8
	s_delay_alu instid0(VALU_DEP_2) | instskip(NEXT) | instid1(VALU_DEP_2)
	v_bfe_i32 v177, v177, 0, 8
	v_cvt_f16_i16_e32 v45, v45
	s_delay_alu instid0(VALU_DEP_2) | instskip(NEXT) | instid1(VALU_DEP_1)
	v_cvt_f16_i16_e64 v177, v177
	v_pack_b32_f16 v45, v45, v177
	v_pk_mul_f16 v177, v46, v47
	s_delay_alu instid0(VALU_DEP_2) | instskip(SKIP_2) | instid1(VALU_DEP_1)
	v_pk_mul_f16 v178, v45, v47
	s_wait_loadcnt 0x1
	v_ashrrev_i32_e32 v45, v175, v176
	v_and_b32_e32 v45, 0xf0f0f0f, v45
	s_wait_loadcnt 0x0
	v_mul_u32_u24_e32 v44, 0x10001, v44
	s_delay_alu instid0(VALU_DEP_2) | instskip(SKIP_2) | instid1(VALU_DEP_3)
	v_lshlrev_b16 v46, 8, v45
	v_and_b32_e32 v47, 0xf00, v45
	v_lshrrev_b32_e32 v45, 16, v45
	v_add_nc_u16 v46, 0xf800, v46
	s_delay_alu instid0(VALU_DEP_1) | instskip(NEXT) | instid1(VALU_DEP_1)
	v_lshrrev_b16 v46, 8, v46
	v_or_b32_e32 v46, v47, v46
	s_delay_alu instid0(VALU_DEP_4) | instskip(SKIP_1) | instid1(VALU_DEP_3)
	v_lshlrev_b16 v47, 8, v45
	v_and_b32_e32 v45, 0xf00, v45
	v_add_nc_u16 v46, 0xf800, v46
	s_delay_alu instid0(VALU_DEP_3) | instskip(NEXT) | instid1(VALU_DEP_1)
	v_add_nc_u16 v47, 0xf800, v47
	v_lshrrev_b16 v47, 8, v47
	s_delay_alu instid0(VALU_DEP_1) | instskip(NEXT) | instid1(VALU_DEP_4)
	v_or_b32_e32 v45, v45, v47
	v_lshrrev_b32_e32 v47, 8, v46
	v_bfe_i32 v46, v46, 0, 8
	s_delay_alu instid0(VALU_DEP_3) | instskip(NEXT) | instid1(VALU_DEP_3)
	v_add_nc_u16 v45, 0xf800, v45
	v_bfe_i32 v47, v47, 0, 8
	s_delay_alu instid0(VALU_DEP_3) | instskip(NEXT) | instid1(VALU_DEP_2)
	v_cvt_f16_i16_e32 v46, v46
	v_cvt_f16_i16_e32 v47, v47
	s_delay_alu instid0(VALU_DEP_1) | instskip(SKIP_2) | instid1(VALU_DEP_3)
	v_pack_b32_f16 v46, v46, v47
	v_lshrrev_b32_e32 v47, 8, v45
	v_bfe_i32 v45, v45, 0, 8
	v_pk_mul_f16 v176, v46, v44
	s_delay_alu instid0(VALU_DEP_3) | instskip(NEXT) | instid1(VALU_DEP_3)
	v_bfe_i32 v47, v47, 0, 8
	v_cvt_f16_i16_e32 v45, v45
	s_delay_alu instid0(VALU_DEP_3) | instskip(NEXT) | instid1(VALU_DEP_3)
	v_pk_fma_f16 v46, v176, v40, v50
	v_cvt_f16_i16_e32 v47, v47
	v_pk_fma_f16 v50, v176, v36, v34
	s_delay_alu instid0(VALU_DEP_2) | instskip(NEXT) | instid1(VALU_DEP_1)
	v_pack_b32_f16 v45, v45, v47
	v_pk_mul_f16 v179, v45, v44
	v_pk_fma_f16 v44, v177, v40, v48
	v_pk_fma_f16 v48, v177, v36, v32
	v_add_co_u32 v32, vcc_lo, v96, s8
	v_pk_fma_f16 v45, v178, v40, v49
	v_pk_fma_f16 v49, v178, v36, v33
	s_wait_alu 0xfffd
	v_add_co_ci_u32_e64 v33, null, 0, v56, vcc_lo
	v_pk_fma_f16 v47, v179, v40, v51
	v_pk_fma_f16 v51, v179, v36, v35
	v_mov_b32_e32 v178, v133
	global_load_b32 v34, v[32:33], off
	v_add_co_u32 v32, vcc_lo, v61, s8
	s_wait_alu 0xfffd
	v_add_co_ci_u32_e64 v33, null, 0, v3, vcc_lo
	ds_store_b128 v127, v[44:47]
	ds_store_b128 v127, v[48:51] offset:16
	v_mov_b32_e32 v133, v130
	global_load_u16 v35, v[32:33], off
	v_add_co_u32 v32, vcc_lo, v86, s8
	scratch_load_b32 v86, off, off offset:1232 th:TH_LOAD_LU ; 4-byte Folded Reload
	v_dual_mov_b32 v130, v3 :: v_dual_mov_b32 v179, v115
	v_mov_b32_e32 v115, v192
	s_wait_loadcnt 0x1
	v_mul_u32_u24_e32 v35, 0x10001, v35
	s_wait_loadcnt 0x0
	s_wait_alu 0xfffd
	v_add_co_ci_u32_e64 v33, null, 0, v86, vcc_lo
	global_load_b32 v36, v[32:33], off
	v_add_co_u32 v32, vcc_lo, v93, s8
	s_wait_alu 0xfffd
	v_add_co_ci_u32_e64 v33, null, 0, v59, vcc_lo
	global_load_u16 v32, v[32:33], off
	v_ashrrev_i32_e32 v33, v175, v34
	s_delay_alu instid0(VALU_DEP_1) | instskip(NEXT) | instid1(VALU_DEP_1)
	v_and_b32_e32 v33, 0xf0f0f0f, v33
	v_lshlrev_b16 v34, 8, v33
	v_and_b32_e32 v40, 0xf00, v33
	v_lshrrev_b32_e32 v33, 16, v33
	s_delay_alu instid0(VALU_DEP_3) | instskip(NEXT) | instid1(VALU_DEP_1)
	v_add_nc_u16 v34, 0xf800, v34
	v_lshrrev_b16 v34, 8, v34
	s_delay_alu instid0(VALU_DEP_1) | instskip(NEXT) | instid1(VALU_DEP_4)
	v_or_b32_e32 v34, v40, v34
	v_lshlrev_b16 v40, 8, v33
	v_and_b32_e32 v33, 0xf00, v33
	s_delay_alu instid0(VALU_DEP_3) | instskip(NEXT) | instid1(VALU_DEP_3)
	v_add_nc_u16 v34, 0xf800, v34
	v_add_nc_u16 v40, 0xf800, v40
	s_delay_alu instid0(VALU_DEP_1) | instskip(NEXT) | instid1(VALU_DEP_1)
	v_lshrrev_b16 v40, 8, v40
	v_or_b32_e32 v33, v33, v40
	s_delay_alu instid0(VALU_DEP_4) | instskip(SKIP_1) | instid1(VALU_DEP_3)
	v_lshrrev_b32_e32 v40, 8, v34
	v_bfe_i32 v34, v34, 0, 8
	v_add_nc_u16 v33, 0xf800, v33
	s_delay_alu instid0(VALU_DEP_3) | instskip(NEXT) | instid1(VALU_DEP_3)
	v_bfe_i32 v40, v40, 0, 8
	v_cvt_f16_i16_e32 v34, v34
	s_delay_alu instid0(VALU_DEP_2) | instskip(NEXT) | instid1(VALU_DEP_1)
	v_cvt_f16_i16_e32 v40, v40
	v_pack_b32_f16 v34, v34, v40
	v_lshrrev_b32_e32 v40, 8, v33
	v_bfe_i32 v33, v33, 0, 8
	s_delay_alu instid0(VALU_DEP_2) | instskip(NEXT) | instid1(VALU_DEP_2)
	v_bfe_i32 v40, v40, 0, 8
	v_cvt_f16_i16_e32 v33, v33
	s_delay_alu instid0(VALU_DEP_2) | instskip(NEXT) | instid1(VALU_DEP_1)
	v_cvt_f16_i16_e32 v40, v40
	v_pack_b32_f16 v33, v33, v40
	v_pk_mul_f16 v40, v34, v35
	s_delay_alu instid0(VALU_DEP_2) | instskip(SKIP_2) | instid1(VALU_DEP_1)
	v_pk_mul_f16 v176, v33, v35
	s_wait_loadcnt 0x1
	v_ashrrev_i32_e32 v33, v175, v36
	v_and_b32_e32 v33, 0xf0f0f0f, v33
	s_wait_loadcnt 0x0
	v_mul_u32_u24_e32 v32, 0x10001, v32
	s_delay_alu instid0(VALU_DEP_2) | instskip(SKIP_2) | instid1(VALU_DEP_3)
	v_lshlrev_b16 v34, 8, v33
	v_and_b32_e32 v35, 0xf00, v33
	v_lshrrev_b32_e32 v33, 16, v33
	v_add_nc_u16 v34, 0xf800, v34
	s_delay_alu instid0(VALU_DEP_1) | instskip(NEXT) | instid1(VALU_DEP_1)
	v_lshrrev_b16 v34, 8, v34
	v_or_b32_e32 v34, v35, v34
	s_delay_alu instid0(VALU_DEP_4) | instskip(SKIP_1) | instid1(VALU_DEP_3)
	v_lshlrev_b16 v35, 8, v33
	v_and_b32_e32 v33, 0xf00, v33
	v_add_nc_u16 v34, 0xf800, v34
	s_delay_alu instid0(VALU_DEP_3) | instskip(NEXT) | instid1(VALU_DEP_1)
	v_add_nc_u16 v35, 0xf800, v35
	v_lshrrev_b16 v35, 8, v35
	s_delay_alu instid0(VALU_DEP_1) | instskip(NEXT) | instid1(VALU_DEP_4)
	v_or_b32_e32 v33, v33, v35
	v_lshrrev_b32_e32 v35, 8, v34
	v_bfe_i32 v34, v34, 0, 8
	s_delay_alu instid0(VALU_DEP_3) | instskip(NEXT) | instid1(VALU_DEP_3)
	v_add_nc_u16 v33, 0xf800, v33
	v_bfe_i32 v35, v35, 0, 8
	s_delay_alu instid0(VALU_DEP_3) | instskip(NEXT) | instid1(VALU_DEP_2)
	v_cvt_f16_i16_e32 v34, v34
	v_cvt_f16_i16_e32 v35, v35
	s_delay_alu instid0(VALU_DEP_1) | instskip(SKIP_2) | instid1(VALU_DEP_3)
	v_pack_b32_f16 v34, v34, v35
	v_lshrrev_b32_e32 v35, 8, v33
	v_bfe_i32 v33, v33, 0, 8
	v_pk_mul_f16 v36, v34, v32
	s_delay_alu instid0(VALU_DEP_3) | instskip(NEXT) | instid1(VALU_DEP_3)
	v_bfe_i32 v35, v35, 0, 8
	v_cvt_f16_i16_e32 v33, v33
	s_delay_alu instid0(VALU_DEP_2) | instskip(NEXT) | instid1(VALU_DEP_1)
	v_cvt_f16_i16_e32 v35, v35
	v_pack_b32_f16 v33, v33, v35
	s_delay_alu instid0(VALU_DEP_1) | instskip(SKIP_2) | instid1(VALU_DEP_2)
	v_pk_mul_f16 v177, v33, v32
	v_and_b32_e32 v32, 0xffff, v41
	v_lshrrev_b32_e32 v41, 16, v41
	v_mul_u32_u24_e32 v35, 0x10001, v32
	s_delay_alu instid0(VALU_DEP_2) | instskip(NEXT) | instid1(VALU_DEP_2)
	v_mul_u32_u24_e32 v41, 0x10001, v41
	v_pk_fma_f16 v32, v40, v35, v44
	v_and_b32_e32 v44, 0xffff, v37
	v_pk_fma_f16 v33, v176, v35, v45
	v_pk_fma_f16 v34, v36, v35, v46
	;; [unrolled: 1-line block ×3, first 2 shown]
	s_delay_alu instid0(VALU_DEP_4) | instskip(NEXT) | instid1(VALU_DEP_1)
	v_mul_u32_u24_e32 v47, 0x10001, v44
	v_pk_fma_f16 v44, v40, v47, v48
	v_add_co_u32 v48, vcc_lo, v95, s8
	v_pk_fma_f16 v45, v176, v47, v49
	s_wait_alu 0xfffd
	v_add_co_ci_u32_e64 v49, null, 0, v87, vcc_lo
	v_pk_fma_f16 v46, v36, v47, v50
	global_load_b32 v36, v[48:49], off
	s_clause 0x1
	scratch_load_b32 v246, off, off offset:1280 th:TH_LOAD_LU
	scratch_load_b32 v90, off, off offset:1248 th:TH_LOAD_LU
	v_pk_fma_f16 v47, v177, v47, v51
	s_wait_loadcnt 0x2
	v_ashrrev_i32_e32 v36, v175, v36
	s_wait_loadcnt 0x1
	v_add_co_u32 v48, vcc_lo, v246, s8
	s_wait_loadcnt 0x0
	s_wait_alu 0xfffd
	v_add_co_ci_u32_e64 v49, null, 0, v90, vcc_lo
	global_load_u16 v40, v[48:49], off
	s_clause 0xa
	scratch_load_b32 v3, off, off offset:1292 th:TH_LOAD_LU
	scratch_load_b32 v192, off, off offset:1264 th:TH_LOAD_LU
	;; [unrolled: 1-line block ×11, first 2 shown]
	v_and_b32_e32 v36, 0xf0f0f0f, v36
	ds_store_b128 v127, v[32:35]
	ds_store_b128 v127, v[44:47] offset:16
	v_and_b32_e32 v51, 0xf00, v36
	s_wait_loadcnt 0xb
	v_mul_u32_u24_e32 v40, 0x10001, v40
	s_wait_loadcnt 0xa
	v_add_co_u32 v48, vcc_lo, v3, s8
	v_mov_b32_e32 v139, v3
	s_clause 0x1
	scratch_load_b32 v3, off, off offset:1268 th:TH_LOAD_LU
	scratch_load_b32 v191, off, off offset:1260 th:TH_LOAD_LU
	s_wait_alu 0xfffd
	v_add_co_ci_u32_e64 v49, null, 0, v27, vcc_lo
	global_load_b32 v50, v[48:49], off
	s_wait_loadcnt 0xc
	v_add_co_u32 v48, vcc_lo, v192, s8
	s_wait_loadcnt 0x1
	s_wait_alu 0xfffd
	v_add_co_ci_u32_e64 v49, null, 0, v191, vcc_lo
	global_load_u16 v48, v[48:49], off
	v_lshlrev_b16 v49, 8, v36
	v_lshrrev_b32_e32 v36, 16, v36
	s_delay_alu instid0(VALU_DEP_2) | instskip(NEXT) | instid1(VALU_DEP_1)
	v_add_nc_u16 v49, 0xf800, v49
	v_lshrrev_b16 v49, 8, v49
	s_delay_alu instid0(VALU_DEP_1) | instskip(NEXT) | instid1(VALU_DEP_4)
	v_or_b32_e32 v49, v51, v49
	v_lshlrev_b16 v51, 8, v36
	v_and_b32_e32 v36, 0xf00, v36
	s_delay_alu instid0(VALU_DEP_3) | instskip(NEXT) | instid1(VALU_DEP_3)
	v_add_nc_u16 v49, 0xf800, v49
	v_add_nc_u16 v51, 0xf800, v51
	s_delay_alu instid0(VALU_DEP_1) | instskip(NEXT) | instid1(VALU_DEP_1)
	v_lshrrev_b16 v51, 8, v51
	v_or_b32_e32 v36, v36, v51
	s_delay_alu instid0(VALU_DEP_4) | instskip(SKIP_1) | instid1(VALU_DEP_3)
	v_lshrrev_b32_e32 v51, 8, v49
	v_bfe_i32 v49, v49, 0, 8
	v_add_nc_u16 v36, 0xf800, v36
	s_delay_alu instid0(VALU_DEP_3) | instskip(NEXT) | instid1(VALU_DEP_3)
	v_bfe_i32 v51, v51, 0, 8
	v_cvt_f16_i16_e32 v49, v49
	s_delay_alu instid0(VALU_DEP_2) | instskip(NEXT) | instid1(VALU_DEP_1)
	v_cvt_f16_i16_e32 v51, v51
	v_pack_b32_f16 v49, v49, v51
	v_lshrrev_b32_e32 v51, 8, v36
	v_bfe_i32 v36, v36, 0, 8
	s_delay_alu instid0(VALU_DEP_3) | instskip(NEXT) | instid1(VALU_DEP_3)
	v_pk_mul_f16 v176, v49, v40
	v_bfe_i32 v51, v51, 0, 8
	s_delay_alu instid0(VALU_DEP_3) | instskip(NEXT) | instid1(VALU_DEP_2)
	v_cvt_f16_i16_e32 v36, v36
	v_cvt_f16_i16_e32 v51, v51
	s_delay_alu instid0(VALU_DEP_1) | instskip(NEXT) | instid1(VALU_DEP_1)
	v_pack_b32_f16 v36, v36, v51
	v_pk_mul_f16 v36, v36, v40
	s_wait_loadcnt 0x1
	v_ashrrev_i32_e32 v40, v175, v50
	s_delay_alu instid0(VALU_DEP_1) | instskip(NEXT) | instid1(VALU_DEP_1)
	v_and_b32_e32 v40, 0xf0f0f0f, v40
	v_lshlrev_b16 v49, 8, v40
	v_and_b32_e32 v50, 0xf00, v40
	v_lshrrev_b32_e32 v40, 16, v40
	s_delay_alu instid0(VALU_DEP_3) | instskip(NEXT) | instid1(VALU_DEP_1)
	v_add_nc_u16 v49, 0xf800, v49
	v_lshrrev_b16 v49, 8, v49
	s_delay_alu instid0(VALU_DEP_1) | instskip(NEXT) | instid1(VALU_DEP_4)
	v_or_b32_e32 v49, v50, v49
	v_lshlrev_b16 v50, 8, v40
	v_and_b32_e32 v40, 0xf00, v40
	s_delay_alu instid0(VALU_DEP_3) | instskip(NEXT) | instid1(VALU_DEP_3)
	v_add_nc_u16 v49, 0xf800, v49
	v_add_nc_u16 v50, 0xf800, v50
	s_delay_alu instid0(VALU_DEP_1) | instskip(NEXT) | instid1(VALU_DEP_1)
	v_lshrrev_b16 v50, 8, v50
	v_or_b32_e32 v40, v40, v50
	s_delay_alu instid0(VALU_DEP_4) | instskip(SKIP_1) | instid1(VALU_DEP_3)
	v_lshrrev_b32_e32 v50, 8, v49
	v_bfe_i32 v49, v49, 0, 8
	v_add_nc_u16 v40, 0xf800, v40
	s_delay_alu instid0(VALU_DEP_3) | instskip(NEXT) | instid1(VALU_DEP_3)
	v_bfe_i32 v50, v50, 0, 8
	v_cvt_f16_i16_e32 v49, v49
	s_delay_alu instid0(VALU_DEP_2) | instskip(NEXT) | instid1(VALU_DEP_1)
	v_cvt_f16_i16_e32 v50, v50
	v_pack_b32_f16 v49, v49, v50
	v_lshrrev_b32_e32 v50, 8, v40
	v_bfe_i32 v40, v40, 0, 8
	s_delay_alu instid0(VALU_DEP_2) | instskip(NEXT) | instid1(VALU_DEP_2)
	v_bfe_i32 v50, v50, 0, 8
	v_cvt_f16_i16_e32 v40, v40
	s_delay_alu instid0(VALU_DEP_2) | instskip(NEXT) | instid1(VALU_DEP_1)
	v_cvt_f16_i16_e32 v50, v50
	v_pack_b32_f16 v40, v40, v50
	s_wait_loadcnt 0x0
	v_mul_u32_u24_e32 v48, 0x10001, v48
	s_delay_alu instid0(VALU_DEP_1) | instskip(NEXT) | instid1(VALU_DEP_3)
	v_pk_mul_f16 v177, v49, v48
	v_pk_mul_f16 v40, v40, v48
	v_pk_fma_f16 v48, v176, v41, v32
	v_lshrrev_b32_e32 v32, 16, v37
	v_pk_fma_f16 v49, v36, v41, v33
	v_pk_fma_f16 v50, v177, v41, v34
	;; [unrolled: 1-line block ×3, first 2 shown]
	s_delay_alu instid0(VALU_DEP_4) | instskip(NEXT) | instid1(VALU_DEP_1)
	v_mul_u32_u24_e32 v35, 0x10001, v32
	v_pk_fma_f16 v33, v36, v35, v45
	v_add_co_u32 v36, vcc_lo, v23, s8
	s_wait_alu 0xfffd
	v_add_co_ci_u32_e64 v37, null, 0, v117, vcc_lo
	v_pk_fma_f16 v32, v176, v35, v44
	v_pk_fma_f16 v34, v177, v35, v46
	;; [unrolled: 1-line block ×3, first 2 shown]
	global_load_b32 v40, v[36:37], off
	v_add_co_u32 v36, vcc_lo, v24, s8
	s_wait_alu 0xfffd
	v_add_co_ci_u32_e64 v37, null, 0, v26, vcc_lo
	ds_store_b128 v127, v[48:51]
	ds_store_b128 v127, v[32:35] offset:16
	v_mov_b32_e32 v177, v4
	global_load_u16 v41, v[36:37], off
	v_add_co_u32 v36, vcc_lo, v209, s8
	s_wait_alu 0xfffd
	v_add_co_ci_u32_e64 v37, null, 0, v211, vcc_lo
	global_load_b32 v44, v[36:37], off
	v_add_co_u32 v36, vcc_lo, v210, s8
	s_wait_alu 0xfffd
	v_add_co_ci_u32_e64 v37, null, 0, v116, vcc_lo
	global_load_u16 v36, v[36:37], off
	s_wait_loadcnt 0x3
	v_ashrrev_i32_e32 v37, v175, v40
	s_delay_alu instid0(VALU_DEP_1) | instskip(SKIP_2) | instid1(VALU_DEP_2)
	v_and_b32_e32 v37, 0xf0f0f0f, v37
	s_wait_loadcnt 0x2
	v_mul_u32_u24_e32 v41, 0x10001, v41
	v_lshlrev_b16 v40, 8, v37
	v_and_b32_e32 v45, 0xf00, v37
	v_lshrrev_b32_e32 v37, 16, v37
	s_delay_alu instid0(VALU_DEP_3) | instskip(NEXT) | instid1(VALU_DEP_1)
	v_add_nc_u16 v40, 0xf800, v40
	v_lshrrev_b16 v40, 8, v40
	s_wait_loadcnt 0x0
	v_mul_u32_u24_e32 v36, 0x10001, v36
	s_delay_alu instid0(VALU_DEP_2) | instskip(SKIP_2) | instid1(VALU_DEP_3)
	v_or_b32_e32 v40, v45, v40
	v_lshlrev_b16 v45, 8, v37
	v_and_b32_e32 v37, 0xf00, v37
	v_add_nc_u16 v40, 0xf800, v40
	s_delay_alu instid0(VALU_DEP_3) | instskip(NEXT) | instid1(VALU_DEP_1)
	v_add_nc_u16 v45, 0xf800, v45
	v_lshrrev_b16 v45, 8, v45
	s_delay_alu instid0(VALU_DEP_1) | instskip(NEXT) | instid1(VALU_DEP_4)
	v_or_b32_e32 v37, v37, v45
	v_lshrrev_b32_e32 v45, 8, v40
	v_bfe_i32 v40, v40, 0, 8
	s_delay_alu instid0(VALU_DEP_3) | instskip(NEXT) | instid1(VALU_DEP_3)
	v_add_nc_u16 v37, 0xf800, v37
	v_bfe_i32 v45, v45, 0, 8
	s_delay_alu instid0(VALU_DEP_3) | instskip(NEXT) | instid1(VALU_DEP_2)
	v_cvt_f16_i16_e32 v40, v40
	v_cvt_f16_i16_e32 v45, v45
	s_delay_alu instid0(VALU_DEP_1) | instskip(SKIP_2) | instid1(VALU_DEP_3)
	v_pack_b32_f16 v40, v40, v45
	v_lshrrev_b32_e32 v45, 8, v37
	v_bfe_i32 v37, v37, 0, 8
	v_pk_mul_f16 v40, v40, v41
	s_delay_alu instid0(VALU_DEP_3) | instskip(NEXT) | instid1(VALU_DEP_3)
	v_bfe_i32 v45, v45, 0, 8
	v_cvt_f16_i16_e32 v37, v37
	s_delay_alu instid0(VALU_DEP_2) | instskip(NEXT) | instid1(VALU_DEP_1)
	v_cvt_f16_i16_e32 v45, v45
	v_pack_b32_f16 v37, v37, v45
	s_delay_alu instid0(VALU_DEP_1) | instskip(SKIP_1) | instid1(VALU_DEP_1)
	v_pk_mul_f16 v37, v37, v41
	v_ashrrev_i32_e32 v41, v175, v44
	v_and_b32_e32 v41, 0xf0f0f0f, v41
	s_delay_alu instid0(VALU_DEP_1) | instskip(SKIP_2) | instid1(VALU_DEP_3)
	v_lshlrev_b16 v44, 8, v41
	v_and_b32_e32 v45, 0xf00, v41
	v_lshrrev_b32_e32 v41, 16, v41
	v_add_nc_u16 v44, 0xf800, v44
	s_delay_alu instid0(VALU_DEP_1) | instskip(NEXT) | instid1(VALU_DEP_1)
	v_lshrrev_b16 v44, 8, v44
	v_or_b32_e32 v44, v45, v44
	s_delay_alu instid0(VALU_DEP_4) | instskip(SKIP_1) | instid1(VALU_DEP_3)
	v_lshlrev_b16 v45, 8, v41
	v_and_b32_e32 v41, 0xf00, v41
	v_add_nc_u16 v44, 0xf800, v44
	s_delay_alu instid0(VALU_DEP_3) | instskip(NEXT) | instid1(VALU_DEP_1)
	v_add_nc_u16 v45, 0xf800, v45
	v_lshrrev_b16 v45, 8, v45
	s_delay_alu instid0(VALU_DEP_1) | instskip(NEXT) | instid1(VALU_DEP_4)
	v_or_b32_e32 v41, v41, v45
	v_lshrrev_b32_e32 v45, 8, v44
	v_bfe_i32 v44, v44, 0, 8
	s_delay_alu instid0(VALU_DEP_3) | instskip(NEXT) | instid1(VALU_DEP_3)
	v_add_nc_u16 v41, 0xf800, v41
	v_bfe_i32 v45, v45, 0, 8
	s_delay_alu instid0(VALU_DEP_3) | instskip(NEXT) | instid1(VALU_DEP_2)
	v_cvt_f16_i16_e32 v44, v44
	v_cvt_f16_i16_e32 v45, v45
	s_delay_alu instid0(VALU_DEP_1) | instskip(SKIP_2) | instid1(VALU_DEP_3)
	v_pack_b32_f16 v44, v44, v45
	v_lshrrev_b32_e32 v45, 8, v41
	v_bfe_i32 v41, v41, 0, 8
	v_pk_mul_f16 v176, v44, v36
	s_delay_alu instid0(VALU_DEP_3) | instskip(NEXT) | instid1(VALU_DEP_3)
	v_bfe_i32 v45, v45, 0, 8
	v_cvt_f16_i16_e32 v41, v41
	s_delay_alu instid0(VALU_DEP_2) | instskip(NEXT) | instid1(VALU_DEP_1)
	v_cvt_f16_i16_e32 v45, v45
	v_pack_b32_f16 v41, v41, v45
	s_delay_alu instid0(VALU_DEP_1) | instskip(SKIP_1) | instid1(VALU_DEP_1)
	v_pk_mul_f16 v36, v41, v36
	v_and_b32_e32 v41, 0xffff, v42
	v_mul_u32_u24_e32 v41, 0x10001, v41
	s_delay_alu instid0(VALU_DEP_1)
	v_pk_fma_f16 v44, v40, v41, v48
	v_pk_fma_f16 v45, v37, v41, v49
	;; [unrolled: 1-line block ×4, first 2 shown]
	v_and_b32_e32 v41, 0xffff, v38
	v_lshrrev_b32_e32 v38, 16, v38
	s_delay_alu instid0(VALU_DEP_2) | instskip(NEXT) | instid1(VALU_DEP_2)
	v_mul_u32_u24_e32 v41, 0x10001, v41
	v_mul_u32_u24_e32 v38, 0x10001, v38
	s_delay_alu instid0(VALU_DEP_2)
	v_pk_fma_f16 v48, v40, v41, v32
	v_add_co_u32 v32, vcc_lo, v3, s8
	v_pk_fma_f16 v49, v37, v41, v33
	s_wait_alu 0xfffd
	v_add_co_ci_u32_e64 v33, null, 0, v236, vcc_lo
	v_pk_fma_f16 v50, v176, v41, v34
	global_load_b32 v34, v[32:33], off
	s_clause 0x1
	scratch_load_b32 v16, off, off offset:1252 th:TH_LOAD_LU
	scratch_load_b32 v239, off, off offset:1168 th:TH_LOAD_LU
	v_pk_fma_f16 v51, v36, v41, v35
	v_mov_b32_e32 v176, v2
	v_mov_b32_e32 v2, v29
	s_wait_loadcnt 0x1
	v_add_co_u32 v32, vcc_lo, v16, s8
	s_wait_loadcnt 0x0
	s_wait_alu 0xfffd
	v_add_co_ci_u32_e64 v33, null, 0, v239, vcc_lo
	global_load_u16 v35, v[32:33], off
	s_clause 0x1
	scratch_load_b32 v80, off, off offset:1216 th:TH_LOAD_LU
	scratch_load_b32 v81, off, off offset:1156 th:TH_LOAD_LU
	s_wait_loadcnt 0x2
	v_mul_u32_u24_e32 v35, 0x10001, v35
	s_wait_loadcnt 0x1
	v_add_co_u32 v32, vcc_lo, v80, s8
	s_wait_loadcnt 0x0
	s_wait_alu 0xfffd
	v_add_co_ci_u32_e64 v33, null, 0, v81, vcc_lo
	global_load_b32 v36, v[32:33], off
	s_clause 0x3
	scratch_load_b32 v82, off, off offset:1220 th:TH_LOAD_LU
	scratch_load_b32 v83, off, off offset:1160 th:TH_LOAD_LU
	;; [unrolled: 1-line block ×4, first 2 shown]
	ds_store_b128 v127, v[44:47]
	ds_store_b128 v127, v[48:51] offset:16
	s_wait_loadcnt 0x3
	v_add_co_u32 v32, vcc_lo, v82, s8
	s_wait_loadcnt 0x2
	s_wait_alu 0xfffd
	v_add_co_ci_u32_e64 v33, null, 0, v83, vcc_lo
	global_load_u16 v32, v[32:33], off
	v_ashrrev_i32_e32 v33, v175, v34
	s_delay_alu instid0(VALU_DEP_1) | instskip(NEXT) | instid1(VALU_DEP_1)
	v_and_b32_e32 v33, 0xf0f0f0f, v33
	v_lshlrev_b16 v34, 8, v33
	v_and_b32_e32 v37, 0xf00, v33
	v_lshrrev_b32_e32 v33, 16, v33
	s_delay_alu instid0(VALU_DEP_3) | instskip(NEXT) | instid1(VALU_DEP_1)
	v_add_nc_u16 v34, 0xf800, v34
	v_lshrrev_b16 v34, 8, v34
	s_delay_alu instid0(VALU_DEP_1) | instskip(NEXT) | instid1(VALU_DEP_4)
	v_or_b32_e32 v34, v37, v34
	v_lshlrev_b16 v37, 8, v33
	v_and_b32_e32 v33, 0xf00, v33
	s_delay_alu instid0(VALU_DEP_3) | instskip(NEXT) | instid1(VALU_DEP_3)
	v_add_nc_u16 v34, 0xf800, v34
	v_add_nc_u16 v37, 0xf800, v37
	s_delay_alu instid0(VALU_DEP_1) | instskip(NEXT) | instid1(VALU_DEP_1)
	v_lshrrev_b16 v37, 8, v37
	v_or_b32_e32 v33, v33, v37
	s_delay_alu instid0(VALU_DEP_4) | instskip(SKIP_1) | instid1(VALU_DEP_3)
	v_lshrrev_b32_e32 v37, 8, v34
	v_bfe_i32 v34, v34, 0, 8
	v_add_nc_u16 v33, 0xf800, v33
	s_delay_alu instid0(VALU_DEP_3) | instskip(NEXT) | instid1(VALU_DEP_3)
	v_bfe_i32 v37, v37, 0, 8
	v_cvt_f16_i16_e32 v34, v34
	s_delay_alu instid0(VALU_DEP_2) | instskip(NEXT) | instid1(VALU_DEP_1)
	v_cvt_f16_i16_e32 v37, v37
	v_pack_b32_f16 v34, v34, v37
	v_lshrrev_b32_e32 v37, 8, v33
	v_bfe_i32 v33, v33, 0, 8
	s_delay_alu instid0(VALU_DEP_2) | instskip(NEXT) | instid1(VALU_DEP_2)
	v_bfe_i32 v37, v37, 0, 8
	v_cvt_f16_i16_e32 v33, v33
	s_delay_alu instid0(VALU_DEP_2) | instskip(NEXT) | instid1(VALU_DEP_1)
	v_cvt_f16_i16_e32 v37, v37
	v_pack_b32_f16 v33, v33, v37
	v_pk_mul_f16 v37, v34, v35
	s_delay_alu instid0(VALU_DEP_2) | instskip(SKIP_1) | instid1(VALU_DEP_1)
	v_pk_mul_f16 v40, v33, v35
	v_ashrrev_i32_e32 v33, v175, v36
	v_and_b32_e32 v33, 0xf0f0f0f, v33
	s_delay_alu instid0(VALU_DEP_1) | instskip(SKIP_2) | instid1(VALU_DEP_3)
	v_lshlrev_b16 v34, 8, v33
	v_and_b32_e32 v35, 0xf00, v33
	v_lshrrev_b32_e32 v33, 16, v33
	v_add_nc_u16 v34, 0xf800, v34
	s_delay_alu instid0(VALU_DEP_1) | instskip(NEXT) | instid1(VALU_DEP_1)
	v_lshrrev_b16 v34, 8, v34
	v_or_b32_e32 v34, v35, v34
	s_delay_alu instid0(VALU_DEP_4) | instskip(SKIP_1) | instid1(VALU_DEP_3)
	v_lshlrev_b16 v35, 8, v33
	v_and_b32_e32 v33, 0xf00, v33
	v_add_nc_u16 v34, 0xf800, v34
	s_delay_alu instid0(VALU_DEP_3) | instskip(NEXT) | instid1(VALU_DEP_1)
	v_add_nc_u16 v35, 0xf800, v35
	v_lshrrev_b16 v35, 8, v35
	s_delay_alu instid0(VALU_DEP_1) | instskip(NEXT) | instid1(VALU_DEP_4)
	v_or_b32_e32 v33, v33, v35
	v_lshrrev_b32_e32 v35, 8, v34
	v_bfe_i32 v34, v34, 0, 8
	s_delay_alu instid0(VALU_DEP_3) | instskip(NEXT) | instid1(VALU_DEP_3)
	v_add_nc_u16 v33, 0xf800, v33
	v_bfe_i32 v35, v35, 0, 8
	s_delay_alu instid0(VALU_DEP_3) | instskip(NEXT) | instid1(VALU_DEP_2)
	v_cvt_f16_i16_e32 v34, v34
	v_cvt_f16_i16_e32 v35, v35
	s_delay_alu instid0(VALU_DEP_1) | instskip(SKIP_2) | instid1(VALU_DEP_2)
	v_pack_b32_f16 v34, v34, v35
	v_lshrrev_b32_e32 v35, 8, v33
	v_bfe_i32 v33, v33, 0, 8
	v_bfe_i32 v35, v35, 0, 8
	s_delay_alu instid0(VALU_DEP_2) | instskip(NEXT) | instid1(VALU_DEP_2)
	v_cvt_f16_i16_e32 v33, v33
	v_cvt_f16_i16_e32 v35, v35
	s_delay_alu instid0(VALU_DEP_1) | instskip(SKIP_2) | instid1(VALU_DEP_1)
	v_pack_b32_f16 v33, v33, v35
	s_wait_loadcnt 0x0
	v_mul_u32_u24_e32 v32, 0x10001, v32
	v_pk_mul_f16 v36, v34, v32
	s_delay_alu instid0(VALU_DEP_3) | instskip(SKIP_1) | instid1(VALU_DEP_1)
	v_pk_mul_f16 v41, v33, v32
	v_lshrrev_b32_e32 v32, 16, v42
	v_mul_u32_u24_e32 v35, 0x10001, v32
	s_delay_alu instid0(VALU_DEP_1)
	v_pk_fma_f16 v34, v36, v35, v46
	v_pk_fma_f16 v46, v36, v38, v50
	v_add_co_u32 v36, vcc_lo, v76, s8
	v_pk_fma_f16 v32, v37, v35, v44
	v_pk_fma_f16 v44, v37, v38, v48
	s_wait_alu 0xfffd
	v_add_co_ci_u32_e64 v37, null, 0, v77, vcc_lo
	v_pk_fma_f16 v33, v40, v35, v45
	v_pk_fma_f16 v35, v41, v35, v47
	;; [unrolled: 1-line block ×4, first 2 shown]
	global_load_b32 v38, v[36:37], off
	s_clause 0x1
	scratch_load_b32 v97, off, off offset:1200 th:TH_LOAD_LU
	scratch_load_b32 v79, off, off offset:1152 th:TH_LOAD_LU
	s_wait_loadcnt 0x1
	v_add_co_u32 v36, vcc_lo, v97, s8
	s_wait_loadcnt 0x0
	s_wait_alu 0xfffd
	v_add_co_ci_u32_e64 v37, null, 0, v79, vcc_lo
	global_load_u16 v40, v[36:37], off
	s_clause 0x1
	scratch_load_b32 v72, off, off offset:1188 th:TH_LOAD_LU
	scratch_load_b32 v73, off, off offset:1140 th:TH_LOAD_LU
	s_wait_loadcnt 0x2
	v_mul_u32_u24_e32 v40, 0x10001, v40
	s_wait_loadcnt 0x1
	v_add_co_u32 v36, vcc_lo, v72, s8
	s_wait_loadcnt 0x0
	s_wait_alu 0xfffd
	v_add_co_ci_u32_e64 v37, null, 0, v73, vcc_lo
	global_load_b32 v41, v[36:37], off
	s_clause 0x3
	scratch_load_b32 v74, off, off offset:1192 th:TH_LOAD_LU
	scratch_load_b32 v75, off, off offset:1144 th:TH_LOAD_LU
	;; [unrolled: 1-line block ×4, first 2 shown]
	ds_store_b128 v127, v[32:35]
	ds_store_b128 v127, v[44:47] offset:16
	s_wait_loadcnt 0x3
	v_add_co_u32 v36, vcc_lo, v74, s8
	s_wait_loadcnt 0x2
	s_wait_alu 0xfffd
	v_add_co_ci_u32_e64 v37, null, 0, v75, vcc_lo
	global_load_u16 v36, v[36:37], off
	v_ashrrev_i32_e32 v37, v175, v38
	s_delay_alu instid0(VALU_DEP_1) | instskip(NEXT) | instid1(VALU_DEP_1)
	v_and_b32_e32 v37, 0xf0f0f0f, v37
	v_lshlrev_b16 v38, 8, v37
	v_and_b32_e32 v42, 0xf00, v37
	v_lshrrev_b32_e32 v37, 16, v37
	s_delay_alu instid0(VALU_DEP_3) | instskip(NEXT) | instid1(VALU_DEP_1)
	v_add_nc_u16 v38, 0xf800, v38
	v_lshrrev_b16 v38, 8, v38
	s_delay_alu instid0(VALU_DEP_1) | instskip(NEXT) | instid1(VALU_DEP_4)
	v_or_b32_e32 v38, v42, v38
	v_lshlrev_b16 v42, 8, v37
	v_and_b32_e32 v37, 0xf00, v37
	s_delay_alu instid0(VALU_DEP_3) | instskip(NEXT) | instid1(VALU_DEP_3)
	v_add_nc_u16 v38, 0xf800, v38
	v_add_nc_u16 v42, 0xf800, v42
	s_delay_alu instid0(VALU_DEP_1) | instskip(NEXT) | instid1(VALU_DEP_1)
	v_lshrrev_b16 v42, 8, v42
	v_or_b32_e32 v37, v37, v42
	s_delay_alu instid0(VALU_DEP_4) | instskip(SKIP_1) | instid1(VALU_DEP_3)
	v_lshrrev_b32_e32 v42, 8, v38
	v_bfe_i32 v38, v38, 0, 8
	v_add_nc_u16 v37, 0xf800, v37
	s_delay_alu instid0(VALU_DEP_3) | instskip(NEXT) | instid1(VALU_DEP_3)
	v_bfe_i32 v42, v42, 0, 8
	v_cvt_f16_i16_e32 v38, v38
	s_delay_alu instid0(VALU_DEP_2) | instskip(NEXT) | instid1(VALU_DEP_1)
	v_cvt_f16_i16_e32 v42, v42
	v_pack_b32_f16 v38, v38, v42
	v_lshrrev_b32_e32 v42, 8, v37
	v_bfe_i32 v37, v37, 0, 8
	s_delay_alu instid0(VALU_DEP_3) | instskip(NEXT) | instid1(VALU_DEP_3)
	v_pk_mul_f16 v38, v38, v40
	v_bfe_i32 v42, v42, 0, 8
	s_delay_alu instid0(VALU_DEP_3) | instskip(NEXT) | instid1(VALU_DEP_2)
	v_cvt_f16_i16_e32 v37, v37
	v_cvt_f16_i16_e32 v42, v42
	s_delay_alu instid0(VALU_DEP_1) | instskip(NEXT) | instid1(VALU_DEP_1)
	v_pack_b32_f16 v37, v37, v42
	v_pk_mul_f16 v37, v37, v40
	v_ashrrev_i32_e32 v40, v175, v41
	s_delay_alu instid0(VALU_DEP_1) | instskip(NEXT) | instid1(VALU_DEP_1)
	v_and_b32_e32 v40, 0xf0f0f0f, v40
	v_lshlrev_b16 v41, 8, v40
	v_and_b32_e32 v42, 0xf00, v40
	v_lshrrev_b32_e32 v40, 16, v40
	s_delay_alu instid0(VALU_DEP_3) | instskip(NEXT) | instid1(VALU_DEP_1)
	v_add_nc_u16 v41, 0xf800, v41
	v_lshrrev_b16 v41, 8, v41
	s_delay_alu instid0(VALU_DEP_1) | instskip(NEXT) | instid1(VALU_DEP_4)
	v_or_b32_e32 v41, v42, v41
	v_lshlrev_b16 v42, 8, v40
	v_and_b32_e32 v40, 0xf00, v40
	s_delay_alu instid0(VALU_DEP_3) | instskip(NEXT) | instid1(VALU_DEP_3)
	v_add_nc_u16 v41, 0xf800, v41
	v_add_nc_u16 v42, 0xf800, v42
	s_delay_alu instid0(VALU_DEP_1) | instskip(NEXT) | instid1(VALU_DEP_1)
	v_lshrrev_b16 v42, 8, v42
	v_or_b32_e32 v40, v40, v42
	s_delay_alu instid0(VALU_DEP_4) | instskip(SKIP_1) | instid1(VALU_DEP_3)
	v_lshrrev_b32_e32 v42, 8, v41
	v_bfe_i32 v41, v41, 0, 8
	v_add_nc_u16 v40, 0xf800, v40
	s_delay_alu instid0(VALU_DEP_3) | instskip(NEXT) | instid1(VALU_DEP_3)
	v_bfe_i32 v42, v42, 0, 8
	v_cvt_f16_i16_e32 v41, v41
	s_delay_alu instid0(VALU_DEP_2) | instskip(NEXT) | instid1(VALU_DEP_1)
	v_cvt_f16_i16_e32 v42, v42
	v_pack_b32_f16 v41, v41, v42
	v_lshrrev_b32_e32 v42, 8, v40
	v_bfe_i32 v40, v40, 0, 8
	s_delay_alu instid0(VALU_DEP_2) | instskip(NEXT) | instid1(VALU_DEP_2)
	v_bfe_i32 v42, v42, 0, 8
	v_cvt_f16_i16_e32 v40, v40
	s_delay_alu instid0(VALU_DEP_2) | instskip(NEXT) | instid1(VALU_DEP_1)
	v_cvt_f16_i16_e32 v42, v42
	v_pack_b32_f16 v40, v40, v42
	s_wait_loadcnt 0x0
	v_mul_u32_u24_e32 v36, 0x10001, v36
	s_delay_alu instid0(VALU_DEP_1) | instskip(NEXT) | instid1(VALU_DEP_3)
	v_pk_mul_f16 v41, v41, v36
	v_pk_mul_f16 v36, v40, v36
	v_and_b32_e32 v40, 0xffff, v43
	s_delay_alu instid0(VALU_DEP_1) | instskip(NEXT) | instid1(VALU_DEP_1)
	v_mul_u32_u24_e32 v40, 0x10001, v40
	v_pk_fma_f16 v48, v38, v40, v32
	v_and_b32_e32 v32, 0xffff, v39
	v_pk_fma_f16 v51, v36, v40, v35
	v_pk_fma_f16 v49, v37, v40, v33
	;; [unrolled: 1-line block ×3, first 2 shown]
	s_delay_alu instid0(VALU_DEP_4) | instskip(NEXT) | instid1(VALU_DEP_1)
	v_mul_u32_u24_e32 v35, 0x10001, v32
	v_pk_fma_f16 v32, v38, v35, v44
	v_pk_fma_f16 v33, v37, v35, v45
	;; [unrolled: 1-line block ×4, first 2 shown]
	v_add_co_u32 v36, vcc_lo, v68, s8
	s_wait_alu 0xfffd
	v_add_co_ci_u32_e64 v37, null, 0, v69, vcc_lo
	global_load_b32 v40, v[36:37], off
	s_clause 0x1
	scratch_load_b32 v70, off, off offset:1184 th:TH_LOAD_LU
	scratch_load_b32 v71, off, off offset:1136 th:TH_LOAD_LU
	v_lshrrev_b32_e32 v38, 16, v43
	s_wait_loadcnt 0x1
	v_add_co_u32 v36, vcc_lo, v70, s8
	s_wait_loadcnt 0x0
	s_wait_alu 0xfffd
	v_add_co_ci_u32_e64 v37, null, 0, v71, vcc_lo
	global_load_u16 v41, v[36:37], off
	s_clause 0x1
	scratch_load_b32 v64, off, off offset:1172 th:TH_LOAD_LU
	scratch_load_b32 v65, off, off offset:1124 th:TH_LOAD_LU
	s_wait_loadcnt 0x2
	v_mul_u32_u24_e32 v41, 0x10001, v41
	s_wait_loadcnt 0x1
	v_add_co_u32 v36, vcc_lo, v64, s8
	s_wait_loadcnt 0x0
	s_wait_alu 0xfffd
	v_add_co_ci_u32_e64 v37, null, 0, v65, vcc_lo
	global_load_b32 v42, v[36:37], off
	s_clause 0x1
	scratch_load_b32 v66, off, off offset:1176 th:TH_LOAD_LU
	scratch_load_b32 v67, off, off offset:1128 th:TH_LOAD_LU
	ds_store_b128 v127, v[48:51]
	s_wait_loadcnt 0x1
	v_add_co_u32 v36, vcc_lo, v66, s8
	s_wait_loadcnt 0x0
	s_wait_alu 0xfffd
	v_add_co_ci_u32_e64 v37, null, 0, v67, vcc_lo
	global_load_u16 v36, v[36:37], off
	v_ashrrev_i32_e32 v37, v175, v40
	s_delay_alu instid0(VALU_DEP_1) | instskip(NEXT) | instid1(VALU_DEP_1)
	v_and_b32_e32 v37, 0xf0f0f0f, v37
	v_lshlrev_b16 v40, 8, v37
	v_and_b32_e32 v43, 0xf00, v37
	v_lshrrev_b32_e32 v37, 16, v37
	s_delay_alu instid0(VALU_DEP_3) | instskip(NEXT) | instid1(VALU_DEP_1)
	v_add_nc_u16 v40, 0xf800, v40
	v_lshrrev_b16 v40, 8, v40
	s_delay_alu instid0(VALU_DEP_1) | instskip(NEXT) | instid1(VALU_DEP_4)
	v_or_b32_e32 v40, v43, v40
	v_lshlrev_b16 v43, 8, v37
	v_and_b32_e32 v37, 0xf00, v37
	s_delay_alu instid0(VALU_DEP_3) | instskip(NEXT) | instid1(VALU_DEP_3)
	v_add_nc_u16 v40, 0xf800, v40
	v_add_nc_u16 v43, 0xf800, v43
	s_delay_alu instid0(VALU_DEP_1) | instskip(NEXT) | instid1(VALU_DEP_1)
	v_lshrrev_b16 v43, 8, v43
	v_or_b32_e32 v37, v37, v43
	s_delay_alu instid0(VALU_DEP_4) | instskip(SKIP_1) | instid1(VALU_DEP_3)
	v_lshrrev_b32_e32 v43, 8, v40
	v_bfe_i32 v40, v40, 0, 8
	v_add_nc_u16 v37, 0xf800, v37
	s_delay_alu instid0(VALU_DEP_3) | instskip(NEXT) | instid1(VALU_DEP_3)
	v_bfe_i32 v43, v43, 0, 8
	v_cvt_f16_i16_e32 v40, v40
	s_delay_alu instid0(VALU_DEP_2) | instskip(NEXT) | instid1(VALU_DEP_1)
	v_cvt_f16_i16_e32 v43, v43
	v_pack_b32_f16 v40, v40, v43
	v_lshrrev_b32_e32 v43, 8, v37
	v_bfe_i32 v37, v37, 0, 8
	s_delay_alu instid0(VALU_DEP_3) | instskip(NEXT) | instid1(VALU_DEP_3)
	v_pk_mul_f16 v44, v40, v41
	v_bfe_i32 v43, v43, 0, 8
	s_delay_alu instid0(VALU_DEP_3) | instskip(SKIP_1) | instid1(VALU_DEP_3)
	v_cvt_f16_i16_e32 v37, v37
	v_ashrrev_i32_e32 v40, v175, v42
	v_cvt_f16_i16_e32 v43, v43
	s_delay_alu instid0(VALU_DEP_2) | instskip(NEXT) | instid1(VALU_DEP_2)
	v_and_b32_e32 v40, 0xf0f0f0f, v40
	v_pack_b32_f16 v37, v37, v43
	s_delay_alu instid0(VALU_DEP_2) | instskip(NEXT) | instid1(VALU_DEP_2)
	v_and_b32_e32 v42, 0xf00, v40
	v_pk_mul_f16 v37, v37, v41
	v_lshlrev_b16 v41, 8, v40
	v_lshrrev_b32_e32 v40, 16, v40
	s_delay_alu instid0(VALU_DEP_2) | instskip(NEXT) | instid1(VALU_DEP_1)
	v_add_nc_u16 v41, 0xf800, v41
	v_lshrrev_b16 v41, 8, v41
	s_delay_alu instid0(VALU_DEP_1) | instskip(NEXT) | instid1(VALU_DEP_4)
	v_or_b32_e32 v41, v42, v41
	v_lshlrev_b16 v42, 8, v40
	v_and_b32_e32 v40, 0xf00, v40
	s_delay_alu instid0(VALU_DEP_3) | instskip(NEXT) | instid1(VALU_DEP_3)
	v_add_nc_u16 v41, 0xf800, v41
	v_add_nc_u16 v42, 0xf800, v42
	s_delay_alu instid0(VALU_DEP_1) | instskip(NEXT) | instid1(VALU_DEP_1)
	v_lshrrev_b16 v42, 8, v42
	v_or_b32_e32 v40, v40, v42
	s_delay_alu instid0(VALU_DEP_4) | instskip(SKIP_1) | instid1(VALU_DEP_3)
	v_lshrrev_b32_e32 v42, 8, v41
	v_bfe_i32 v41, v41, 0, 8
	v_add_nc_u16 v40, 0xf800, v40
	s_delay_alu instid0(VALU_DEP_3) | instskip(NEXT) | instid1(VALU_DEP_3)
	v_bfe_i32 v42, v42, 0, 8
	v_cvt_f16_i16_e32 v41, v41
	s_delay_alu instid0(VALU_DEP_2) | instskip(NEXT) | instid1(VALU_DEP_1)
	v_cvt_f16_i16_e32 v42, v42
	v_pack_b32_f16 v41, v41, v42
	v_lshrrev_b32_e32 v42, 8, v40
	v_bfe_i32 v40, v40, 0, 8
	s_delay_alu instid0(VALU_DEP_2) | instskip(NEXT) | instid1(VALU_DEP_2)
	v_bfe_i32 v42, v42, 0, 8
	v_cvt_f16_i16_e32 v40, v40
	s_delay_alu instid0(VALU_DEP_2) | instskip(NEXT) | instid1(VALU_DEP_1)
	v_cvt_f16_i16_e32 v42, v42
	v_pack_b32_f16 v40, v40, v42
	s_wait_loadcnt 0x0
	v_mul_u32_u24_e32 v36, 0x10001, v36
	s_delay_alu instid0(VALU_DEP_1) | instskip(NEXT) | instid1(VALU_DEP_3)
	v_pk_mul_f16 v45, v41, v36
	v_pk_mul_f16 v46, v40, v36
	v_mul_u32_u24_e32 v36, 0x10001, v38
	s_delay_alu instid0(VALU_DEP_1) | instskip(SKIP_4) | instid1(VALU_DEP_1)
	v_pk_fma_f16 v40, v44, v36, v48
	v_pk_fma_f16 v41, v37, v36, v49
	;; [unrolled: 1-line block ×4, first 2 shown]
	v_lshrrev_b32_e32 v36, 16, v39
	v_mul_u32_u24_e32 v39, 0x10001, v36
	s_delay_alu instid0(VALU_DEP_1)
	v_pk_fma_f16 v36, v44, v39, v32
	v_pk_fma_f16 v37, v37, v39, v33
	;; [unrolled: 1-line block ×4, first 2 shown]
	ds_store_b128 v127, v[32:35] offset:16
	ds_store_b128 v127, v[40:43]
	ds_store_b128 v127, v[36:39] offset:16
	s_clause 0x2
	scratch_load_b64 v[32:33], off, off offset:564 th:TH_LOAD_LU
	scratch_load_b32 v34, off, off offset:584 th:TH_LOAD_LU
	scratch_load_b32 v35, off, off offset:1212 th:TH_LOAD_LU
	v_dual_mov_b32 v37, v216 :: v_dual_mov_b32 v38, v85
	s_wait_loadcnt 0x0
	v_fma_f32 v32, v34, v32, v35
	s_clause 0x2
	scratch_load_b32 v34, off, off offset:1204 th:TH_LOAD_LU
	scratch_load_b32 v35, off, off offset:1208 th:TH_LOAD_LU
	;; [unrolled: 1-line block ×3, first 2 shown]
	s_wait_loadcnt 0x1
	v_fma_f32 v33, v34, v33, v35
	v_mov_b32_e32 v34, v89
	scratch_store_b64 off, v[32:33], off offset:564 ; 8-byte Folded Spill
	scratch_load_b32 v32, off, off          ; 4-byte Folded Reload
	s_wait_loadcnt 0x0
	v_add_co_u32 v32, vcc_lo, v32, s10
	scratch_store_b32 off, v32, off         ; 4-byte Folded Spill
	scratch_load_b32 v32, off, off offset:4 ; 4-byte Folded Reload
	s_wait_loadcnt 0x0
	s_wait_alu 0xfffd
	v_add_co_ci_u32_e64 v32, null, 0, v32, vcc_lo
	scratch_store_b32 off, v32, off offset:4 ; 4-byte Folded Spill
	scratch_load_b32 v32, off, off offset:172 ; 4-byte Folded Reload
	s_wait_loadcnt 0x0
	v_add_co_u32 v32, vcc_lo, v32, s6
	scratch_store_b32 off, v32, off offset:172 ; 4-byte Folded Spill
	scratch_load_b32 v32, off, off offset:176 ; 4-byte Folded Reload
	s_wait_loadcnt 0x0
	s_wait_alu 0xfffd
	v_add_co_ci_u32_e64 v32, null, s7, v32, vcc_lo
	scratch_store_b32 off, v32, off offset:176 ; 4-byte Folded Spill
	scratch_load_b32 v32, off, off offset:8 ; 4-byte Folded Reload
	s_wait_loadcnt 0x0
	v_add_co_u32 v32, vcc_lo, v32, s6
	scratch_store_b32 off, v32, off offset:8 ; 4-byte Folded Spill
	scratch_load_b32 v32, off, off offset:12 ; 4-byte Folded Reload
	s_wait_loadcnt 0x0
	s_wait_alu 0xfffd
	v_add_co_ci_u32_e64 v32, null, s7, v32, vcc_lo
	v_add_co_u32 v114, vcc_lo, v114, s6
	scratch_store_b32 off, v32, off offset:12 ; 4-byte Folded Spill
	scratch_load_b32 v32, off, off offset:24 ; 4-byte Folded Reload
	s_wait_loadcnt 0x0
	s_wait_alu 0xfffd
	v_add_co_ci_u32_e64 v32, null, s7, v32, vcc_lo
	v_add_co_u32 v63, vcc_lo, v63, s11
	s_wait_alu 0xfffd
	v_add_co_ci_u32_e64 v57, null, 0, v57, vcc_lo
	scratch_store_b32 off, v32, off offset:24 ; 4-byte Folded Spill
	scratch_load_b32 v32, off, off offset:16 ; 4-byte Folded Reload
	v_add_co_u32 v92, vcc_lo, v92, s11
	s_wait_alu 0xfffd
	v_add_co_ci_u32_e64 v54, null, 0, v54, vcc_lo
	v_add_co_u32 v228, vcc_lo, v228, s11
	s_wait_alu 0xfffd
	v_add_co_ci_u32_e64 v60, null, 0, v60, vcc_lo
	s_wait_loadcnt 0x0
	v_add_co_u32 v32, vcc_lo, v32, s10
	scratch_store_b32 off, v54, off offset:576 ; 4-byte Folded Spill
	v_mov_b32_e32 v54, v92
	v_mov_b32_e32 v92, v94
	scratch_store_b32 off, v32, off offset:16 ; 4-byte Folded Spill
	scratch_load_b32 v32, off, off offset:20 ; 4-byte Folded Reload
	v_dual_mov_b32 v94, v101 :: v_dual_mov_b32 v101, v102
	v_dual_mov_b32 v102, v111 :: v_dual_mov_b32 v111, v113
	v_mov_b32_e32 v113, v123
	v_mov_b32_e32 v123, v129
	;; [unrolled: 1-line block ×3, first 2 shown]
	v_dual_mov_b32 v131, v18 :: v_dual_mov_b32 v18, v142
	v_mov_b32_e32 v142, v138
	v_mov_b32_e32 v138, v144
	;; [unrolled: 1-line block ×3, first 2 shown]
	v_dual_mov_b32 v148, v149 :: v_dual_mov_b32 v149, v150
	v_dual_mov_b32 v150, v233 :: v_dual_mov_b32 v233, v20
	s_wait_loadcnt 0x0
	s_wait_alu 0xfffd
	v_add_co_ci_u32_e64 v32, null, 0, v32, vcc_lo
	v_add_co_u32 v212, vcc_lo, v212, s10
	s_wait_alu 0xfffd
	v_add_co_ci_u32_e64 v43, null, 0, v43, vcc_lo
	v_add_co_u32 v124, vcc_lo, v124, s11
	;; [unrolled: 3-line block ×8, first 2 shown]
	s_clause 0x1
	scratch_store_b32 off, v114, off offset:584
	scratch_store_b32 off, v220, off offset:864
	s_wait_alu 0xfffd
	v_add_co_ci_u32_e64 v62, null, 0, v62, vcc_lo
	s_clause 0x3
	scratch_store_b32 off, v241, off offset:592
	scratch_store_b32 off, v193, off offset:608
	;; [unrolled: 1-line block ×4, first 2 shown]
	scratch_load_b32 v193, off, off offset:1256 th:TH_LOAD_LU ; 4-byte Folded Reload
	s_clause 0x7
	scratch_store_b32 off, v228, off offset:580
	scratch_store_b32 off, v124, off offset:604
	;; [unrolled: 1-line block ×8, first 2 shown]
	scratch_load_b32 v230, off, off offset:868 th:TH_LOAD_LU ; 4-byte Folded Reload
	v_dual_mov_b32 v78, v97 :: v_dual_mov_b32 v241, v3
	v_dual_mov_b32 v237, v16 :: v_dual_mov_b32 v228, v103
	;; [unrolled: 1-line block ×4, first 2 shown]
	v_mov_b32_e32 v124, v174
	v_mov_b32_e32 v128, v242
	v_mov_b32_e32 v132, v19
	v_dual_mov_b32 v242, v243 :: v_dual_mov_b32 v243, v253
	v_dual_mov_b32 v244, v254 :: v_dual_mov_b32 v19, v227
	;; [unrolled: 1-line block ×19, first 2 shown]
	v_mov_b32_e32 v179, v5
	v_mov_b32_e32 v185, v240
	s_clause 0x7
	scratch_load_b32 v218, off, off offset:36 th:TH_LOAD_LU
	scratch_load_b32 v7, off, off offset:32 th:TH_LOAD_LU
	scratch_load_b32 v6, off, off offset:28 th:TH_LOAD_LU
	scratch_load_b32 v219, off, off offset:40 th:TH_LOAD_LU
	scratch_load_b32 v25, off, off offset:52 th:TH_LOAD_LU
	scratch_load_b32 v10, off, off offset:56 th:TH_LOAD_LU
	scratch_load_b32 v12, off, off offset:64 th:TH_LOAD_LU
	scratch_load_b32 v13, off, off offset:68 th:TH_LOAD_LU
	v_dual_mov_b32 v208, v224 :: v_dual_mov_b32 v227, v8
	scratch_load_b32 v8, off, off offset:44 th:TH_LOAD_LU ; 4-byte Folded Reload
	v_mov_b32_e32 v222, v11
	scratch_load_b32 v11, off, off offset:60 th:TH_LOAD_LU ; 4-byte Folded Reload
	v_mov_b32_e32 v5, v14
	s_clause 0x4
	scratch_load_b32 v14, off, off offset:72 th:TH_LOAD_LU
	scratch_load_b32 v16, off, off offset:76 th:TH_LOAD_LU
	;; [unrolled: 1-line block ×5, first 2 shown]
	v_mov_b32_e32 v240, v21
	s_clause 0x12
	scratch_load_b32 v21, off, off offset:88 th:TH_LOAD_LU
	scratch_load_b32 v48, off, off offset:104 th:TH_LOAD_LU
	;; [unrolled: 1-line block ×18, first 2 shown]
	scratch_load_b64 v[35:36], off, off offset:1272
	s_wait_loadcnt 0x23
	v_add_co_u32 v193, vcc_lo, v193, s10
	s_wait_loadcnt 0x22
	s_wait_alu 0xfffd
	v_add_co_ci_u32_e64 v230, null, 0, v230, vcc_lo
	v_add_co_u32 v64, vcc_lo, v64, s11
	s_wait_alu 0xfffd
	v_add_co_ci_u32_e64 v65, null, 0, v65, vcc_lo
	v_add_co_u32 v66, vcc_lo, v66, s11
	;; [unrolled: 3-line block ×34, first 2 shown]
	v_mov_b32_e32 v122, v126
	s_wait_alu 0xfffd
	v_add_co_ci_u32_e64 v31, null, 0, v31, vcc_lo
	v_add_co_u32 v120, vcc_lo, v120, s11
	s_wait_alu 0xfffd
	v_add_co_ci_u32_e64 v121, null, 0, v121, vcc_lo
	v_add_co_u32 v55, vcc_lo, v55, s11
	;; [unrolled: 3-line block ×3, first 2 shown]
	v_mov_b32_e32 v130, v133
	v_mov_b32_e32 v126, v190
	s_wait_alu 0xfffd
	v_add_co_ci_u32_e64 v128, null, 0, v128, vcc_lo
	v_add_co_u32 v124, vcc_lo, v124, s11
	s_wait_alu 0xfffd
	v_add_co_ci_u32_e64 v125, null, 0, v125, vcc_lo
	v_add_co_u32 v129, vcc_lo, v129, s11
	v_mov_b32_e32 v133, v178
	s_wait_alu 0xfffd
	v_add_co_ci_u32_e64 v130, null, 0, v130, vcc_lo
	v_add_co_u32 v126, vcc_lo, v126, s11
	s_wait_alu 0xfffd
	v_add_co_ci_u32_e64 v131, null, 0, v131, vcc_lo
	v_add_co_u32 v132, vcc_lo, v132, s11
	;; [unrolled: 3-line block ×31, first 2 shown]
	v_mov_b32_e32 v178, v28
	s_wait_alu 0xfffd
	v_add_co_ci_u32_e64 v3, null, 0, v3, vcc_lo
	v_add_co_u32 v22, vcc_lo, v22, s11
	s_wait_alu 0xfffd
	v_add_co_ci_u32_e64 v176, null, 0, v176, vcc_lo
	v_add_co_u32 v177, vcc_lo, v177, s11
	s_wait_alu 0xfffd
	v_add_co_ci_u32_e64 v15, null, 0, v15, vcc_lo
	v_add_co_u32 v178, vcc_lo, v178, s11
	s_wait_alu 0xfffd
	v_add_co_ci_u32_e64 v179, null, 0, v179, vcc_lo
	v_add_co_u32 v180, vcc_lo, v180, s11
	s_wait_alu 0xfffd
	v_add_co_ci_u32_e64 v181, null, 0, v181, vcc_lo
	v_add_co_u32 v182, vcc_lo, v182, s11
	s_wait_alu 0xfffd
	v_add_co_ci_u32_e64 v183, null, 0, v183, vcc_lo
	v_add_co_u32 v184, vcc_lo, v184, s11
	s_wait_alu 0xfffd
	v_add_co_ci_u32_e64 v185, null, 0, v185, vcc_lo
	v_add_co_u32 v186, vcc_lo, v186, s11
	v_mov_b32_e32 v190, v213
	s_wait_alu 0xfffd
	v_add_co_ci_u32_e64 v187, null, 0, v187, vcc_lo
	v_add_co_u32 v2, vcc_lo, v2, s11
	s_wait_alu 0xfffd
	v_add_co_ci_u32_e64 v188, null, 0, v188, vcc_lo
	v_add_co_u32 v189, vcc_lo, v189, s11
	;; [unrolled: 3-line block ×11, first 2 shown]
	scratch_load_b32 v9, off, off offset:48 th:TH_LOAD_LU ; 4-byte Folded Reload
	v_mov_b32_e32 v246, v17
	s_clause 0x1
	scratch_load_b32 v17, off, off offset:80 th:TH_LOAD_LU
	scratch_load_b32 v28, off, off offset:92 th:TH_LOAD_LU
	s_wait_alu 0xfffd
	v_add_co_ci_u32_e64 v5, null, 0, v5, vcc_lo
	s_wait_loadcnt 0x22
	v_add_co_u32 v6, vcc_lo, v6, s11
	s_wait_alu 0xfffd
	v_add_co_ci_u32_e64 v7, null, 0, v7, vcc_lo
	v_add_co_u32 v218, vcc_lo, v218, s11
	s_wait_loadcnt 0x21
	s_wait_alu 0xfffd
	v_add_co_ci_u32_e64 v219, null, 0, v219, vcc_lo
	v_add_co_u32 v215, vcc_lo, v215, s11
	s_wait_alu 0xfffd
	v_add_co_ci_u32_e64 v235, null, 0, v235, vcc_lo
	v_add_co_u32 v238, vcc_lo, v238, s11
	;; [unrolled: 3-line block ×5, first 2 shown]
	s_wait_alu 0xfffd
	v_add_co_ci_u32_e64 v213, null, 0, v99, vcc_lo
	s_wait_loadcnt 0x1c
	v_add_co_u32 v8, vcc_lo, v8, s11
	v_mov_b32_e32 v89, v97
	v_dual_mov_b32 v97, v56 :: v_dual_mov_b32 v56, v62
	v_dual_mov_b32 v98, v61 :: v_dual_mov_b32 v61, v194
	v_mov_b32_e32 v99, v58
	s_wait_loadcnt 0x2
	s_wait_alu 0xfffd
	v_add_co_ci_u32_e64 v9, null, 0, v9, vcc_lo
	v_add_co_u32 v25, vcc_lo, v25, s11
	s_wait_alu 0xfffd
	v_add_co_ci_u32_e64 v10, null, 0, v10, vcc_lo
	v_add_co_u32 v11, vcc_lo, v11, s11
	s_wait_alu 0xfffd
	v_add_co_ci_u32_e64 v12, null, 0, v12, vcc_lo
	v_add_co_u32 v13, vcc_lo, v13, s11
	s_wait_alu 0xfffd
	v_add_co_ci_u32_e64 v14, null, 0, v14, vcc_lo
	v_add_co_u32 v16, vcc_lo, v16, s11
	s_wait_loadcnt 0x1
	s_wait_alu 0xfffd
	v_add_co_ci_u32_e64 v17, null, 0, v17, vcc_lo
	v_add_co_u32 v20, vcc_lo, v20, s11
	s_wait_alu 0xfffd
	v_add_co_ci_u32_e64 v21, null, 0, v21, vcc_lo
	s_wait_loadcnt 0x0
	v_add_co_u32 v28, vcc_lo, v28, s11
	s_wait_alu 0xfffd
	v_add_co_ci_u32_e64 v29, null, 0, v29, vcc_lo
	v_add_co_u32 v34, vcc_lo, v34, s11
	s_wait_alu 0xfffd
	v_add_co_ci_u32_e64 v37, null, 0, v37, vcc_lo
	;; [unrolled: 3-line block ×6, first 2 shown]
	v_dual_mov_b32 v88, v95 :: v_dual_mov_b32 v95, v59
	v_mov_b32_e32 v59, v53
	v_dual_mov_b32 v53, v54 :: v_dual_mov_b32 v54, v57
	v_mov_b32_e32 v57, v60
	s_clause 0x3
	scratch_load_b32 v60, off, off offset:1208
	scratch_load_b32 v58, off, off offset:1204
	;; [unrolled: 1-line block ×4, first 2 shown]
	v_add_co_u32 v42, vcc_lo, v42, s11
	s_wait_alu 0xfffd
	v_add_co_ci_u32_e64 v44, null, 0, v44, vcc_lo
	v_add_co_u32 v217, vcc_lo, v217, s11
	s_wait_alu 0xfffd
	v_add_co_ci_u32_e64 v229, null, 0, v229, vcc_lo
	;; [unrolled: 3-line block ×11, first 2 shown]
	s_cbranch_scc1 .LBB31_46
.LBB31_22:                              ; =>This Inner Loop Header: Depth=1
	s_clause 0x1f
	scratch_store_b32 off, v253, off offset:1020
	scratch_store_b32 off, v254, off offset:1016
	scratch_store_b32 off, v138, off offset:1012
	scratch_store_b32 off, v137, off offset:1008
	scratch_store_b32 off, v140, off offset:1004
	scratch_store_b32 off, v255, off offset:1000
	scratch_store_b32 off, v144, off offset:996
	scratch_store_b32 off, v143, off offset:992
	scratch_store_b32 off, v146, off offset:988
	scratch_store_b32 off, v145, off offset:984
	scratch_store_b32 off, v148, off offset:980
	scratch_store_b32 off, v147, off offset:976
	scratch_store_b32 off, v150, off offset:972
	scratch_store_b32 off, v149, off offset:968
	scratch_store_b32 off, v152, off offset:964
	scratch_store_b32 off, v151, off offset:960
	scratch_store_b32 off, v154, off offset:956
	scratch_store_b32 off, v153, off offset:952
	scratch_store_b32 off, v155, off offset:948
	scratch_store_b32 off, v220, off offset:944
	scratch_store_b32 off, v157, off offset:940
	scratch_store_b32 off, v158, off offset:936
	scratch_store_b32 off, v159, off offset:932
	scratch_store_b32 off, v160, off offset:928
	scratch_store_b32 off, v161, off offset:924
	scratch_store_b32 off, v162, off offset:920
	scratch_store_b32 off, v163, off offset:916
	scratch_store_b32 off, v164, off offset:912
	scratch_store_b32 off, v165, off offset:908
	scratch_store_b32 off, v166, off offset:904
	scratch_store_b32 off, v167, off offset:900
	scratch_store_b32 off, v168, off offset:896
	s_clause 0x1f
	scratch_store_b32 off, v169, off offset:892
	scratch_store_b32 off, v170, off offset:888
	scratch_store_b32 off, v171, off offset:884
	scratch_store_b32 off, v172, off offset:880
	scratch_store_b32 off, v173, off offset:876
	scratch_store_b32 off, v174, off offset:872
	scratch_store_b32 off, v240, off offset:860
	scratch_store_b32 off, v223, off offset:856
	scratch_store_b32 off, v33, off offset:168
	scratch_store_b32 off, v32, off offset:164
	scratch_store_b32 off, v224, off offset:160
	scratch_store_b32 off, v49, off offset:156
	scratch_store_b32 off, v233, off offset:852
	scratch_store_b32 off, v232, off offset:848
	scratch_store_b32 off, v231, off offset:844
	scratch_store_b32 off, v175, off offset:152
	scratch_store_b32 off, v234, off offset:840
	scratch_store_b32 off, v52, off offset:148
	scratch_store_b32 off, v195, off offset:836
	scratch_store_b32 off, v45, off offset:144
	scratch_store_b32 off, v119, off offset:140
	scratch_store_b32 off, v118, off offset:832
	scratch_store_b32 off, v47, off offset:136
	scratch_store_b32 off, v46, off offset:132
	scratch_store_b32 off, v229, off offset:828
	scratch_store_b32 off, v217, off offset:824
	scratch_store_b32 off, v44, off offset:128
	scratch_store_b32 off, v42, off offset:124
	scratch_store_b32 off, v216, off offset:820
	scratch_store_b32 off, v51, off offset:120
	scratch_store_b32 off, v41, off offset:116
	scratch_store_b32 off, v40, off offset:112
	;; [unrolled: 33-line block ×4, first 2 shown]
	s_clause 0x7
	scratch_store_b32 off, v179, off offset:644
	scratch_store_b32 off, v178, off offset:640
	;; [unrolled: 1-line block ×8, first 2 shown]
	v_add_co_u32 v37, vcc_lo, v193, s9
	s_wait_alu 0xfffd
	v_add_co_ci_u32_e64 v38, null, 0, v230, vcc_lo
	v_dual_mov_b32 v29, v252 :: v_dual_mov_b32 v28, v251
	v_dual_mov_b32 v25, v248 :: v_dual_mov_b32 v138, v247
	;; [unrolled: 1-line block ×6, first 2 shown]
	s_clause 0xa
	scratch_load_b32 v133, off, off offset:600
	scratch_load_b32 v132, off, off offset:612
	;; [unrolled: 1-line block ×11, first 2 shown]
	global_load_b32 v39, v[37:38], off offset:-140
	v_add_co_u32 v32, vcc_lo, v212, s9
	s_wait_alu 0xfffd
	v_add_co_ci_u32_e64 v33, null, 0, v43, vcc_lo
	v_dual_mov_b32 v134, v193 :: v_dual_mov_b32 v251, v43
	s_clause 0x1
	global_load_b32 v34, v[32:33], off offset:4
	global_load_b32 v40, v[32:33], off offset:12
	global_load_b32 v41, v[37:38], off offset:-120
	s_clause 0x1
	global_load_b32 v42, v[32:33], off offset:24
	global_load_b32 v43, v[32:33], off offset:32
	s_clause 0x5
	global_load_b32 v44, v[37:38], off offset:-100
	global_load_b32 v45, v[37:38], off offset:-80
	;; [unrolled: 1-line block ×5, first 2 shown]
	global_load_b32 v205, v[37:38], off
	v_dual_mov_b32 v137, v250 :: v_dual_mov_b32 v140, v249
	v_mov_b32_e32 v250, v212
	v_dual_mov_b32 v152, v209 :: v_dual_mov_b32 v155, v241
	v_dual_mov_b32 v144, v246 :: v_dual_mov_b32 v21, v142
	v_mov_b32_e32 v142, v120
	s_wait_loadcnt 0x18
	v_mov_b32_e32 v120, v194
	v_dual_mov_b32 v150, v210 :: v_dual_mov_b32 v153, v236
	v_dual_mov_b32 v7, v129 :: v_dual_mov_b32 v4, v128
	v_mov_b32_e32 v129, v110
	v_dual_mov_b32 v131, v108 :: v_dual_mov_b32 v110, v109
	v_dual_mov_b32 v109, v102 :: v_dual_mov_b32 v108, v100
	;; [unrolled: 1-line block ×3, first 2 shown]
	v_mov_b32_e32 v100, v92
	v_dual_mov_b32 v94, v93 :: v_dual_mov_b32 v93, v86
	v_dual_mov_b32 v86, v192 :: v_dual_mov_b32 v149, v211
	;; [unrolled: 1-line block ×6, first 2 shown]
	v_mov_b32_e32 v161, v78
	v_dual_mov_b32 v17, v135 :: v_dual_mov_b32 v16, v244
	v_dual_mov_b32 v5, v124 :: v_dual_mov_b32 v2, v122
	v_mov_b32_e32 v122, v60
	v_dual_mov_b32 v60, v57 :: v_dual_mov_b32 v135, v230
	v_dual_mov_b32 v3, v123 :: v_dual_mov_b32 v0, v121
	;; [unrolled: 1-line block ×3, first 2 shown]
	s_wait_loadcnt 0x17
	v_dual_mov_b32 v123, v59 :: v_dual_mov_b32 v124, v62
	v_mov_b32_e32 v255, v56
	v_mov_b32_e32 v57, v54
	s_wait_loadcnt 0xa
	v_and_b32_e32 v203, 0xf0f0f0f, v34
	v_lshrrev_b32_e32 v34, 4, v34
	v_cvt_f32_f16_e64 v200, v39
	v_lshrrev_b32_e32 v37, 16, v39
	s_clause 0x3
	global_load_b32 v38, v[32:33], off offset:44
	global_load_b32 v39, v[32:33], off offset:52
	;; [unrolled: 1-line block ×4, first 2 shown]
	s_clause 0x1
	scratch_load_b64 v[118:119], off, off offset:180
	scratch_load_b128 v[176:179], off, off offset:212
	s_wait_loadcnt 0xa
	v_cvt_f32_f16_e64 v182, v45
	v_and_b32_e32 v202, 0xf0f0f0f, v40
	v_cvt_f32_f16_e64 v204, v37
	v_and_b32_e32 v201, 0xf0f0f0f, v34
	v_lshrrev_b32_e32 v50, 4, v40
	v_cvt_f32_f16_e64 v194, v41
	v_cvt_f32_f16_e64 v188, v44
	v_and_b32_e32 v196, 0xf0f0f0f, v42
	scratch_load_b32 v241, off, off offset:1320 ; 4-byte Folded Reload
	v_and_b32_e32 v199, 0xf0f0f0f, v50
	v_and_b32_e32 v197, 0xf0f0f0f, v43
	s_wait_loadcnt 0x6
	v_and_b32_e32 v190, 0xf0f0f0f, v38
	s_wait_loadcnt 0x5
	;; [unrolled: 2-line block ×4, first 2 shown]
	v_dot4_i32_iu8 v34, v203, v118, 0 neg_lo:[1,1,0]
	v_dot4_i32_iu8 v37, v202, v119, 0 neg_lo:[1,1,0]
	scratch_load_b64 v[118:119], off, off offset:188 ; 8-byte Folded Reload
	s_wait_loadcnt 0x2
	v_mul_f32_e32 v40, v177, v204
	v_cvt_f32_i32_e32 v34, v34
	v_cvt_f32_i32_e32 v37, v37
	s_delay_alu instid0(VALU_DEP_3)
	v_mul_f32_e32 v206, 0x3e000000, v40
	s_wait_loadcnt 0x0
	v_dot4_i32_iu8 v40, v201, v118, 0 neg_lo:[1,1,0]
	v_mul_f32_e32 v118, v176, v200
	v_dot4_i32_iu8 v50, v199, v119, 0 neg_lo:[1,1,0]
	v_cvt_f32_f16_e64 v176, v46
	s_delay_alu instid0(VALU_DEP_4) | instskip(NEXT) | instid1(VALU_DEP_4)
	v_cvt_f32_i32_e32 v40, v40
	v_fma_f32 v207, v118, v34, v206
	v_lshrrev_b32_e32 v34, 16, v41
	v_cvt_f32_i32_e32 v50, v50
	v_fma_f32 v208, v118, v37, v206
	v_fma_f32 v209, v118, v40, v206
	v_lshrrev_b32_e32 v40, 4, v43
	v_lshrrev_b32_e32 v37, 4, v42
	v_cvt_f32_f16_e64 v198, v34
	v_fmac_f32_e32 v206, v118, v50
	scratch_load_b64 v[118:119], off, off offset:284 ; 8-byte Folded Reload
	v_dual_mul_f32 v42, v178, v194 :: v_dual_and_b32 v193, 0xf0f0f0f, v40
	scratch_load_b64 v[40:41], off, off offset:196 ; 8-byte Folded Reload
	v_and_b32_e32 v195, 0xf0f0f0f, v37
	v_add_f32_e32 v207, 0, v207
	s_wait_loadcnt 0x0
	v_dot4_i32_iu8 v34, v196, v40, 0 neg_lo:[1,1,0]
	v_mul_f32_e32 v40, v179, v198
	v_dot4_i32_iu8 v37, v197, v41, 0 neg_lo:[1,1,0]
	s_delay_alu instid0(VALU_DEP_3) | instskip(NEXT) | instid1(VALU_DEP_3)
	v_cvt_f32_i32_e32 v34, v34
	v_mul_f32_e32 v210, 0x3e000000, v40
	scratch_load_b64 v[40:41], off, off offset:204 ; 8-byte Folded Reload
	v_cvt_f32_i32_e32 v37, v37
	v_fma_f32 v211, v42, v34, v210
	v_lshrrev_b32_e32 v34, 16, v44
	s_delay_alu instid0(VALU_DEP_3) | instskip(SKIP_2) | instid1(VALU_DEP_4)
	v_fma_f32 v212, v42, v37, v210
	v_lshrrev_b32_e32 v37, 4, v38
	v_lshrrev_b32_e32 v38, 4, v39
	v_cvt_f32_f16_e64 v192, v34
	s_delay_alu instid0(VALU_DEP_3) | instskip(NEXT) | instid1(VALU_DEP_3)
	v_and_b32_e32 v189, 0xf0f0f0f, v37
	v_and_b32_e32 v187, 0xf0f0f0f, v38
	scratch_load_b64 v[37:38], off, off offset:276 ; 8-byte Folded Reload
	s_wait_loadcnt 0x1
	v_dot4_i32_iu8 v40, v195, v40, 0 neg_lo:[1,1,0]
	v_dot4_i32_iu8 v41, v193, v41, 0 neg_lo:[1,1,0]
	s_delay_alu instid0(VALU_DEP_2) | instskip(NEXT) | instid1(VALU_DEP_2)
	v_cvt_f32_i32_e32 v40, v40
	v_cvt_f32_i32_e32 v41, v41
	s_delay_alu instid0(VALU_DEP_2) | instskip(NEXT) | instid1(VALU_DEP_2)
	v_fma_f32 v213, v42, v40, v210
	v_fmac_f32_e32 v210, v42, v41
	scratch_load_b128 v[41:44], off, off offset:228 ; 16-byte Folded Reload
	v_dot4_i32_iu8 v40, v187, v119, 0 neg_lo:[1,1,0]
	s_wait_loadcnt 0x1
	v_dot4_i32_iu8 v34, v190, v37, 0 neg_lo:[1,1,0]
	v_dot4_i32_iu8 v37, v191, v38, 0 neg_lo:[1,1,0]
	v_add_f32_e32 v207, v207, v208
	v_cvt_f32_i32_e32 v40, v40
	s_delay_alu instid0(VALU_DEP_4) | instskip(NEXT) | instid1(VALU_DEP_4)
	v_cvt_f32_i32_e32 v34, v34
	v_cvt_f32_i32_e32 v37, v37
	s_delay_alu instid0(VALU_DEP_4) | instskip(NEXT) | instid1(VALU_DEP_1)
	v_add_f32_e32 v207, v207, v209
	v_add_f32_e32 v206, v207, v206
	s_delay_alu instid0(VALU_DEP_1) | instskip(NEXT) | instid1(VALU_DEP_1)
	v_dual_add_f32 v206, v206, v211 :: v_dual_mov_b32 v211, v241
	v_add_f32_e32 v206, v206, v212
	s_delay_alu instid0(VALU_DEP_1) | instskip(NEXT) | instid1(VALU_DEP_1)
	v_add_f32_e32 v206, v206, v213
	v_add_f32_e32 v206, v206, v210
	s_wait_loadcnt 0x0
	v_mul_f32_e32 v38, v42, v192
	v_mul_f32_e32 v41, v41, v188
	s_delay_alu instid0(VALU_DEP_2) | instskip(SKIP_1) | instid1(VALU_DEP_2)
	v_mul_f32_e32 v39, 0x3e000000, v38
	v_dot4_i32_iu8 v38, v189, v118, 0 neg_lo:[1,1,0]
	v_fma_f32 v215, v41, v37, v39
	s_delay_alu instid0(VALU_DEP_2) | instskip(SKIP_3) | instid1(VALU_DEP_4)
	v_cvt_f32_i32_e32 v38, v38
	v_lshrrev_b32_e32 v37, 4, v48
	v_fma_f32 v214, v41, v34, v39
	v_lshrrev_b32_e32 v34, 16, v45
	v_fma_f32 v216, v41, v38, v39
	v_lshrrev_b32_e32 v38, 4, v49
	v_and_b32_e32 v183, 0xf0f0f0f, v37
	v_fmac_f32_e32 v39, v41, v40
	scratch_load_b64 v[40:41], off, off offset:300 ; 8-byte Folded Reload
	v_cvt_f32_f16_e64 v186, v34
	v_and_b32_e32 v180, 0xf0f0f0f, v38
	scratch_load_b64 v[37:38], off, off offset:292 ; 8-byte Folded Reload
	v_and_b32_e32 v185, 0xf0f0f0f, v49
	s_wait_loadcnt 0x0
	v_dot4_i32_iu8 v34, v184, v37, 0 neg_lo:[1,1,0]
	s_delay_alu instid0(VALU_DEP_2) | instskip(SKIP_1) | instid1(VALU_DEP_3)
	v_dot4_i32_iu8 v37, v185, v38, 0 neg_lo:[1,1,0]
	v_mul_f32_e32 v38, v44, v186
	v_cvt_f32_i32_e32 v34, v34
	s_delay_alu instid0(VALU_DEP_3) | instskip(NEXT) | instid1(VALU_DEP_3)
	v_cvt_f32_i32_e32 v37, v37
	v_mul_f32_e32 v217, 0x3e000000, v38
	v_dot4_i32_iu8 v38, v183, v40, 0 neg_lo:[1,1,0]
	v_dot4_i32_iu8 v40, v180, v41, 0 neg_lo:[1,1,0]
	v_mul_f32_e32 v41, v43, v182
	s_delay_alu instid0(VALU_DEP_3) | instskip(NEXT) | instid1(VALU_DEP_3)
	v_cvt_f32_i32_e32 v38, v38
	v_cvt_f32_i32_e32 v40, v40
	s_delay_alu instid0(VALU_DEP_3) | instskip(SKIP_1) | instid1(VALU_DEP_4)
	v_fma_f32 v218, v41, v34, v217
	v_fma_f32 v219, v41, v37, v217
	;; [unrolled: 1-line block ×3, first 2 shown]
	s_delay_alu instid0(VALU_DEP_4)
	v_fmac_f32_e32 v217, v41, v40
	s_clause 0x7
	global_load_b32 v34, v[32:33], off offset:84
	global_load_b32 v37, v[32:33], off offset:92
	;; [unrolled: 1-line block ×8, first 2 shown]
	v_lshrrev_b32_e32 v32, 16, v46
	s_clause 0x2
	scratch_load_b128 v[225:228], off, off offset:244
	scratch_load_b128 v[237:240], off, off offset:260
	scratch_load_b64 v[234:235], off, off offset:356
	v_cvt_f32_f16_e32 v46, v51
	v_cvt_f32_f16_e64 v181, v32
	v_add_f32_e32 v206, v206, v214
	s_wait_loadcnt 0xa
	v_and_b32_e32 v178, 0xf0f0f0f, v34
	s_wait_loadcnt 0x9
	v_lshrrev_b32_e32 v43, 4, v37
	v_lshrrev_b32_e32 v34, 4, v34
	v_and_b32_e32 v179, 0xf0f0f0f, v37
	s_wait_loadcnt 0x8
	v_and_b32_e32 v48, 0xf0f0f0f, v38
	v_and_b32_e32 v119, 0xf0f0f0f, v43
	scratch_load_b64 v[43:44], off, off offset:308 ; 8-byte Folded Reload
	v_and_b32_e32 v177, 0xf0f0f0f, v34
	s_wait_loadcnt 0x3
	v_mul_f32_e32 v37, v226, v181
	s_delay_alu instid0(VALU_DEP_1)
	v_mul_f32_e32 v222, 0x3e000000, v37
	s_wait_loadcnt 0x0
	v_dot4_i32_iu8 v32, v178, v43, 0 neg_lo:[1,1,0]
	v_dot4_i32_iu8 v34, v179, v44, 0 neg_lo:[1,1,0]
	scratch_load_b64 v[43:44], off, off offset:316 ; 8-byte Folded Reload
	v_cvt_f32_i32_e32 v32, v32
	v_cvt_f32_i32_e32 v34, v34
	s_wait_loadcnt 0x0
	v_dot4_i32_iu8 v37, v177, v43, 0 neg_lo:[1,1,0]
	v_dot4_i32_iu8 v43, v119, v44, 0 neg_lo:[1,1,0]
	v_mul_f32_e32 v44, v225, v176
	s_delay_alu instid0(VALU_DEP_3) | instskip(NEXT) | instid1(VALU_DEP_3)
	v_cvt_f32_i32_e32 v37, v37
	v_cvt_f32_i32_e32 v43, v43
	s_delay_alu instid0(VALU_DEP_3)
	v_fma_f32 v224, v44, v34, v222
	v_lshrrev_b32_e32 v34, 4, v38
	v_fma_f32 v223, v44, v32, v222
	v_fma_f32 v225, v44, v37, v222
	v_lshrrev_b32_e32 v37, 4, v40
	v_lshrrev_b32_e32 v32, 16, v47
	s_delay_alu instid0(VALU_DEP_2) | instskip(SKIP_3) | instid1(VALU_DEP_1)
	v_dual_add_f32 v206, v206, v215 :: v_dual_and_b32 v45, 0xf0f0f0f, v37
	scratch_load_b64 v[37:38], off, off offset:324 ; 8-byte Folded Reload
	v_cvt_f32_f16_e32 v50, v32
	v_add_f32_e32 v206, v206, v216
	v_add_f32_e32 v39, v206, v39
	s_delay_alu instid0(VALU_DEP_1) | instskip(NEXT) | instid1(VALU_DEP_1)
	v_add_f32_e32 v39, v39, v218
	v_add_f32_e32 v39, v39, v219
	s_delay_alu instid0(VALU_DEP_1) | instskip(NEXT) | instid1(VALU_DEP_1)
	v_add_f32_e32 v39, v39, v220
	v_add_f32_e32 v39, v39, v217
	s_delay_alu instid0(VALU_DEP_1) | instskip(NEXT) | instid1(VALU_DEP_1)
	v_add_f32_e32 v39, v39, v223
	v_add_f32_e32 v39, v39, v224
	s_delay_alu instid0(VALU_DEP_1)
	v_add_f32_e32 v39, v39, v225
	s_wait_loadcnt 0x0
	v_dot4_i32_iu8 v32, v48, v37, 0 neg_lo:[1,1,0]
	v_mul_f32_e32 v37, v228, v50
	v_fmac_f32_e32 v222, v44, v43
	v_cvt_f32_f16_e32 v44, v47
	v_mul_f32_e32 v43, v237, v46
	v_and_b32_e32 v49, 0xf0f0f0f, v40
	v_cvt_f32_i32_e32 v32, v32
	v_mul_f32_e32 v226, 0x3e000000, v37
	v_dual_mul_f32 v40, v227, v44 :: v_dual_and_b32 v47, 0xf0f0f0f, v34
	s_delay_alu instid0(VALU_DEP_4)
	v_dot4_i32_iu8 v34, v49, v38, 0 neg_lo:[1,1,0]
	scratch_load_b64 v[37:38], off, off offset:332 ; 8-byte Folded Reload
	v_add_f32_e32 v39, v39, v222
	v_fma_f32 v227, v40, v32, v226
	v_lshrrev_b32_e32 v32, 16, v51
	v_and_b32_e32 v51, 0xf0f0f0f, v41
	v_cvt_f32_i32_e32 v34, v34
	s_delay_alu instid0(VALU_DEP_4) | instskip(NEXT) | instid1(VALU_DEP_4)
	v_add_f32_e32 v39, v39, v227
	v_cvt_f32_f16_e32 v118, v32
	s_delay_alu instid0(VALU_DEP_3) | instskip(SKIP_1) | instid1(VALU_DEP_2)
	v_fma_f32 v228, v40, v34, v226
	v_lshrrev_b32_e32 v34, 4, v41
	v_add_f32_e32 v39, v39, v228
	s_wait_loadcnt 0x0
	v_dot4_i32_iu8 v37, v47, v37, 0 neg_lo:[1,1,0]
	v_dot4_i32_iu8 v38, v45, v38, 0 neg_lo:[1,1,0]
	s_delay_alu instid0(VALU_DEP_2) | instskip(NEXT) | instid1(VALU_DEP_2)
	v_cvt_f32_i32_e32 v37, v37
	v_cvt_f32_i32_e32 v38, v38
	s_delay_alu instid0(VALU_DEP_2) | instskip(SKIP_1) | instid1(VALU_DEP_3)
	v_fma_f32 v229, v40, v37, v226
	v_and_b32_e32 v37, 0xf0f0f0f, v34
	v_fmac_f32_e32 v226, v40, v38
	v_lshrrev_b32_e32 v40, 4, v42
	s_delay_alu instid0(VALU_DEP_4) | instskip(NEXT) | instid1(VALU_DEP_2)
	v_dual_add_f32 v39, v39, v229 :: v_dual_and_b32 v38, 0xf0f0f0f, v42
	v_and_b32_e32 v32, 0xf0f0f0f, v40
	scratch_load_b64 v[40:41], off, off offset:340 ; 8-byte Folded Reload
	v_add_f32_e32 v39, v39, v226
	s_wait_loadcnt 0x0
	v_dot4_i32_iu8 v34, v51, v40, 0 neg_lo:[1,1,0]
	v_dot4_i32_iu8 v40, v38, v41, 0 neg_lo:[1,1,0]
	v_mul_f32_e32 v41, v238, v118
	s_delay_alu instid0(VALU_DEP_3) | instskip(NEXT) | instid1(VALU_DEP_3)
	v_cvt_f32_i32_e32 v34, v34
	v_cvt_f32_i32_e32 v40, v40
	s_delay_alu instid0(VALU_DEP_3)
	v_mul_f32_e32 v230, 0x3e000000, v41
	scratch_load_b64 v[41:42], off, off offset:348 ; 8-byte Folded Reload
	v_fma_f32 v232, v43, v40, v230
	v_and_b32_e32 v40, 0xf0f0f0f, v33
	v_fma_f32 v231, v43, v34, v230
	v_lshrrev_b32_e32 v34, 16, v205
	s_delay_alu instid0(VALU_DEP_2) | instskip(NEXT) | instid1(VALU_DEP_1)
	v_add_f32_e32 v39, v39, v231
	v_add_f32_e32 v39, v39, v232
	s_wait_loadcnt 0x0
	v_dot4_i32_iu8 v41, v37, v41, 0 neg_lo:[1,1,0]
	v_dot4_i32_iu8 v42, v32, v42, 0 neg_lo:[1,1,0]
	s_delay_alu instid0(VALU_DEP_2) | instskip(NEXT) | instid1(VALU_DEP_2)
	v_cvt_f32_i32_e32 v41, v41
	v_cvt_f32_i32_e32 v42, v42
	s_delay_alu instid0(VALU_DEP_2) | instskip(NEXT) | instid1(VALU_DEP_2)
	v_fma_f32 v233, v43, v41, v230
	v_fmac_f32_e32 v230, v43, v42
	v_cvt_f32_f16_e64 v41, v205
	v_and_b32_e32 v43, 0xf0f0f0f, v221
	v_lshrrev_b32_e32 v205, 4, v221
	v_lshrrev_b32_e32 v221, 4, v33
	v_cvt_f32_f16_e32 v42, v34
	v_mul_f32_e32 v237, v239, v41
	v_add_f32_e32 v39, v39, v233
	v_and_b32_e32 v34, 0xf0f0f0f, v205
	v_and_b32_e32 v33, 0xf0f0f0f, v221
	v_dot4_i32_iu8 v221, v40, v235, 0 neg_lo:[1,1,0]
	scratch_load_b64 v[235:236], off, off offset:364 ; 8-byte Folded Reload
	v_dot4_i32_iu8 v205, v43, v234, 0 neg_lo:[1,1,0]
	v_mul_f32_e32 v234, v240, v42
	v_add_f32_e32 v39, v39, v230
	v_cvt_f32_i32_e32 v221, v221
	s_delay_alu instid0(VALU_DEP_4) | instskip(NEXT) | instid1(VALU_DEP_4)
	v_cvt_f32_i32_e32 v205, v205
	v_mul_f32_e32 v234, 0x3e000000, v234
	s_delay_alu instid0(VALU_DEP_1) | instskip(NEXT) | instid1(VALU_DEP_4)
	v_fma_f32 v205, v237, v205, v234
	v_fma_f32 v221, v237, v221, v234
	s_delay_alu instid0(VALU_DEP_2) | instskip(NEXT) | instid1(VALU_DEP_1)
	v_add_f32_e32 v39, v39, v205
	v_add_f32_e32 v39, v39, v221
	s_wait_loadcnt 0x0
	v_dot4_i32_iu8 v235, v34, v235, 0 neg_lo:[1,1,0]
	v_dot4_i32_iu8 v236, v33, v236, 0 neg_lo:[1,1,0]
	s_delay_alu instid0(VALU_DEP_2) | instskip(NEXT) | instid1(VALU_DEP_2)
	v_cvt_f32_i32_e32 v235, v235
	v_cvt_f32_i32_e32 v236, v236
	s_delay_alu instid0(VALU_DEP_2) | instskip(NEXT) | instid1(VALU_DEP_1)
	v_fma_f32 v235, v237, v235, v234
	v_dual_fmac_f32 v234, v237, v236 :: v_dual_add_f32 v39, v39, v235
	s_delay_alu instid0(VALU_DEP_1) | instskip(SKIP_3) | instid1(VALU_DEP_1)
	v_add_f32_e32 v39, v39, v234
	ds_bpermute_b32 v205, v241, v39
	s_wait_dscnt 0x0
	v_add_f32_e32 v39, v39, v205
                                        ; implicit-def: $vgpr205
	v_cmp_ngt_f32_e64 s4, 0x3f200000, |v39|
	s_and_saveexec_b32 s13, s4
	s_wait_alu 0xfffe
	s_xor_b32 s4, exec_lo, s13
	s_cbranch_execz .LBB31_24
; %bb.23:                               ;   in Loop: Header=BB31_22 Depth=1
	v_add_f32_e64 v205, |v39|, |v39|
	s_delay_alu instid0(VALU_DEP_1) | instskip(SKIP_1) | instid1(VALU_DEP_2)
	v_mul_f32_e32 v206, 0x3fb8aa3b, v205
	v_cmp_ngt_f32_e32 vcc_lo, 0xc2ce8ed0, v205
	v_rndne_f32_e32 v207, v206
	v_fma_f32 v208, 0x3fb8aa3b, v205, -v206
	s_delay_alu instid0(VALU_DEP_2) | instskip(NEXT) | instid1(VALU_DEP_2)
	v_sub_f32_e32 v206, v206, v207
	v_fmac_f32_e32 v208, 0x32a5705f, v205
	v_cvt_i32_f32_e32 v207, v207
	s_delay_alu instid0(VALU_DEP_2) | instskip(NEXT) | instid1(VALU_DEP_1)
	v_add_f32_e32 v206, v206, v208
	v_exp_f32_e32 v206, v206
	s_delay_alu instid0(TRANS32_DEP_1) | instskip(SKIP_1) | instid1(VALU_DEP_1)
	v_ldexp_f32 v206, v206, v207
	s_wait_alu 0xfffd
	v_cndmask_b32_e32 v206, 0, v206, vcc_lo
	v_cmp_nlt_f32_e32 vcc_lo, 0x42b17218, v205
	s_wait_alu 0xfffd
	s_delay_alu instid0(VALU_DEP_2) | instskip(NEXT) | instid1(VALU_DEP_1)
	v_cndmask_b32_e32 v205, 0x7f800000, v206, vcc_lo
	v_add_f32_e32 v205, 1.0, v205
	s_delay_alu instid0(VALU_DEP_1) | instskip(NEXT) | instid1(TRANS32_DEP_1)
	v_rcp_f32_e32 v205, v205
	v_fma_f32 v205, v205, -2.0, 1.0
.LBB31_24:                              ;   in Loop: Header=BB31_22 Depth=1
	s_wait_alu 0xfffe
	s_or_saveexec_b32 s4, s4
	scratch_load_b32 v212, off, off offset:572 ; 4-byte Folded Reload
	s_wait_alu 0xfffe
	s_xor_b32 exec_lo, exec_lo, s4
	s_cbranch_execz .LBB31_26
; %bb.25:                               ;   in Loop: Header=BB31_22 Depth=1
	v_mul_f32_e32 v205, v39, v39
	s_delay_alu instid0(VALU_DEP_1) | instskip(NEXT) | instid1(VALU_DEP_1)
	v_fmaak_f32 v206, s5, v205, 0x3ca908c9
	v_fmaak_f32 v206, v205, v206, 0xbd5c1c4e
	s_delay_alu instid0(VALU_DEP_1) | instskip(NEXT) | instid1(VALU_DEP_1)
	v_fmaak_f32 v206, v205, v206, 0x3e088382
	v_fmaak_f32 v206, v205, v206, 0xbeaaaa99
	s_delay_alu instid0(VALU_DEP_1) | instskip(NEXT) | instid1(VALU_DEP_1)
	v_mul_f32_e64 v206, |v39|, v206
	v_fma_f32 v205, v205, v206, |v39|
.LBB31_26:                              ;   in Loop: Header=BB31_22 Depth=1
	s_or_b32 exec_lo, exec_lo, s4
	s_delay_alu instid0(VALU_DEP_1) | instskip(SKIP_1) | instid1(VALU_DEP_1)
	v_bfi_b32 v39, 0x7fffffff, v205, v39
	s_and_not1_b32 vcc_lo, exec_lo, s89
	v_mul_f32_e32 v39, s79, v39
	s_wait_alu 0xfffe
	s_cbranch_vccnz .LBB31_28
; %bb.27:                               ;   in Loop: Header=BB31_22 Depth=1
	s_clause 0x1
	scratch_load_b32 v205, off, off offset:8
	scratch_load_b32 v206, off, off offset:12
	s_wait_loadcnt 0x1
	v_add_co_u32 v205, vcc_lo, v205, s71
	s_wait_loadcnt 0x0
	s_wait_alu 0xfffd
	v_add_co_ci_u32_e64 v206, null, s77, v206, vcc_lo
	global_load_u16 v205, v[205:206], off offset:-2
	s_wait_loadcnt 0x0
	v_fma_mix_f32 v39, v212, v205, v39 op_sel_hi:[0,1,0]
.LBB31_28:                              ;   in Loop: Header=BB31_22 Depth=1
	s_clause 0x1
	scratch_load_b64 v[205:206], off, off offset:372
	scratch_load_b128 v[207:210], off, off offset:412
	s_wait_loadcnt 0x1
	v_dot4_i32_iu8 v203, v203, v205, 0 neg_lo:[1,1,0]
	v_dot4_i32_iu8 v202, v202, v206, 0 neg_lo:[1,1,0]
	scratch_load_b64 v[205:206], off, off offset:380 ; 8-byte Folded Reload
	s_wait_loadcnt 0x1
	v_mul_f32_e32 v204, v208, v204
	v_mul_f32_e32 v200, v207, v200
	v_cvt_f32_i32_e32 v203, v203
	v_cvt_f32_i32_e32 v202, v202
	v_mul_f32_e32 v198, v210, v198
	v_mul_f32_e32 v204, 0x3e000000, v204
	s_delay_alu instid0(VALU_DEP_2) | instskip(NEXT) | instid1(VALU_DEP_2)
	v_mul_f32_e32 v198, 0x3e000000, v198
	v_fma_f32 v203, v200, v203, v204
	v_fma_f32 v202, v200, v202, v204
	s_wait_loadcnt 0x0
	v_dot4_i32_iu8 v201, v201, v205, 0 neg_lo:[1,1,0]
	v_dot4_i32_iu8 v199, v199, v206, 0 neg_lo:[1,1,0]
	scratch_load_b128 v[205:208], off, off offset:428 ; 16-byte Folded Reload
	v_cvt_f32_i32_e32 v201, v201
	v_cvt_f32_i32_e32 v199, v199
	s_delay_alu instid0(VALU_DEP_2) | instskip(NEXT) | instid1(VALU_DEP_2)
	v_fma_f32 v201, v200, v201, v204
	v_fmac_f32_e32 v204, v200, v199
	scratch_load_b64 v[199:200], off, off offset:388 ; 8-byte Folded Reload
	v_mul_f32_e32 v194, v209, v194
	s_wait_loadcnt 0x1
	v_mul_f32_e32 v188, v205, v188
	v_mul_f32_e32 v192, v206, v192
	;; [unrolled: 1-line block ×4, first 2 shown]
	scratch_load_b128 v[205:208], off, off offset:532 ; 16-byte Folded Reload
	v_mul_f32_e32 v192, 0x3e000000, v192
	v_mul_f32_e32 v186, 0x3e000000, v186
	s_wait_loadcnt 0x1
	v_dot4_i32_iu8 v196, v196, v199, 0 neg_lo:[1,1,0]
	v_dot4_i32_iu8 v197, v197, v200, 0 neg_lo:[1,1,0]
	scratch_load_b64 v[199:200], off, off offset:396 ; 8-byte Folded Reload
	v_cvt_f32_i32_e32 v196, v196
	v_cvt_f32_i32_e32 v197, v197
	s_delay_alu instid0(VALU_DEP_2) | instskip(NEXT) | instid1(VALU_DEP_2)
	v_fma_f32 v196, v194, v196, v198
	v_fma_f32 v197, v194, v197, v198
	s_wait_loadcnt 0x1
	v_mul_f32_e32 v44, v207, v44
	v_mul_f32_e32 v50, v208, v50
	s_delay_alu instid0(VALU_DEP_1) | instskip(SKIP_3) | instid1(VALU_DEP_2)
	v_mul_f32_e32 v50, 0x3e000000, v50
	s_wait_loadcnt 0x0
	v_dot4_i32_iu8 v195, v195, v199, 0 neg_lo:[1,1,0]
	v_dot4_i32_iu8 v193, v193, v200, 0 neg_lo:[1,1,0]
	v_cvt_f32_i32_e32 v195, v195
	s_delay_alu instid0(VALU_DEP_2) | instskip(NEXT) | instid1(VALU_DEP_2)
	v_cvt_f32_i32_e32 v193, v193
	v_fma_f32 v195, v194, v195, v198
	s_delay_alu instid0(VALU_DEP_2)
	v_fmac_f32_e32 v198, v194, v193
	scratch_load_b64 v[193:194], off, off offset:404 ; 8-byte Folded Reload
	s_wait_loadcnt 0x0
	v_dot4_i32_iu8 v190, v190, v193, 0 neg_lo:[1,1,0]
	v_dot4_i32_iu8 v191, v191, v194, 0 neg_lo:[1,1,0]
	scratch_load_b64 v[193:194], off, off offset:444 ; 8-byte Folded Reload
	v_cvt_f32_i32_e32 v190, v190
	v_cvt_f32_i32_e32 v191, v191
	s_delay_alu instid0(VALU_DEP_2) | instskip(NEXT) | instid1(VALU_DEP_2)
	v_fma_f32 v190, v188, v190, v192
	v_fma_f32 v191, v188, v191, v192
	s_wait_loadcnt 0x0
	v_dot4_i32_iu8 v189, v189, v193, 0 neg_lo:[1,1,0]
	v_dot4_i32_iu8 v187, v187, v194, 0 neg_lo:[1,1,0]
	s_delay_alu instid0(VALU_DEP_2) | instskip(NEXT) | instid1(VALU_DEP_2)
	v_cvt_f32_i32_e32 v189, v189
	v_cvt_f32_i32_e32 v187, v187
	s_delay_alu instid0(VALU_DEP_2) | instskip(NEXT) | instid1(VALU_DEP_2)
	v_fma_f32 v189, v188, v189, v192
	v_fmac_f32_e32 v192, v188, v187
	scratch_load_b64 v[187:188], off, off offset:452 ; 8-byte Folded Reload
	s_wait_loadcnt 0x0
	v_dot4_i32_iu8 v184, v184, v187, 0 neg_lo:[1,1,0]
	v_dot4_i32_iu8 v185, v185, v188, 0 neg_lo:[1,1,0]
	scratch_load_b64 v[187:188], off, off offset:460 ; 8-byte Folded Reload
	v_cvt_f32_i32_e32 v184, v184
	v_cvt_f32_i32_e32 v185, v185
	s_delay_alu instid0(VALU_DEP_2) | instskip(NEXT) | instid1(VALU_DEP_2)
	v_fma_f32 v184, v182, v184, v186
	v_fma_f32 v185, v182, v185, v186
	s_wait_loadcnt 0x0
	v_dot4_i32_iu8 v183, v183, v187, 0 neg_lo:[1,1,0]
	v_dot4_i32_iu8 v180, v180, v188, 0 neg_lo:[1,1,0]
	scratch_load_b64 v[187:188], off, off offset:468 ; 8-byte Folded Reload
	v_cvt_f32_i32_e32 v183, v183
	v_cvt_f32_i32_e32 v180, v180
	s_delay_alu instid0(VALU_DEP_2) | instskip(NEXT) | instid1(VALU_DEP_2)
	v_fma_f32 v183, v182, v183, v186
	v_fmac_f32_e32 v186, v182, v180
	v_mul_f32_e32 v180, v206, v181
	scratch_load_b64 v[181:182], off, off offset:476 ; 8-byte Folded Reload
	v_mul_f32_e32 v176, v205, v176
	v_mul_f32_e32 v180, 0x3e000000, v180
	s_wait_loadcnt 0x1
	v_dot4_i32_iu8 v178, v178, v187, 0 neg_lo:[1,1,0]
	v_dot4_i32_iu8 v179, v179, v188, 0 neg_lo:[1,1,0]
	s_delay_alu instid0(VALU_DEP_2) | instskip(NEXT) | instid1(VALU_DEP_2)
	v_cvt_f32_i32_e32 v178, v178
	v_cvt_f32_i32_e32 v179, v179
	s_delay_alu instid0(VALU_DEP_2) | instskip(SKIP_4) | instid1(VALU_DEP_3)
	v_fma_f32 v178, v176, v178, v180
	s_wait_loadcnt 0x0
	v_dot4_i32_iu8 v177, v177, v181, 0 neg_lo:[1,1,0]
	v_dot4_i32_iu8 v119, v119, v182, 0 neg_lo:[1,1,0]
	v_fma_f32 v179, v176, v179, v180
	v_cvt_f32_i32_e32 v177, v177
	s_delay_alu instid0(VALU_DEP_3) | instskip(NEXT) | instid1(VALU_DEP_2)
	v_cvt_f32_i32_e32 v119, v119
	v_fma_f32 v177, v176, v177, v180
	s_delay_alu instid0(VALU_DEP_2) | instskip(SKIP_1) | instid1(VALU_DEP_1)
	v_fmac_f32_e32 v180, v176, v119
	v_add_f32_e32 v119, 0, v203
	v_add_f32_e32 v119, v119, v202
	s_delay_alu instid0(VALU_DEP_1) | instskip(NEXT) | instid1(VALU_DEP_1)
	v_add_f32_e32 v119, v119, v201
	v_add_f32_e32 v119, v119, v204
	s_delay_alu instid0(VALU_DEP_1) | instskip(NEXT) | instid1(VALU_DEP_1)
	;; [unrolled: 3-line block ×8, first 2 shown]
	v_add_f32_e32 v119, v119, v178
	v_add_f32_e32 v119, v119, v179
	s_delay_alu instid0(VALU_DEP_1)
	v_add_f32_e32 v119, v119, v177
	scratch_load_b64 v[176:177], off, off offset:484 ; 8-byte Folded Reload
	v_add_f32_e32 v119, v119, v180
	scratch_load_b128 v[178:181], off, off offset:548 ; 16-byte Folded Reload
	s_wait_loadcnt 0x1
	v_dot4_i32_iu8 v48, v48, v176, 0 neg_lo:[1,1,0]
	v_dot4_i32_iu8 v49, v49, v177, 0 neg_lo:[1,1,0]
	scratch_load_b64 v[176:177], off, off offset:492 ; 8-byte Folded Reload
	v_cvt_f32_i32_e32 v48, v48
	v_cvt_f32_i32_e32 v49, v49
	s_wait_loadcnt 0x1
	v_mul_f32_e32 v46, v178, v46
	v_dual_mul_f32 v42, v181, v42 :: v_dual_mul_f32 v41, v180, v41
	v_fma_f32 v48, v44, v48, v50
	v_fma_f32 v49, v44, v49, v50
	s_delay_alu instid0(VALU_DEP_3) | instskip(NEXT) | instid1(VALU_DEP_3)
	v_mul_f32_e32 v42, 0x3e000000, v42
	v_add_f32_e32 v48, v119, v48
	s_delay_alu instid0(VALU_DEP_1)
	v_add_f32_e32 v48, v48, v49
	s_wait_loadcnt 0x0
	v_dot4_i32_iu8 v47, v47, v176, 0 neg_lo:[1,1,0]
	v_dot4_i32_iu8 v45, v45, v177, 0 neg_lo:[1,1,0]
	scratch_load_b64 v[176:177], off, off offset:500 ; 8-byte Folded Reload
	v_cvt_f32_i32_e32 v47, v47
	v_cvt_f32_i32_e32 v45, v45
	s_delay_alu instid0(VALU_DEP_2) | instskip(NEXT) | instid1(VALU_DEP_2)
	v_fma_f32 v47, v44, v47, v50
	v_fmac_f32_e32 v50, v44, v45
	s_delay_alu instid0(VALU_DEP_2)
	v_add_f32_e32 v44, v48, v47
	scratch_load_b64 v[47:48], off, off offset:508 ; 8-byte Folded Reload
	v_add_f32_e32 v44, v44, v50
	s_wait_loadcnt 0x1
	v_dot4_i32_iu8 v51, v51, v176, 0 neg_lo:[1,1,0]
	v_dot4_i32_iu8 v38, v38, v177, 0 neg_lo:[1,1,0]
	s_delay_alu instid0(VALU_DEP_2) | instskip(NEXT) | instid1(VALU_DEP_2)
	v_cvt_f32_i32_e32 v49, v51
	v_cvt_f32_i32_e32 v38, v38
	s_wait_loadcnt 0x0
	v_dot4_i32_iu8 v32, v32, v48, 0 neg_lo:[1,1,0]
	v_dot4_i32_iu8 v37, v37, v47, 0 neg_lo:[1,1,0]
	scratch_load_b64 v[47:48], off, off offset:516 ; 8-byte Folded Reload
	v_cvt_f32_i32_e32 v32, v32
	v_mul_f32_e32 v118, v179, v118
	v_cvt_f32_i32_e32 v37, v37
	s_delay_alu instid0(VALU_DEP_2) | instskip(NEXT) | instid1(VALU_DEP_1)
	v_mul_f32_e32 v51, 0x3e000000, v118
	v_fma_f32 v45, v46, v49, v51
	v_fma_f32 v38, v46, v38, v51
	s_delay_alu instid0(VALU_DEP_4) | instskip(NEXT) | instid1(VALU_DEP_3)
	v_fma_f32 v37, v46, v37, v51
	v_dual_fmac_f32 v51, v46, v32 :: v_dual_add_f32 v44, v44, v45
	s_delay_alu instid0(VALU_DEP_1) | instskip(SKIP_2) | instid1(VALU_DEP_1)
	v_add_f32_e32 v38, v44, v38
	scratch_load_b64 v[44:45], off, off offset:524 ; 8-byte Folded Reload
	v_add_f32_e32 v32, v38, v37
	v_add_f32_e32 v32, v32, v51
	s_wait_loadcnt 0x1
	v_dot4_i32_iu8 v43, v43, v47, 0 neg_lo:[1,1,0]
	v_dot4_i32_iu8 v40, v40, v48, 0 neg_lo:[1,1,0]
	s_delay_alu instid0(VALU_DEP_2) | instskip(NEXT) | instid1(VALU_DEP_2)
	v_cvt_f32_i32_e32 v43, v43
	v_cvt_f32_i32_e32 v37, v40
	s_delay_alu instid0(VALU_DEP_2) | instskip(NEXT) | instid1(VALU_DEP_2)
	v_fma_f32 v38, v41, v43, v42
	v_fma_f32 v37, v41, v37, v42
	s_delay_alu instid0(VALU_DEP_2) | instskip(NEXT) | instid1(VALU_DEP_1)
	v_add_f32_e32 v32, v32, v38
	v_add_f32_e32 v32, v32, v37
	s_wait_loadcnt 0x0
	v_dot4_i32_iu8 v34, v34, v44, 0 neg_lo:[1,1,0]
	v_dot4_i32_iu8 v33, v33, v45, 0 neg_lo:[1,1,0]
	s_delay_alu instid0(VALU_DEP_2) | instskip(NEXT) | instid1(VALU_DEP_2)
	v_cvt_f32_i32_e32 v34, v34
	v_cvt_f32_i32_e32 v33, v33
	s_delay_alu instid0(VALU_DEP_2) | instskip(NEXT) | instid1(VALU_DEP_2)
	v_fma_f32 v34, v41, v34, v42
	v_fmac_f32_e32 v42, v41, v33
	s_delay_alu instid0(VALU_DEP_2) | instskip(NEXT) | instid1(VALU_DEP_1)
	v_add_f32_e32 v32, v32, v34
	v_add_f32_e32 v32, v32, v42
	ds_bpermute_b32 v33, v211, v32
	s_wait_dscnt 0x0
	v_add_f32_e32 v32, v32, v33
                                        ; implicit-def: $vgpr33
	s_delay_alu instid0(VALU_DEP_1)
	v_cmp_ngt_f32_e64 s4, 0x3f200000, |v32|
	s_and_saveexec_b32 s13, s4
	s_wait_alu 0xfffe
	s_xor_b32 s4, exec_lo, s13
	s_cbranch_execz .LBB31_30
; %bb.29:                               ;   in Loop: Header=BB31_22 Depth=1
	v_add_f32_e64 v33, |v32|, |v32|
	s_delay_alu instid0(VALU_DEP_1) | instskip(SKIP_1) | instid1(VALU_DEP_2)
	v_mul_f32_e32 v34, 0x3fb8aa3b, v33
	v_cmp_ngt_f32_e32 vcc_lo, 0xc2ce8ed0, v33
	v_rndne_f32_e32 v37, v34
	v_fma_f32 v38, 0x3fb8aa3b, v33, -v34
	s_delay_alu instid0(VALU_DEP_2) | instskip(NEXT) | instid1(VALU_DEP_2)
	v_sub_f32_e32 v34, v34, v37
	v_fmac_f32_e32 v38, 0x32a5705f, v33
	v_cvt_i32_f32_e32 v37, v37
	s_delay_alu instid0(VALU_DEP_2) | instskip(NEXT) | instid1(VALU_DEP_1)
	v_add_f32_e32 v34, v34, v38
	v_exp_f32_e32 v34, v34
	s_delay_alu instid0(TRANS32_DEP_1) | instskip(SKIP_1) | instid1(VALU_DEP_1)
	v_ldexp_f32 v34, v34, v37
	s_wait_alu 0xfffd
	v_cndmask_b32_e32 v34, 0, v34, vcc_lo
	v_cmp_nlt_f32_e32 vcc_lo, 0x42b17218, v33
	s_wait_alu 0xfffd
	s_delay_alu instid0(VALU_DEP_2) | instskip(NEXT) | instid1(VALU_DEP_1)
	v_cndmask_b32_e32 v33, 0x7f800000, v34, vcc_lo
	v_add_f32_e32 v33, 1.0, v33
	s_delay_alu instid0(VALU_DEP_1) | instskip(NEXT) | instid1(TRANS32_DEP_1)
	v_rcp_f32_e32 v33, v33
	v_fma_f32 v33, v33, -2.0, 1.0
.LBB31_30:                              ;   in Loop: Header=BB31_22 Depth=1
	s_wait_alu 0xfffe
	s_and_not1_saveexec_b32 s4, s4
	s_cbranch_execz .LBB31_32
; %bb.31:                               ;   in Loop: Header=BB31_22 Depth=1
	v_mul_f32_e32 v33, v32, v32
	s_delay_alu instid0(VALU_DEP_1) | instskip(NEXT) | instid1(VALU_DEP_1)
	v_fmaak_f32 v34, s5, v33, 0x3ca908c9
	v_fmaak_f32 v34, v33, v34, 0xbd5c1c4e
	s_delay_alu instid0(VALU_DEP_1) | instskip(NEXT) | instid1(VALU_DEP_1)
	v_fmaak_f32 v34, v33, v34, 0x3e088382
	v_fmaak_f32 v34, v33, v34, 0xbeaaaa99
	s_delay_alu instid0(VALU_DEP_1) | instskip(NEXT) | instid1(VALU_DEP_1)
	v_mul_f32_e64 v34, |v32|, v34
	v_fma_f32 v33, v33, v34, |v32|
.LBB31_32:                              ;   in Loop: Header=BB31_22 Depth=1
	s_wait_alu 0xfffe
	s_or_b32 exec_lo, exec_lo, s4
	s_delay_alu instid0(VALU_DEP_1) | instskip(SKIP_1) | instid1(VALU_DEP_1)
	v_bfi_b32 v32, 0x7fffffff, v33, v32
	s_and_not1_b32 vcc_lo, exec_lo, s12
	v_mul_f32_e32 v40, s79, v32
	s_wait_alu 0xfffe
	s_cbranch_vccnz .LBB31_34
; %bb.33:                               ;   in Loop: Header=BB31_22 Depth=1
	s_clause 0x1
	scratch_load_b32 v32, off, off offset:172
	scratch_load_b32 v33, off, off offset:176
	s_wait_loadcnt 0x1
	v_add_co_u32 v32, vcc_lo, v32, s71
	s_wait_loadcnt 0x0
	s_wait_alu 0xfffd
	v_add_co_ci_u32_e64 v33, null, s77, v33, vcc_lo
	global_load_u16 v32, v[32:33], off
	s_wait_loadcnt 0x0
	v_fma_mix_f32 v40, v212, v32, v40 op_sel_hi:[0,1,0]
.LBB31_34:                              ;   in Loop: Header=BB31_22 Depth=1
	scratch_load_b32 v32, off, off offset:16 ; 4-byte Folded Reload
	s_wait_loadcnt 0x0
	v_add_co_u32 v37, vcc_lo, v32, s9
	scratch_load_b32 v32, off, off offset:20 ; 4-byte Folded Reload
	s_wait_loadcnt 0x0
	s_wait_alu 0xfffd
	v_add_co_ci_u32_e64 v38, null, 0, v32, vcc_lo
	global_load_b32 v41, v[37:38], off
	s_clause 0x1
	scratch_load_b32 v32, off, off
	scratch_load_b32 v33, off, off offset:4
	s_wait_loadcnt 0x2
	v_cvt_f32_f16_e64 v202, v41
	s_wait_loadcnt 0x1
	v_add_co_u32 v32, vcc_lo, v32, s9
	s_wait_loadcnt 0x0
	s_wait_alu 0xfffd
	v_add_co_ci_u32_e64 v33, null, 0, v33, vcc_lo
	s_clause 0x1
	global_load_b32 v34, v[32:33], off offset:4
	global_load_b32 v42, v[32:33], off offset:12
	;; [unrolled: 1-line block ×3, first 2 shown]
	s_clause 0x1
	global_load_b32 v44, v[32:33], off offset:24
	global_load_b32 v45, v[32:33], off offset:32
	s_clause 0x5
	global_load_b32 v46, v[37:38], off offset:40
	global_load_b32 v47, v[37:38], off offset:60
	;; [unrolled: 1-line block ×6, first 2 shown]
	v_lshrrev_b32_e32 v38, 16, v41
	s_clause 0x3
	global_load_b32 v41, v[32:33], off offset:44
	global_load_b32 v50, v[32:33], off offset:52
	;; [unrolled: 1-line block ×4, first 2 shown]
	scratch_load_b128 v[178:181], off, off offset:212 ; 16-byte Folded Reload
	v_cvt_f32_f16_e64 v206, v38
	s_wait_loadcnt 0xf
	v_and_b32_e32 v205, 0xf0f0f0f, v34
	s_wait_loadcnt 0xe
	v_lshrrev_b32_e32 v176, 4, v42
	v_lshrrev_b32_e32 v34, 4, v34
	v_and_b32_e32 v204, 0xf0f0f0f, v42
	s_wait_loadcnt 0xd
	v_cvt_f32_f16_e64 v196, v43
	s_wait_loadcnt 0xa
	v_cvt_f32_f16_e64 v190, v46
	v_and_b32_e32 v201, 0xf0f0f0f, v176
	scratch_load_b64 v[176:177], off, off offset:180 ; 8-byte Folded Reload
	s_wait_loadcnt 0xa
	v_cvt_f32_f16_e64 v184, v47
	v_and_b32_e32 v203, 0xf0f0f0f, v34
	s_wait_loadcnt 0x4
	v_and_b32_e32 v193, 0xf0f0f0f, v50
	v_and_b32_e32 v198, 0xf0f0f0f, v44
	;; [unrolled: 1-line block ×3, first 2 shown]
	s_wait_loadcnt 0x1
	v_mul_f32_e32 v42, v179, v206
	v_and_b32_e32 v186, 0xf0f0f0f, v51
	s_delay_alu instid0(VALU_DEP_2)
	v_mul_f32_e32 v207, 0x3e000000, v42
	s_wait_loadcnt 0x0
	v_dot4_i32_iu8 v34, v205, v176, 0 neg_lo:[1,1,0]
	v_dot4_i32_iu8 v38, v204, v177, 0 neg_lo:[1,1,0]
	scratch_load_b64 v[176:177], off, off offset:188 ; 8-byte Folded Reload
	v_cvt_f32_i32_e32 v34, v34
	v_cvt_f32_i32_e32 v38, v38
	s_wait_loadcnt 0x0
	v_dot4_i32_iu8 v42, v203, v176, 0 neg_lo:[1,1,0]
	v_dot4_i32_iu8 v176, v201, v177, 0 neg_lo:[1,1,0]
	v_mul_f32_e32 v177, v178, v202
	v_cvt_f32_f16_e64 v178, v48
	v_and_b32_e32 v199, 0xf0f0f0f, v45
	v_cvt_f32_i32_e32 v42, v42
	v_cvt_f32_i32_e32 v176, v176
	v_fma_f32 v208, v177, v34, v207
	v_lshrrev_b32_e32 v34, 16, v43
	v_fma_f32 v209, v177, v38, v207
	v_fma_f32 v210, v177, v42, v207
	v_lshrrev_b32_e32 v42, 4, v45
	v_lshrrev_b32_e32 v38, 4, v44
	v_cvt_f32_f16_e64 v200, v34
	v_dual_mul_f32 v44, v180, v196 :: v_dual_and_b32 v187, 0xf0f0f0f, v118
	s_delay_alu instid0(VALU_DEP_4) | instskip(SKIP_2) | instid1(VALU_DEP_1)
	v_dual_add_f32 v208, 0, v208 :: v_dual_and_b32 v195, 0xf0f0f0f, v42
	scratch_load_b64 v[42:43], off, off offset:196 ; 8-byte Folded Reload
	v_dual_add_f32 v208, v208, v209 :: v_dual_and_b32 v197, 0xf0f0f0f, v38
	v_add_f32_e32 v208, v208, v210
	s_wait_loadcnt 0x0
	v_dot4_i32_iu8 v34, v198, v42, 0 neg_lo:[1,1,0]
	v_mul_f32_e32 v42, v181, v200
	v_dot4_i32_iu8 v38, v199, v43, 0 neg_lo:[1,1,0]
	s_delay_alu instid0(VALU_DEP_3) | instskip(NEXT) | instid1(VALU_DEP_3)
	v_cvt_f32_i32_e32 v34, v34
	v_mul_f32_e32 v211, 0x3e000000, v42
	scratch_load_b64 v[42:43], off, off offset:204 ; 8-byte Folded Reload
	v_cvt_f32_i32_e32 v38, v38
	v_fma_f32 v212, v44, v34, v211
	v_lshrrev_b32_e32 v34, 16, v46
	s_delay_alu instid0(VALU_DEP_3) | instskip(SKIP_2) | instid1(VALU_DEP_4)
	v_fma_f32 v213, v44, v38, v211
	v_lshrrev_b32_e32 v38, 4, v41
	v_lshrrev_b32_e32 v41, 4, v50
	v_cvt_f32_f16_e64 v194, v34
	s_delay_alu instid0(VALU_DEP_3) | instskip(NEXT) | instid1(VALU_DEP_3)
	v_and_b32_e32 v191, 0xf0f0f0f, v38
	v_and_b32_e32 v189, 0xf0f0f0f, v41
	s_wait_loadcnt 0x0
	v_dot4_i32_iu8 v42, v197, v42, 0 neg_lo:[1,1,0]
	v_dot4_i32_iu8 v43, v195, v43, 0 neg_lo:[1,1,0]
	s_delay_alu instid0(VALU_DEP_2) | instskip(NEXT) | instid1(VALU_DEP_2)
	v_cvt_f32_i32_e32 v42, v42
	v_cvt_f32_i32_e32 v43, v43
	s_delay_alu instid0(VALU_DEP_2) | instskip(NEXT) | instid1(VALU_DEP_2)
	v_fma_f32 v214, v44, v42, v211
	v_fmac_f32_e32 v211, v44, v43
	s_clause 0x1
	scratch_load_b64 v[41:42], off, off offset:276
	scratch_load_b128 v[43:46], off, off offset:228
	s_wait_loadcnt 0x1
	v_dot4_i32_iu8 v34, v192, v41, 0 neg_lo:[1,1,0]
	s_wait_loadcnt 0x0
	v_mul_f32_e32 v41, v44, v194
	v_dot4_i32_iu8 v38, v193, v42, 0 neg_lo:[1,1,0]
	v_mul_f32_e32 v43, v43, v190
	v_cvt_f32_i32_e32 v34, v34
	s_delay_alu instid0(VALU_DEP_4)
	v_mul_f32_e32 v215, 0x3e000000, v41
	scratch_load_b64 v[41:42], off, off offset:284 ; 8-byte Folded Reload
	v_cvt_f32_i32_e32 v38, v38
	s_wait_loadcnt 0x0
	v_dot4_i32_iu8 v41, v191, v41, 0 neg_lo:[1,1,0]
	v_dot4_i32_iu8 v42, v189, v42, 0 neg_lo:[1,1,0]
	s_delay_alu instid0(VALU_DEP_2) | instskip(NEXT) | instid1(VALU_DEP_2)
	v_cvt_f32_i32_e32 v41, v41
	v_cvt_f32_i32_e32 v42, v42
	s_delay_alu instid0(VALU_DEP_2) | instskip(SKIP_1) | instid1(VALU_DEP_1)
	v_fma_f32 v218, v43, v41, v215
	v_lshrrev_b32_e32 v41, 4, v118
	v_and_b32_e32 v182, 0xf0f0f0f, v41
	v_fma_f32 v216, v43, v34, v215
	v_fma_f32 v217, v43, v38, v215
	v_fmac_f32_e32 v215, v43, v42
	scratch_load_b64 v[41:42], off, off offset:292 ; 8-byte Folded Reload
	v_lshrrev_b32_e32 v34, 16, v47
	v_lshrrev_b32_e32 v38, 4, v51
	v_mul_f32_e32 v43, v45, v184
	s_delay_alu instid0(VALU_DEP_3) | instskip(NEXT) | instid1(VALU_DEP_3)
	v_cvt_f32_f16_e64 v188, v34
	v_and_b32_e32 v185, 0xf0f0f0f, v38
	s_wait_loadcnt 0x0
	v_dot4_i32_iu8 v34, v186, v41, 0 neg_lo:[1,1,0]
	s_delay_alu instid0(VALU_DEP_3) | instskip(SKIP_1) | instid1(VALU_DEP_3)
	v_mul_f32_e32 v41, v46, v188
	v_dot4_i32_iu8 v38, v187, v42, 0 neg_lo:[1,1,0]
	v_cvt_f32_i32_e32 v34, v34
	s_delay_alu instid0(VALU_DEP_3) | instskip(SKIP_3) | instid1(VALU_DEP_2)
	v_mul_f32_e32 v219, 0x3e000000, v41
	scratch_load_b64 v[41:42], off, off offset:300 ; 8-byte Folded Reload
	v_cvt_f32_i32_e32 v38, v38
	v_fma_f32 v220, v43, v34, v219
	v_fma_f32 v221, v43, v38, v219
	s_wait_loadcnt 0x0
	v_dot4_i32_iu8 v41, v185, v41, 0 neg_lo:[1,1,0]
	v_dot4_i32_iu8 v42, v182, v42, 0 neg_lo:[1,1,0]
	s_delay_alu instid0(VALU_DEP_2) | instskip(NEXT) | instid1(VALU_DEP_2)
	v_cvt_f32_i32_e32 v41, v41
	v_cvt_f32_i32_e32 v42, v42
	s_delay_alu instid0(VALU_DEP_2) | instskip(NEXT) | instid1(VALU_DEP_2)
	v_fma_f32 v222, v43, v41, v219
	v_fmac_f32_e32 v219, v43, v42
	s_clause 0x7
	global_load_b32 v34, v[32:33], off offset:84
	global_load_b32 v38, v[32:33], off offset:92
	;; [unrolled: 1-line block ×8, first 2 shown]
	s_clause 0x1
	scratch_load_b128 v[227:230], off, off offset:244
	scratch_load_b128 v[237:240], off, off offset:260
	v_lshrrev_b32_e32 v32, 16, v48
	v_cvt_f32_f16_e32 v48, v119
	s_delay_alu instid0(VALU_DEP_2)
	v_cvt_f32_f16_e64 v183, v32
	s_wait_loadcnt 0x9
	v_and_b32_e32 v180, 0xf0f0f0f, v34
	s_wait_loadcnt 0x8
	v_lshrrev_b32_e32 v45, 4, v38
	v_and_b32_e32 v181, 0xf0f0f0f, v38
	v_lshrrev_b32_e32 v34, 4, v34
	s_wait_loadcnt 0x7
	v_and_b32_e32 v50, 0xf0f0f0f, v41
	s_wait_loadcnt 0x1
	v_dual_mul_f32 v38, v228, v183 :: v_dual_and_b32 v51, 0xf0f0f0f, v42
	v_fmac_f32_e32 v207, v177, v176
	v_and_b32_e32 v177, 0xf0f0f0f, v45
	scratch_load_b64 v[45:46], off, off offset:308 ; 8-byte Folded Reload
	v_and_b32_e32 v179, 0xf0f0f0f, v34
	v_dual_mul_f32 v224, 0x3e000000, v38 :: v_dual_add_f32 v207, v208, v207
	s_delay_alu instid0(VALU_DEP_1) | instskip(NEXT) | instid1(VALU_DEP_1)
	v_add_f32_e32 v207, v207, v212
	v_add_f32_e32 v207, v207, v213
	v_mov_b32_e32 v213, v241
	s_delay_alu instid0(VALU_DEP_2) | instskip(NEXT) | instid1(VALU_DEP_1)
	v_add_f32_e32 v207, v207, v214
	v_add_f32_e32 v207, v207, v211
	s_delay_alu instid0(VALU_DEP_1) | instskip(NEXT) | instid1(VALU_DEP_1)
	v_add_f32_e32 v207, v207, v216
	v_add_f32_e32 v207, v207, v217
	s_delay_alu instid0(VALU_DEP_1) | instskip(NEXT) | instid1(VALU_DEP_1)
	;; [unrolled: 3-line block ×3, first 2 shown]
	v_add_f32_e32 v207, v207, v220
	v_add_f32_e32 v207, v207, v221
	s_delay_alu instid0(VALU_DEP_1)
	v_add_f32_e32 v207, v207, v222
	s_wait_loadcnt 0x0
	v_dot4_i32_iu8 v32, v180, v45, 0 neg_lo:[1,1,0]
	v_dot4_i32_iu8 v34, v181, v46, 0 neg_lo:[1,1,0]
	scratch_load_b64 v[45:46], off, off offset:316 ; 8-byte Folded Reload
	v_cvt_f32_i32_e32 v32, v32
	v_cvt_f32_i32_e32 v34, v34
	s_wait_loadcnt 0x0
	v_dot4_i32_iu8 v38, v179, v45, 0 neg_lo:[1,1,0]
	v_dot4_i32_iu8 v45, v177, v46, 0 neg_lo:[1,1,0]
	v_mul_f32_e32 v46, v227, v178
	s_delay_alu instid0(VALU_DEP_3) | instskip(NEXT) | instid1(VALU_DEP_3)
	v_cvt_f32_i32_e32 v38, v38
	v_cvt_f32_i32_e32 v45, v45
	s_delay_alu instid0(VALU_DEP_3)
	v_fma_f32 v226, v46, v34, v224
	v_lshrrev_b32_e32 v34, 4, v41
	v_fma_f32 v225, v46, v32, v224
	v_fma_f32 v227, v46, v38, v224
	v_lshrrev_b32_e32 v38, 4, v42
	scratch_load_b64 v[41:42], off, off offset:324 ; 8-byte Folded Reload
	v_lshrrev_b32_e32 v32, 16, v49
	v_fmac_f32_e32 v224, v46, v45
	v_cvt_f32_f16_e32 v46, v49
	v_and_b32_e32 v49, 0xf0f0f0f, v34
	v_mul_f32_e32 v45, v237, v48
	v_cvt_f32_f16_e32 v118, v32
	scratch_load_b64 v[236:237], off, off offset:356 ; 8-byte Folded Reload
	v_and_b32_e32 v47, 0xf0f0f0f, v38
	v_mul_f32_e32 v38, v230, v118
	s_delay_alu instid0(VALU_DEP_1)
	v_mul_f32_e32 v228, 0x3e000000, v38
	s_wait_loadcnt 0x1
	v_dot4_i32_iu8 v32, v50, v41, 0 neg_lo:[1,1,0]
	v_dot4_i32_iu8 v34, v51, v42, 0 neg_lo:[1,1,0]
	scratch_load_b64 v[41:42], off, off offset:332 ; 8-byte Folded Reload
	v_cvt_f32_i32_e32 v32, v32
	v_cvt_f32_i32_e32 v34, v34
	s_wait_loadcnt 0x0
	v_dot4_i32_iu8 v38, v49, v41, 0 neg_lo:[1,1,0]
	v_dot4_i32_iu8 v41, v47, v42, 0 neg_lo:[1,1,0]
	v_mul_f32_e32 v42, v229, v46
	s_delay_alu instid0(VALU_DEP_3) | instskip(NEXT) | instid1(VALU_DEP_3)
	v_cvt_f32_i32_e32 v38, v38
	v_cvt_f32_i32_e32 v41, v41
	s_delay_alu instid0(VALU_DEP_3)
	v_fma_f32 v229, v42, v32, v228
	v_fma_f32 v230, v42, v34, v228
	v_lshrrev_b32_e32 v32, 16, v119
	v_fma_f32 v231, v42, v38, v228
	v_fmac_f32_e32 v228, v42, v41
	v_lshrrev_b32_e32 v42, 4, v44
	v_and_b32_e32 v119, 0xf0f0f0f, v43
	v_lshrrev_b32_e32 v34, 4, v43
	v_cvt_f32_f16_e64 v176, v32
	v_and_b32_e32 v41, 0xf0f0f0f, v44
	v_and_b32_e32 v32, 0xf0f0f0f, v42
	scratch_load_b64 v[42:43], off, off offset:340 ; 8-byte Folded Reload
	v_and_b32_e32 v38, 0xf0f0f0f, v34
	s_wait_loadcnt 0x0
	v_dot4_i32_iu8 v34, v119, v42, 0 neg_lo:[1,1,0]
	v_dot4_i32_iu8 v42, v41, v43, 0 neg_lo:[1,1,0]
	v_mul_f32_e32 v43, v238, v176
	s_delay_alu instid0(VALU_DEP_3) | instskip(NEXT) | instid1(VALU_DEP_3)
	v_cvt_f32_i32_e32 v34, v34
	v_cvt_f32_i32_e32 v42, v42
	s_delay_alu instid0(VALU_DEP_3)
	v_mul_f32_e32 v232, 0x3e000000, v43
	scratch_load_b64 v[43:44], off, off offset:348 ; 8-byte Folded Reload
	v_fma_f32 v233, v45, v34, v232
	v_fma_f32 v234, v45, v42, v232
	v_lshrrev_b32_e32 v34, 16, v37
	v_dual_add_f32 v207, v207, v219 :: v_dual_and_b32 v42, 0xf0f0f0f, v33
	s_delay_alu instid0(VALU_DEP_1) | instskip(NEXT) | instid1(VALU_DEP_1)
	v_add_f32_e32 v207, v207, v225
	v_add_f32_e32 v207, v207, v226
	s_delay_alu instid0(VALU_DEP_1) | instskip(NEXT) | instid1(VALU_DEP_1)
	v_add_f32_e32 v207, v207, v227
	v_add_f32_e32 v207, v207, v224
	;; [unrolled: 3-line block ×5, first 2 shown]
	s_wait_loadcnt 0x0
	v_dot4_i32_iu8 v43, v38, v43, 0 neg_lo:[1,1,0]
	v_dot4_i32_iu8 v44, v32, v44, 0 neg_lo:[1,1,0]
	s_delay_alu instid0(VALU_DEP_2) | instskip(NEXT) | instid1(VALU_DEP_2)
	v_cvt_f32_i32_e32 v43, v43
	v_cvt_f32_i32_e32 v44, v44
	s_delay_alu instid0(VALU_DEP_2) | instskip(NEXT) | instid1(VALU_DEP_2)
	v_fma_f32 v235, v45, v43, v232
	v_fmac_f32_e32 v232, v45, v44
	v_cvt_f32_f16_e32 v43, v37
	v_and_b32_e32 v45, 0xf0f0f0f, v223
	v_lshrrev_b32_e32 v37, 4, v223
	v_lshrrev_b32_e32 v223, 4, v33
	v_cvt_f32_f16_e32 v44, v34
	v_mul_f32_e32 v239, v239, v43
	s_delay_alu instid0(VALU_DEP_4) | instskip(NEXT) | instid1(VALU_DEP_4)
	v_dual_add_f32 v207, v207, v235 :: v_dual_and_b32 v34, 0xf0f0f0f, v37
	v_and_b32_e32 v33, 0xf0f0f0f, v223
	v_dot4_i32_iu8 v223, v42, v237, 0 neg_lo:[1,1,0]
	scratch_load_b64 v[237:238], off, off offset:364 ; 8-byte Folded Reload
	v_dot4_i32_iu8 v37, v45, v236, 0 neg_lo:[1,1,0]
	v_mul_f32_e32 v236, v240, v44
	v_add_f32_e32 v207, v207, v232
	v_cvt_f32_i32_e32 v223, v223
	s_delay_alu instid0(VALU_DEP_4) | instskip(NEXT) | instid1(VALU_DEP_4)
	v_cvt_f32_i32_e32 v37, v37
	v_mul_f32_e32 v236, 0x3e000000, v236
	s_delay_alu instid0(VALU_DEP_1) | instskip(NEXT) | instid1(VALU_DEP_4)
	v_fma_f32 v37, v239, v37, v236
	v_fma_f32 v223, v239, v223, v236
	s_delay_alu instid0(VALU_DEP_2) | instskip(NEXT) | instid1(VALU_DEP_1)
	v_add_f32_e32 v37, v207, v37
	v_add_f32_e32 v37, v37, v223
	s_wait_loadcnt 0x0
	v_dot4_i32_iu8 v237, v34, v237, 0 neg_lo:[1,1,0]
	v_dot4_i32_iu8 v238, v33, v238, 0 neg_lo:[1,1,0]
	s_delay_alu instid0(VALU_DEP_2) | instskip(NEXT) | instid1(VALU_DEP_2)
	v_cvt_f32_i32_e32 v237, v237
	v_cvt_f32_i32_e32 v238, v238
	s_delay_alu instid0(VALU_DEP_2) | instskip(NEXT) | instid1(VALU_DEP_1)
	v_fma_f32 v237, v239, v237, v236
	v_dual_fmac_f32 v236, v239, v238 :: v_dual_add_f32 v37, v37, v237
	s_delay_alu instid0(VALU_DEP_1) | instskip(SKIP_3) | instid1(VALU_DEP_1)
	v_add_f32_e32 v37, v37, v236
	ds_bpermute_b32 v207, v241, v37
	s_wait_dscnt 0x0
	v_add_f32_e32 v37, v37, v207
                                        ; implicit-def: $vgpr207
	v_cmp_ngt_f32_e64 s4, 0x3f200000, |v37|
	s_and_saveexec_b32 s13, s4
	s_wait_alu 0xfffe
	s_xor_b32 s4, exec_lo, s13
	s_cbranch_execz .LBB31_36
; %bb.35:                               ;   in Loop: Header=BB31_22 Depth=1
	v_add_f32_e64 v207, |v37|, |v37|
	s_delay_alu instid0(VALU_DEP_1) | instskip(SKIP_1) | instid1(VALU_DEP_2)
	v_mul_f32_e32 v208, 0x3fb8aa3b, v207
	v_cmp_ngt_f32_e32 vcc_lo, 0xc2ce8ed0, v207
	v_rndne_f32_e32 v209, v208
	v_fma_f32 v210, 0x3fb8aa3b, v207, -v208
	s_delay_alu instid0(VALU_DEP_2) | instskip(NEXT) | instid1(VALU_DEP_2)
	v_sub_f32_e32 v208, v208, v209
	v_fmac_f32_e32 v210, 0x32a5705f, v207
	v_cvt_i32_f32_e32 v209, v209
	s_delay_alu instid0(VALU_DEP_2) | instskip(NEXT) | instid1(VALU_DEP_1)
	v_add_f32_e32 v208, v208, v210
	v_exp_f32_e32 v208, v208
	s_delay_alu instid0(TRANS32_DEP_1) | instskip(SKIP_1) | instid1(VALU_DEP_1)
	v_ldexp_f32 v208, v208, v209
	s_wait_alu 0xfffd
	v_cndmask_b32_e32 v208, 0, v208, vcc_lo
	v_cmp_nlt_f32_e32 vcc_lo, 0x42b17218, v207
	s_wait_alu 0xfffd
	s_delay_alu instid0(VALU_DEP_2) | instskip(NEXT) | instid1(VALU_DEP_1)
	v_cndmask_b32_e32 v207, 0x7f800000, v208, vcc_lo
	v_add_f32_e32 v207, 1.0, v207
	s_delay_alu instid0(VALU_DEP_1) | instskip(NEXT) | instid1(TRANS32_DEP_1)
	v_rcp_f32_e32 v207, v207
	v_fma_f32 v207, v207, -2.0, 1.0
.LBB31_36:                              ;   in Loop: Header=BB31_22 Depth=1
	s_wait_alu 0xfffe
	s_or_saveexec_b32 s4, s4
	v_dual_mov_b32 v61, v53 :: v_dual_mov_b32 v54, v247
	v_dual_mov_b32 v228, v248 :: v_dual_mov_b32 v215, v254
	scratch_store_b32 off, v251, off offset:864 ; 4-byte Folded Spill
	v_dual_mov_b32 v244, v123 :: v_dual_mov_b32 v249, v122
	v_dual_mov_b32 v220, v124 :: v_dual_mov_b32 v237, v126
	;; [unrolled: 1-line block ×4, first 2 shown]
	s_clause 0x18
	scratch_store_b32 off, v134, off offset:1256
	scratch_store_b32 off, v64, off offset:1172
	;; [unrolled: 1-line block ×25, first 2 shown]
	v_dual_mov_b32 v136, v152 :: v_dual_mov_b32 v157, v150
	v_mov_b32_e32 v147, v116
	s_clause 0x1
	scratch_store_b32 off, v23, off offset:1024
	scratch_store_b32 off, v117, off offset:1288
	v_dual_mov_b32 v23, v24 :: v_dual_mov_b32 v24, v26
	s_clause 0x1
	scratch_store_b32 off, v84, off offset:1292
	scratch_store_b32 off, v156, off offset:1084
	s_wait_alu 0xfffe
	s_xor_b32 exec_lo, exec_lo, s4
	s_cbranch_execz .LBB31_38
; %bb.37:                               ;   in Loop: Header=BB31_22 Depth=1
	v_mul_f32_e32 v207, v37, v37
	s_delay_alu instid0(VALU_DEP_1) | instskip(NEXT) | instid1(VALU_DEP_1)
	v_fmaak_f32 v208, s5, v207, 0x3ca908c9
	v_fmaak_f32 v208, v207, v208, 0xbd5c1c4e
	s_delay_alu instid0(VALU_DEP_1) | instskip(NEXT) | instid1(VALU_DEP_1)
	v_fmaak_f32 v208, v207, v208, 0x3e088382
	v_fmaak_f32 v208, v207, v208, 0xbeaaaa99
	s_delay_alu instid0(VALU_DEP_1) | instskip(NEXT) | instid1(VALU_DEP_1)
	v_mul_f32_e64 v208, |v37|, v208
	v_fma_f32 v207, v207, v208, |v37|
.LBB31_38:                              ;   in Loop: Header=BB31_22 Depth=1
	s_or_b32 exec_lo, exec_lo, s4
	scratch_load_b32 v1, off, off offset:572 ; 4-byte Folded Reload
	v_bfi_b32 v37, 0x7fffffff, v207, v37
	s_and_not1_b32 vcc_lo, exec_lo, s89
	scratch_store_b32 off, v135, off offset:868 ; 4-byte Folded Spill
	v_mul_f32_e32 v37, s79, v37
	s_wait_alu 0xfffe
	s_cbranch_vccnz .LBB31_40
; %bb.39:                               ;   in Loop: Header=BB31_22 Depth=1
	s_clause 0x1
	scratch_load_b32 v207, off, off offset:8
	scratch_load_b32 v208, off, off offset:12
	s_wait_loadcnt 0x1
	v_add_co_u32 v207, vcc_lo, v207, s71
	s_wait_loadcnt 0x0
	s_wait_alu 0xfffd
	v_add_co_ci_u32_e64 v208, null, s77, v208, vcc_lo
	global_load_u16 v207, v[207:208], off
	s_wait_loadcnt 0x0
	v_fma_mix_f32 v37, v1, v207, v37 op_sel_hi:[0,1,0]
.LBB31_40:                              ;   in Loop: Header=BB31_22 Depth=1
	s_clause 0x1
	scratch_load_b64 v[207:208], off, off offset:372
	scratch_load_b128 v[209:212], off, off offset:412
	s_wait_loadcnt 0x1
	v_dot4_i32_iu8 v205, v205, v207, 0 neg_lo:[1,1,0]
	v_dot4_i32_iu8 v204, v204, v208, 0 neg_lo:[1,1,0]
	scratch_load_b64 v[207:208], off, off offset:380 ; 8-byte Folded Reload
	s_wait_loadcnt 0x1
	v_mul_f32_e32 v206, v210, v206
	v_mul_f32_e32 v202, v209, v202
	v_cvt_f32_i32_e32 v205, v205
	v_cvt_f32_i32_e32 v204, v204
	v_mul_f32_e32 v200, v212, v200
	v_mul_f32_e32 v206, 0x3e000000, v206
	s_delay_alu instid0(VALU_DEP_2) | instskip(NEXT) | instid1(VALU_DEP_2)
	v_mul_f32_e32 v200, 0x3e000000, v200
	v_fma_f32 v205, v202, v205, v206
	v_fma_f32 v204, v202, v204, v206
	s_wait_loadcnt 0x0
	v_dot4_i32_iu8 v203, v203, v207, 0 neg_lo:[1,1,0]
	v_dot4_i32_iu8 v201, v201, v208, 0 neg_lo:[1,1,0]
	scratch_load_b128 v[207:210], off, off offset:428 ; 16-byte Folded Reload
	v_cvt_f32_i32_e32 v203, v203
	v_cvt_f32_i32_e32 v201, v201
	s_delay_alu instid0(VALU_DEP_2) | instskip(NEXT) | instid1(VALU_DEP_2)
	v_fma_f32 v203, v202, v203, v206
	v_fmac_f32_e32 v206, v202, v201
	scratch_load_b64 v[201:202], off, off offset:388 ; 8-byte Folded Reload
	v_mul_f32_e32 v196, v211, v196
	s_wait_loadcnt 0x1
	v_mul_f32_e32 v190, v207, v190
	v_mul_f32_e32 v194, v208, v194
	;; [unrolled: 1-line block ×4, first 2 shown]
	scratch_load_b128 v[207:210], off, off offset:532 ; 16-byte Folded Reload
	v_mul_f32_e32 v194, 0x3e000000, v194
	v_mul_f32_e32 v188, 0x3e000000, v188
	s_wait_loadcnt 0x1
	v_dot4_i32_iu8 v198, v198, v201, 0 neg_lo:[1,1,0]
	v_dot4_i32_iu8 v199, v199, v202, 0 neg_lo:[1,1,0]
	scratch_load_b64 v[201:202], off, off offset:396 ; 8-byte Folded Reload
	v_cvt_f32_i32_e32 v198, v198
	v_cvt_f32_i32_e32 v199, v199
	s_delay_alu instid0(VALU_DEP_2) | instskip(NEXT) | instid1(VALU_DEP_2)
	v_fma_f32 v198, v196, v198, v200
	v_fma_f32 v199, v196, v199, v200
	s_wait_loadcnt 0x1
	v_mul_f32_e32 v118, v210, v118
	s_delay_alu instid0(VALU_DEP_1) | instskip(SKIP_3) | instid1(VALU_DEP_2)
	v_mul_f32_e32 v118, 0x3e000000, v118
	s_wait_loadcnt 0x0
	v_dot4_i32_iu8 v197, v197, v201, 0 neg_lo:[1,1,0]
	v_dot4_i32_iu8 v195, v195, v202, 0 neg_lo:[1,1,0]
	v_cvt_f32_i32_e32 v197, v197
	s_delay_alu instid0(VALU_DEP_2) | instskip(NEXT) | instid1(VALU_DEP_2)
	v_cvt_f32_i32_e32 v195, v195
	v_fma_f32 v197, v196, v197, v200
	s_delay_alu instid0(VALU_DEP_2)
	v_fmac_f32_e32 v200, v196, v195
	scratch_load_b64 v[195:196], off, off offset:404 ; 8-byte Folded Reload
	s_wait_loadcnt 0x0
	v_dot4_i32_iu8 v192, v192, v195, 0 neg_lo:[1,1,0]
	v_dot4_i32_iu8 v193, v193, v196, 0 neg_lo:[1,1,0]
	scratch_load_b64 v[195:196], off, off offset:444 ; 8-byte Folded Reload
	v_cvt_f32_i32_e32 v192, v192
	v_cvt_f32_i32_e32 v193, v193
	s_delay_alu instid0(VALU_DEP_2) | instskip(NEXT) | instid1(VALU_DEP_2)
	v_fma_f32 v192, v190, v192, v194
	v_fma_f32 v193, v190, v193, v194
	s_wait_loadcnt 0x0
	v_dot4_i32_iu8 v191, v191, v195, 0 neg_lo:[1,1,0]
	v_dot4_i32_iu8 v189, v189, v196, 0 neg_lo:[1,1,0]
	s_delay_alu instid0(VALU_DEP_2) | instskip(NEXT) | instid1(VALU_DEP_2)
	v_cvt_f32_i32_e32 v191, v191
	v_cvt_f32_i32_e32 v189, v189
	s_delay_alu instid0(VALU_DEP_2) | instskip(NEXT) | instid1(VALU_DEP_2)
	v_fma_f32 v191, v190, v191, v194
	v_fmac_f32_e32 v194, v190, v189
	scratch_load_b64 v[189:190], off, off offset:452 ; 8-byte Folded Reload
	s_wait_loadcnt 0x0
	v_dot4_i32_iu8 v186, v186, v189, 0 neg_lo:[1,1,0]
	v_dot4_i32_iu8 v187, v187, v190, 0 neg_lo:[1,1,0]
	scratch_load_b64 v[189:190], off, off offset:460 ; 8-byte Folded Reload
	v_cvt_f32_i32_e32 v186, v186
	v_cvt_f32_i32_e32 v187, v187
	s_delay_alu instid0(VALU_DEP_2) | instskip(NEXT) | instid1(VALU_DEP_2)
	v_fma_f32 v186, v184, v186, v188
	v_fma_f32 v187, v184, v187, v188
	s_wait_loadcnt 0x0
	v_dot4_i32_iu8 v185, v185, v189, 0 neg_lo:[1,1,0]
	v_dot4_i32_iu8 v182, v182, v190, 0 neg_lo:[1,1,0]
	scratch_load_b64 v[189:190], off, off offset:468 ; 8-byte Folded Reload
	v_cvt_f32_i32_e32 v185, v185
	v_cvt_f32_i32_e32 v182, v182
	s_delay_alu instid0(VALU_DEP_2) | instskip(NEXT) | instid1(VALU_DEP_2)
	v_fma_f32 v185, v184, v185, v188
	v_fmac_f32_e32 v188, v184, v182
	v_mul_f32_e32 v182, v208, v183
	scratch_load_b64 v[183:184], off, off offset:476 ; 8-byte Folded Reload
	v_mul_f32_e32 v178, v207, v178
	v_mul_f32_e32 v182, 0x3e000000, v182
	s_wait_loadcnt 0x1
	v_dot4_i32_iu8 v180, v180, v189, 0 neg_lo:[1,1,0]
	v_dot4_i32_iu8 v181, v181, v190, 0 neg_lo:[1,1,0]
	s_delay_alu instid0(VALU_DEP_2) | instskip(NEXT) | instid1(VALU_DEP_2)
	v_cvt_f32_i32_e32 v180, v180
	v_cvt_f32_i32_e32 v181, v181
	s_delay_alu instid0(VALU_DEP_2) | instskip(SKIP_4) | instid1(VALU_DEP_3)
	v_fma_f32 v180, v178, v180, v182
	s_wait_loadcnt 0x0
	v_dot4_i32_iu8 v179, v179, v183, 0 neg_lo:[1,1,0]
	v_dot4_i32_iu8 v177, v177, v184, 0 neg_lo:[1,1,0]
	v_fma_f32 v181, v178, v181, v182
	v_cvt_f32_i32_e32 v179, v179
	s_delay_alu instid0(VALU_DEP_3) | instskip(NEXT) | instid1(VALU_DEP_2)
	v_cvt_f32_i32_e32 v177, v177
	v_fma_f32 v179, v178, v179, v182
	s_delay_alu instid0(VALU_DEP_2) | instskip(SKIP_1) | instid1(VALU_DEP_1)
	v_fmac_f32_e32 v182, v178, v177
	v_add_f32_e32 v177, 0, v205
	v_add_f32_e32 v177, v177, v204
	s_delay_alu instid0(VALU_DEP_1) | instskip(NEXT) | instid1(VALU_DEP_1)
	v_add_f32_e32 v177, v177, v203
	v_add_f32_e32 v177, v177, v206
	s_delay_alu instid0(VALU_DEP_1) | instskip(NEXT) | instid1(VALU_DEP_1)
	;; [unrolled: 3-line block ×8, first 2 shown]
	v_add_f32_e32 v177, v177, v180
	v_add_f32_e32 v177, v177, v181
	s_delay_alu instid0(VALU_DEP_1)
	v_add_f32_e32 v177, v177, v179
	scratch_load_b64 v[178:179], off, off offset:484 ; 8-byte Folded Reload
	v_add_f32_e32 v177, v177, v182
	scratch_load_b128 v[180:183], off, off offset:548 ; 16-byte Folded Reload
	s_wait_loadcnt 0x1
	v_dot4_i32_iu8 v50, v50, v178, 0 neg_lo:[1,1,0]
	v_dot4_i32_iu8 v51, v51, v179, 0 neg_lo:[1,1,0]
	scratch_load_b64 v[178:179], off, off offset:492 ; 8-byte Folded Reload
	v_cvt_f32_i32_e32 v50, v50
	s_wait_loadcnt 0x1
	v_mul_f32_e32 v48, v180, v48
	v_mul_f32_e32 v46, v209, v46
	v_cvt_f32_i32_e32 v51, v51
	v_mul_f32_e32 v176, v181, v176
	v_dual_mul_f32 v44, v183, v44 :: v_dual_mul_f32 v43, v182, v43
	s_delay_alu instid0(VALU_DEP_4) | instskip(NEXT) | instid1(VALU_DEP_4)
	v_fma_f32 v50, v46, v50, v118
	v_fma_f32 v51, v46, v51, v118
	s_delay_alu instid0(VALU_DEP_3) | instskip(NEXT) | instid1(VALU_DEP_3)
	v_mul_f32_e32 v44, 0x3e000000, v44
	v_add_f32_e32 v50, v177, v50
	s_delay_alu instid0(VALU_DEP_1)
	v_add_f32_e32 v50, v50, v51
	s_wait_loadcnt 0x0
	v_dot4_i32_iu8 v49, v49, v178, 0 neg_lo:[1,1,0]
	v_dot4_i32_iu8 v47, v47, v179, 0 neg_lo:[1,1,0]
	scratch_load_b64 v[178:179], off, off offset:500 ; 8-byte Folded Reload
	v_cvt_f32_i32_e32 v49, v49
	v_cvt_f32_i32_e32 v47, v47
	s_delay_alu instid0(VALU_DEP_2) | instskip(NEXT) | instid1(VALU_DEP_2)
	v_fma_f32 v49, v46, v49, v118
	v_fmac_f32_e32 v118, v46, v47
	s_delay_alu instid0(VALU_DEP_2)
	v_add_f32_e32 v46, v50, v49
	scratch_load_b64 v[49:50], off, off offset:508 ; 8-byte Folded Reload
	v_add_f32_e32 v46, v46, v118
	s_wait_loadcnt 0x1
	v_dot4_i32_iu8 v119, v119, v178, 0 neg_lo:[1,1,0]
	v_dot4_i32_iu8 v41, v41, v179, 0 neg_lo:[1,1,0]
	s_delay_alu instid0(VALU_DEP_2) | instskip(SKIP_1) | instid1(VALU_DEP_3)
	v_cvt_f32_i32_e32 v51, v119
	v_mul_f32_e32 v119, 0x3e000000, v176
	v_cvt_f32_i32_e32 v41, v41
	s_delay_alu instid0(VALU_DEP_2) | instskip(NEXT) | instid1(VALU_DEP_2)
	v_fma_f32 v47, v48, v51, v119
	v_fma_f32 v41, v48, v41, v119
	s_wait_loadcnt 0x0
	v_dot4_i32_iu8 v38, v38, v49, 0 neg_lo:[1,1,0]
	v_dot4_i32_iu8 v32, v32, v50, 0 neg_lo:[1,1,0]
	scratch_load_b64 v[49:50], off, off offset:516 ; 8-byte Folded Reload
	v_add_f32_e32 v46, v46, v47
	v_cvt_f32_i32_e32 v38, v38
	v_cvt_f32_i32_e32 v32, v32
	s_delay_alu instid0(VALU_DEP_3) | instskip(SKIP_2) | instid1(VALU_DEP_1)
	v_add_f32_e32 v41, v46, v41
	scratch_load_b64 v[46:47], off, off offset:524 ; 8-byte Folded Reload
	v_fma_f32 v38, v48, v38, v119
	v_dual_fmac_f32 v119, v48, v32 :: v_dual_add_f32 v32, v41, v38
	s_delay_alu instid0(VALU_DEP_1) | instskip(SKIP_3) | instid1(VALU_DEP_2)
	v_add_f32_e32 v32, v32, v119
	s_wait_loadcnt 0x1
	v_dot4_i32_iu8 v45, v45, v49, 0 neg_lo:[1,1,0]
	v_dot4_i32_iu8 v42, v42, v50, 0 neg_lo:[1,1,0]
	v_cvt_f32_i32_e32 v45, v45
	s_delay_alu instid0(VALU_DEP_2)
	v_cvt_f32_i32_e32 v38, v42
	s_wait_loadcnt 0x0
	v_dot4_i32_iu8 v34, v34, v46, 0 neg_lo:[1,1,0]
	v_dot4_i32_iu8 v33, v33, v47, 0 neg_lo:[1,1,0]
	v_fma_f32 v41, v43, v45, v44
	v_fma_f32 v38, v43, v38, v44
	s_delay_alu instid0(VALU_DEP_4) | instskip(NEXT) | instid1(VALU_DEP_4)
	v_cvt_f32_i32_e32 v34, v34
	v_cvt_f32_i32_e32 v33, v33
	s_delay_alu instid0(VALU_DEP_4) | instskip(NEXT) | instid1(VALU_DEP_3)
	v_add_f32_e32 v32, v32, v41
	v_fma_f32 v34, v43, v34, v44
	s_delay_alu instid0(VALU_DEP_3) | instskip(NEXT) | instid1(VALU_DEP_3)
	v_fmac_f32_e32 v44, v43, v33
	v_add_f32_e32 v32, v32, v38
	s_delay_alu instid0(VALU_DEP_1) | instskip(NEXT) | instid1(VALU_DEP_1)
	v_add_f32_e32 v32, v32, v34
	v_add_f32_e32 v32, v32, v44
	ds_bpermute_b32 v33, v213, v32
	s_wait_dscnt 0x0
	v_add_f32_e32 v32, v32, v33
                                        ; implicit-def: $vgpr33
	s_delay_alu instid0(VALU_DEP_1)
	v_cmp_ngt_f32_e64 s4, 0x3f200000, |v32|
	s_and_saveexec_b32 s13, s4
	s_wait_alu 0xfffe
	s_xor_b32 s4, exec_lo, s13
	s_cbranch_execz .LBB31_42
; %bb.41:                               ;   in Loop: Header=BB31_22 Depth=1
	v_add_f32_e64 v33, |v32|, |v32|
	s_delay_alu instid0(VALU_DEP_1) | instskip(SKIP_1) | instid1(VALU_DEP_2)
	v_mul_f32_e32 v34, 0x3fb8aa3b, v33
	v_cmp_ngt_f32_e32 vcc_lo, 0xc2ce8ed0, v33
	v_rndne_f32_e32 v38, v34
	v_fma_f32 v41, 0x3fb8aa3b, v33, -v34
	s_delay_alu instid0(VALU_DEP_1) | instskip(SKIP_1) | instid1(VALU_DEP_2)
	v_dual_sub_f32 v34, v34, v38 :: v_dual_fmac_f32 v41, 0x32a5705f, v33
	v_cvt_i32_f32_e32 v38, v38
	v_add_f32_e32 v34, v34, v41
	s_delay_alu instid0(VALU_DEP_1) | instskip(NEXT) | instid1(TRANS32_DEP_1)
	v_exp_f32_e32 v34, v34
	v_ldexp_f32 v34, v34, v38
	s_wait_alu 0xfffd
	s_delay_alu instid0(VALU_DEP_1) | instskip(SKIP_2) | instid1(VALU_DEP_2)
	v_cndmask_b32_e32 v34, 0, v34, vcc_lo
	v_cmp_nlt_f32_e32 vcc_lo, 0x42b17218, v33
	s_wait_alu 0xfffd
	v_cndmask_b32_e32 v33, 0x7f800000, v34, vcc_lo
	s_delay_alu instid0(VALU_DEP_1) | instskip(NEXT) | instid1(VALU_DEP_1)
	v_add_f32_e32 v33, 1.0, v33
	v_rcp_f32_e32 v33, v33
	s_delay_alu instid0(TRANS32_DEP_1)
	v_fma_f32 v33, v33, -2.0, 1.0
.LBB31_42:                              ;   in Loop: Header=BB31_22 Depth=1
	s_wait_alu 0xfffe
	s_or_saveexec_b32 s4, s4
	s_clause 0x1a
	scratch_store_b32 off, v86, off offset:1264
	scratch_store_b32 off, v87, off offset:1260
	;; [unrolled: 1-line block ×27, first 2 shown]
	v_dual_mov_b32 v194, v132 :: v_dual_mov_b32 v93, v110
	v_dual_mov_b32 v132, v108 :: v_dual_mov_b32 v89, v7
	;; [unrolled: 1-line block ×4, first 2 shown]
	s_clause 0x12
	scratch_load_b32 v154, off, off offset:1020
	scratch_load_b32 v137, off, off offset:1016
	;; [unrolled: 1-line block ×19, first 2 shown]
	v_dual_mov_b32 v212, v250 :: v_dual_mov_b32 v193, v253
	v_dual_mov_b32 v124, v252 :: v_dual_mov_b32 v91, v102
	v_mov_b32_e32 v86, v92
	v_dual_mov_b32 v56, v97 :: v_dual_mov_b32 v59, v131
	v_dual_mov_b32 v100, v103 :: v_dual_mov_b32 v53, v0
	v_mov_b32_e32 v58, v105
	v_dual_mov_b32 v26, v107 :: v_dual_mov_b32 v153, v5
	v_dual_mov_b32 v92, v109 :: v_dual_mov_b32 v129, v10
	;; [unrolled: 1-line block ×5, first 2 shown]
	v_mov_b32_e32 v133, v13
	v_dual_mov_b32 v113, v3 :: v_dual_mov_b32 v120, v9
	v_dual_mov_b32 v125, v18 :: v_dual_mov_b32 v134, v15
	;; [unrolled: 1-line block ×3, first 2 shown]
	v_mov_b32_e32 v204, v21
	s_wait_alu 0xfffe
	s_xor_b32 exec_lo, exec_lo, s4
	s_cbranch_execz .LBB31_44
; %bb.43:                               ;   in Loop: Header=BB31_22 Depth=1
	v_mul_f32_e32 v33, v32, v32
	s_delay_alu instid0(VALU_DEP_1) | instskip(NEXT) | instid1(VALU_DEP_1)
	v_fmaak_f32 v34, s5, v33, 0x3ca908c9
	v_fmaak_f32 v34, v33, v34, 0xbd5c1c4e
	s_delay_alu instid0(VALU_DEP_1) | instskip(NEXT) | instid1(VALU_DEP_1)
	v_fmaak_f32 v34, v33, v34, 0x3e088382
	v_fmaak_f32 v34, v33, v34, 0xbeaaaa99
	s_delay_alu instid0(VALU_DEP_1) | instskip(NEXT) | instid1(VALU_DEP_1)
	v_mul_f32_e64 v34, |v32|, v34
	v_fma_f32 v33, v33, v34, |v32|
.LBB31_44:                              ;   in Loop: Header=BB31_22 Depth=1
	s_or_b32 exec_lo, exec_lo, s4
	s_delay_alu instid0(VALU_DEP_1)
	v_bfi_b32 v32, 0x7fffffff, v33, v32
	s_and_not1_b32 vcc_lo, exec_lo, s12
	s_clause 0x6
	scratch_store_b32 off, v55, off offset:1052
	scratch_store_b32 off, v147, off offset:1028
	;; [unrolled: 1-line block ×7, first 2 shown]
	v_mul_f32_e32 v38, s79, v32
	s_wait_alu 0xfffe
	s_cbranch_vccnz .LBB31_21
; %bb.45:                               ;   in Loop: Header=BB31_22 Depth=1
	v_add_co_u32 v32, vcc_lo, v242, s71
	s_wait_alu 0xfffd
	v_add_co_ci_u32_e64 v33, null, s77, v243, vcc_lo
	global_load_u16 v32, v[32:33], off
	s_wait_loadcnt 0x0
	v_fma_mix_f32 v38, v1, v32, v38 op_sel_hi:[0,1,0]
	s_branch .LBB31_21
.LBB31_46:
	s_clause 0x5
	scratch_load_b32 v119, off, off offset:1328
	scratch_load_b32 v37, off, off offset:1332
	;; [unrolled: 1-line block ×5, first 2 shown]
	scratch_load_b64 v[22:23], off, off offset:564
	v_dual_mov_b32 v85, v36 :: v_dual_mov_b32 v84, v35
	v_mbcnt_lo_u32_b32 v242, -1, 0
.LBB31_47:
	s_cmp_eq_u64 s[60:61], 0
	s_cselect_b32 s1, -1, 0
	s_cmp_lg_u32 s62, 0
	s_cselect_b32 s4, -1, 0
	s_wait_alu 0xfffe
	s_or_b32 s1, s4, s1
	s_wait_alu 0xfffe
	s_nor_b32 s0, s1, s0
	s_wait_alu 0xfffe
	s_and_saveexec_b32 s1, s0
	s_cbranch_execz .LBB31_49
; %bb.48:
	s_ashr_i32 s77, s76, 31
	s_wait_loadcnt 0x4
	v_cmp_eq_u32_e32 vcc_lo, 1, v37
	s_wait_alu 0xfffe
	s_lshl_b64 s[4:5], s[76:77], 2
	v_lshl_add_u32 v9, v37, 4, v127
	s_wait_alu 0xfffe
	s_add_nc_u64 s[4:5], s[60:61], s[4:5]
	s_wait_alu 0xfffd
	v_cndmask_b32_e32 v0, v84, v85, vcc_lo
	s_load_b32 s0, s[4:5], 0x0
	s_delay_alu instid0(VALU_DEP_1) | instskip(SKIP_2) | instid1(VALU_DEP_1)
	v_max_num_f32_e32 v1, v0, v0
	s_wait_kmcnt 0x0
	v_max_num_f32_e64 v2, s0, s0
	v_max_num_f32_e32 v4, v1, v2
	s_delay_alu instid0(VALU_DEP_1) | instskip(NEXT) | instid1(VALU_DEP_1)
	v_sub_f32_e32 v6, s0, v4
	v_mul_f32_e32 v3, 0x3fb8aa3b, v6
	v_sub_f32_e32 v5, v0, v4
	s_delay_alu instid0(VALU_DEP_2) | instskip(NEXT) | instid1(VALU_DEP_2)
	v_rndne_f32_e32 v8, v3
	v_mul_f32_e32 v0, 0x3fb8aa3b, v5
	v_fma_f32 v7, 0x3fb8aa3b, v6, -v3
	v_cmp_ngt_f32_e64 s0, 0xc2ce8ed0, v5
	s_delay_alu instid0(VALU_DEP_3) | instskip(SKIP_1) | instid1(VALU_DEP_4)
	v_fma_f32 v1, 0x3fb8aa3b, v5, -v0
	v_rndne_f32_e32 v2, v0
	v_fmac_f32_e32 v7, 0x32a5705f, v6
	s_delay_alu instid0(VALU_DEP_2) | instskip(SKIP_1) | instid1(VALU_DEP_2)
	v_dual_fmac_f32 v1, 0x32a5705f, v5 :: v_dual_sub_f32 v0, v0, v2
	v_cvt_i32_f32_e32 v2, v2
	v_dual_cndmask_b32 v85, v85, v4 :: v_dual_add_f32 v0, v0, v1
	v_sub_f32_e32 v1, v3, v8
	v_cvt_i32_f32_e32 v8, v8
	s_delay_alu instid0(VALU_DEP_3) | instskip(NEXT) | instid1(VALU_DEP_2)
	v_exp_f32_e32 v0, v0
	v_add_f32_e32 v1, v1, v7
	s_delay_alu instid0(VALU_DEP_1) | instskip(NEXT) | instid1(TRANS32_DEP_2)
	v_exp_f32_e32 v7, v1
	v_ldexp_f32 v0, v0, v2
	s_wait_alu 0xf1ff
	s_delay_alu instid0(VALU_DEP_1) | instskip(SKIP_1) | instid1(TRANS32_DEP_1)
	v_cndmask_b32_e64 v10, 0, v0, s0
	v_cmp_nlt_f32_e64 s0, 0x42b17218, v5
	v_ldexp_f32 v7, v7, v8
	ds_load_b128 v[0:3], v9
	s_wait_alu 0xf1ff
	v_cndmask_b32_e64 v5, 0x7f800000, v10, s0
	v_cmp_ngt_f32_e64 s0, 0xc2ce8ed0, v6
	s_delay_alu instid0(VALU_DEP_2) | instskip(SKIP_1) | instid1(VALU_DEP_2)
	v_cvt_f16_f32_e32 v8, v5
	s_wait_alu 0xf1ff
	v_cndmask_b32_e64 v7, 0, v7, s0
	v_cmp_nlt_f32_e64 s0, 0x42b17218, v6
	s_wait_alu 0xf1ff
	s_delay_alu instid0(VALU_DEP_1) | instskip(SKIP_2) | instid1(VALU_DEP_1)
	v_cndmask_b32_e64 v6, 0x7f800000, v7, s0
	v_cmp_eq_u32_e64 s0, 0, v119
	s_wait_alu 0xf1ff
	v_cndmask_b32_e64 v6, 0, v6, s0
	s_wait_loadcnt 0x0
	v_dual_cndmask_b32 v8, v22, v23 :: v_dual_and_b32 v7, 0xffff, v8
	v_cmp_eq_u32_e64 s0, 0, v37
	s_delay_alu instid0(VALU_DEP_2) | instskip(NEXT) | instid1(VALU_DEP_3)
	v_fmac_f32_e32 v6, v8, v5
	v_mul_u32_u24_e32 v7, 0x10001, v7
	s_wait_alu 0xf1ff
	s_delay_alu instid0(VALU_DEP_3) | instskip(NEXT) | instid1(VALU_DEP_3)
	v_cndmask_b32_e64 v84, v84, v4, s0
	v_cndmask_b32_e32 v23, v23, v6, vcc_lo
	s_wait_dscnt 0x0
	v_pk_mul_f16 v0, v0, v7
	v_pk_mul_f16 v1, v1, v7
	;; [unrolled: 1-line block ×4, first 2 shown]
	v_cndmask_b32_e64 v22, v22, v6, s0
	ds_store_b128 v9, v[0:3]
.LBB31_49:
	s_wait_alu 0xfffe
	s_or_b32 exec_lo, exec_lo, s1
	s_wait_loadcnt 0x2
	v_add_nc_u32_e32 v2, 0x900, v39
	v_add_nc_u32_e32 v8, 0x800, v39
	s_mov_b32 s0, exec_lo
	v_cmpx_eq_u32_e32 0, v37
	s_cbranch_execz .LBB31_51
; %bb.50:
	v_dual_mov_b32 v0, 0xfeffffff :: v_dual_mov_b32 v1, 0
	ds_store_2addr_b32 v8, v0, v0 offset1:32
	ds_store_2addr_b32 v2, v1, v1 offset1:32
.LBB31_51:
	s_wait_alu 0xfffe
	s_or_b32 exec_lo, exec_lo, s0
	v_cmp_eq_u32_e64 s0, 0, v119
	s_wait_storecnt 0x0
	s_wait_loadcnt_dscnt 0x0
	s_barrier_signal -1
	s_barrier_wait -1
	global_inv scope:SCOPE_SE
	s_and_saveexec_b32 s1, s0
; %bb.52:
	v_lshlrev_b32_e32 v0, 2, v37
	s_delay_alu instid0(VALU_DEP_1)
	v_add_nc_u32_e32 v0, 0x800, v0
	ds_store_2addr_b32 v0, v84, v85 offset1:32
; %bb.53:
	s_wait_alu 0xfffe
	s_or_b32 exec_lo, exec_lo, s1
	s_cmp_lt_i32 s78, s72
	s_wait_loadcnt_dscnt 0x0
	s_barrier_signal -1
	s_barrier_wait -1
	global_inv scope:SCOPE_SE
	s_cbranch_scc1 .LBB31_55
; %bb.54:
	s_load_b32 s4, s[2:3], 0xd4
	s_cbranch_execz .LBB31_56
	s_branch .LBB31_63
.LBB31_55:
                                        ; implicit-def: $sgpr4
.LBB31_56:
	ds_load_b32 v0, v8
	v_xor_b32_e32 v1, 16, v242
	v_xor_b32_e32 v4, 8, v242
	;; [unrolled: 1-line block ×4, first 2 shown]
	s_wait_kmcnt 0x0
	s_load_b32 s4, s[2:3], 0xd4
	v_cmp_gt_i32_e32 vcc_lo, 32, v1
	s_wait_alu 0xfffd
	v_dual_cndmask_b32 v1, v242, v1 :: v_dual_lshlrev_b32 v20, 3, v119
	v_cmp_gt_i32_e32 vcc_lo, 32, v4
	s_wait_alu 0xfffd
	s_delay_alu instid0(VALU_DEP_2)
	v_dual_cndmask_b32 v4, v242, v4 :: v_dual_lshlrev_b32 v3, 2, v1
	v_cmp_gt_i32_e32 vcc_lo, 32, v5
	s_wait_dscnt 0x0
	ds_bpermute_b32 v1, v3, v0
	s_wait_alu 0xfffd
	v_dual_max_num_f32 v0, v0, v0 :: v_dual_cndmask_b32 v5, v242, v5
	v_cmp_gt_i32_e32 vcc_lo, 32, v6
	v_lshlrev_b32_e32 v4, 2, v4
	s_wait_alu 0xfffd
	v_cndmask_b32_e32 v6, v242, v6, vcc_lo
	s_delay_alu instid0(VALU_DEP_1) | instskip(SKIP_1) | instid1(VALU_DEP_1)
	v_lshlrev_b32_e32 v7, 2, v6
	v_xor_b32_e32 v6, 1, v242
	v_cmp_gt_i32_e32 vcc_lo, 32, v6
	s_wait_dscnt 0x0
	s_wait_alu 0xfffd
	v_dual_max_num_f32 v1, v1, v1 :: v_dual_cndmask_b32 v6, v242, v6
	s_delay_alu instid0(VALU_DEP_1) | instskip(NEXT) | instid1(VALU_DEP_2)
	v_max_num_f32_e32 v0, v0, v1
	v_lshlrev_b32_e32 v6, 2, v6
	ds_bpermute_b32 v1, v4, v0
	v_lshlrev_b32_e32 v5, 2, v5
	s_wait_dscnt 0x0
	v_max_num_f32_e32 v1, v1, v1
	s_delay_alu instid0(VALU_DEP_1) | instskip(SKIP_3) | instid1(VALU_DEP_1)
	v_max_num_f32_e32 v0, v0, v1
	ds_bpermute_b32 v1, v5, v0
	s_wait_dscnt 0x0
	v_max_num_f32_e32 v1, v1, v1
	v_max_num_f32_e32 v0, v0, v1
	ds_bpermute_b32 v1, v7, v0
	s_wait_dscnt 0x0
	v_max_num_f32_e32 v1, v1, v1
	s_delay_alu instid0(VALU_DEP_1) | instskip(SKIP_3) | instid1(VALU_DEP_1)
	v_max_num_f32_e32 v0, v0, v1
	ds_bpermute_b32 v1, v6, v0
	s_wait_dscnt 0x0
	v_max_num_f32_e32 v1, v1, v1
	v_max_num_f32_e32 v0, v0, v1
	s_delay_alu instid0(VALU_DEP_1) | instskip(NEXT) | instid1(VALU_DEP_1)
	v_sub_f32_e32 v1, v84, v0
	v_mul_f32_e32 v9, 0x3fb8aa3b, v1
	v_cmp_ngt_f32_e32 vcc_lo, 0xc2ce8ed0, v1
	s_delay_alu instid0(VALU_DEP_2) | instskip(SKIP_1) | instid1(VALU_DEP_2)
	v_fma_f32 v10, 0x3fb8aa3b, v1, -v9
	v_rndne_f32_e32 v11, v9
	v_fmamk_f32 v10, v1, 0x32a5705f, v10
	s_delay_alu instid0(VALU_DEP_2) | instskip(NEXT) | instid1(VALU_DEP_1)
	v_sub_f32_e32 v9, v9, v11
	v_add_f32_e32 v9, v9, v10
	v_cvt_i32_f32_e32 v10, v11
	s_delay_alu instid0(VALU_DEP_2) | instskip(NEXT) | instid1(TRANS32_DEP_1)
	v_exp_f32_e32 v9, v9
	v_ldexp_f32 v9, v9, v10
	s_wait_alu 0xfffd
	s_delay_alu instid0(VALU_DEP_1) | instskip(SKIP_2) | instid1(VALU_DEP_2)
	v_cndmask_b32_e32 v9, 0, v9, vcc_lo
	v_cmp_nlt_f32_e32 vcc_lo, 0x42b17218, v1
	s_wait_alu 0xfffd
	v_cndmask_b32_e32 v1, 0x7f800000, v9, vcc_lo
	s_delay_alu instid0(VALU_DEP_1)
	v_mul_f32_e32 v9, v1, v22
	ds_bpermute_b32 v9, v3, v9
	s_wait_dscnt 0x0
	v_fmac_f32_e32 v9, v1, v22
	v_cvt_f16_f32_e32 v1, v1
	ds_bpermute_b32 v10, v4, v9
	v_and_b32_e32 v1, 0xffff, v1
	s_delay_alu instid0(VALU_DEP_1)
	v_mul_u32_u24_e32 v1, 0x10001, v1
	s_wait_dscnt 0x0
	v_add_f32_e32 v9, v9, v10
	ds_bpermute_b32 v10, v5, v9
	s_wait_dscnt 0x0
	v_add_f32_e32 v9, v9, v10
	ds_load_b128 v[10:13], v127
	ds_bpermute_b32 v14, v7, v9
	s_wait_dscnt 0x1
	v_pk_mul_f16 v15, v11, v1
	v_pk_mul_f16 v16, v12, v1
	;; [unrolled: 1-line block ×3, first 2 shown]
	s_wait_dscnt 0x0
	v_add_f32_e32 v18, v9, v14
	v_lshl_add_u32 v9, v37, 2, 0x900
	v_pk_mul_f16 v14, v10, v1
	v_add_nc_u32_e32 v10, v38, v20
	ds_store_b128 v127, v[14:17]
	ds_store_2addr_b64 v10, v[14:15], v[16:17] offset1:32
	ds_bpermute_b32 v19, v6, v18
	s_wait_dscnt 0x0
	v_add_f32_e32 v1, v18, v19
	s_and_saveexec_b32 s1, s0
; %bb.57:
	ds_store_b32 v9, v1
; %bb.58:
	s_wait_alu 0xfffe
	s_or_b32 exec_lo, exec_lo, s1
	s_wait_loadcnt_dscnt 0x0
	s_barrier_signal -1
	s_barrier_wait -1
	global_inv scope:SCOPE_SE
	scratch_load_b32 v19, off, off offset:1296 ; 4-byte Folded Reload
	ds_load_b32 v1, v2
	s_wait_kmcnt 0x0
	s_cmp_eq_u32 s4, 1
	s_mul_i32 s3, s74, s72
	s_cselect_b32 s1, -1, 0
	s_add_co_i32 s3, s3, s78
	s_wait_loadcnt 0x0
	ds_load_u16 v11, v19
	ds_load_u16 v12, v19 offset:1280
	ds_load_u16 v13, v19 offset:768
	;; [unrolled: 1-line block ×3, first 2 shown]
	s_wait_dscnt 0x4
	ds_bpermute_b32 v15, v3, v1
	ds_load_u16 v16, v19 offset:512
	ds_load_u16 v17, v19 offset:1024
	;; [unrolled: 1-line block ×3, first 2 shown]
	s_mul_i32 s3, s3, s73
	s_delay_alu instid0(SALU_CYCLE_1) | instskip(NEXT) | instid1(SALU_CYCLE_1)
	s_add_co_i32 s3, s3, s76
	s_mul_i32 s5, s4, s3
	s_wait_alu 0xfffe
	s_add_co_i32 s5, s5, s62
	s_wait_dscnt 0x7
	v_cvt_f32_f16_e32 v11, v11
	s_wait_dscnt 0x6
	v_cvt_f32_f16_e32 v12, v12
	;; [unrolled: 2-line block ×3, first 2 shown]
	v_add_f32_e32 v1, v1, v15
	v_add_f32_e32 v11, 0, v11
	s_wait_dscnt 0x1
	v_cvt_f32_f16_e32 v17, v17
	s_wait_dscnt 0x0
	v_cvt_f32_f16_e32 v18, v18
	v_cvt_f32_f16_e32 v14, v14
	ds_bpermute_b32 v15, v4, v1
	s_wait_dscnt 0x0
	v_add_f32_e32 v1, v1, v15
	ds_bpermute_b32 v15, v5, v1
	s_wait_dscnt 0x0
	v_add_f32_e32 v1, v1, v15
	;; [unrolled: 3-line block ×3, first 2 shown]
	ds_bpermute_b32 v15, v6, v1
	v_add_f32_e32 v11, v11, v16
	ds_load_u16 v16, v19 offset:1792
	s_wait_dscnt 0x1
	v_dual_add_f32 v22, v1, v15 :: v_dual_add_f32 v11, v11, v17
	v_cvt_f32_f16_e32 v1, v13
	s_delay_alu instid0(VALU_DEP_2) | instskip(SKIP_3) | instid1(VALU_DEP_3)
	v_add_f32_e32 v17, v11, v18
	v_add_f32_e32 v11, 0, v14
	s_wait_dscnt 0x0
	v_cvt_f32_f16_e32 v14, v16
	v_div_scale_f32 v13, null, v22, v22, v17
	s_delay_alu instid0(VALU_DEP_3) | instskip(SKIP_1) | instid1(VALU_DEP_3)
	v_add_f32_e32 v1, v11, v1
	v_div_scale_f32 v15, vcc_lo, v17, v22, v17
	v_rcp_f32_e32 v11, v13
	s_delay_alu instid0(VALU_DEP_2) | instskip(NEXT) | instid1(TRANS32_DEP_1)
	v_add_f32_e32 v1, v1, v12
	v_fma_f32 v12, -v13, v11, 1.0
	s_delay_alu instid0(VALU_DEP_1) | instskip(NEXT) | instid1(VALU_DEP_1)
	v_fmac_f32_e32 v11, v12, v11
	v_dual_mul_f32 v12, v15, v11 :: v_dual_add_f32 v1, v1, v14
	s_delay_alu instid0(VALU_DEP_1) | instskip(NEXT) | instid1(VALU_DEP_2)
	v_fma_f32 v18, -v13, v12, v15
	v_div_scale_f32 v14, null, v22, v22, v1
	s_delay_alu instid0(VALU_DEP_2) | instskip(NEXT) | instid1(VALU_DEP_2)
	v_fmac_f32_e32 v12, v18, v11
	v_rcp_f32_e32 v16, v14
	v_div_scale_f32 v18, s2, v1, v22, v1
	s_delay_alu instid0(VALU_DEP_2) | instskip(SKIP_1) | instid1(VALU_DEP_1)
	v_fma_f32 v13, -v13, v12, v15
	s_wait_alu 0xfffd
	v_div_fmas_f32 v11, v13, v11, v12
	s_delay_alu instid0(TRANS32_DEP_1) | instskip(SKIP_2) | instid1(VALU_DEP_2)
	v_fma_f32 v19, -v14, v16, 1.0
	s_mov_b32 vcc_lo, s2
	s_or_b32 s2, s78, 1
	v_div_fixup_f32 v13, v11, v22, v17
	s_delay_alu instid0(VALU_DEP_2)
	v_fmac_f32_e32 v16, v19, v16
	s_wait_alu 0xfffe
	v_lshl_or_b32 v11, s5, 8, v21
	s_cmp_ge_i32 s2, s72
	v_cndmask_b32_e64 v13, v17, v13, s1
	v_mul_f32_e32 v15, v18, v16
	s_delay_alu instid0(VALU_DEP_1) | instskip(NEXT) | instid1(VALU_DEP_1)
	v_fma_f32 v12, -v14, v15, v18
	v_dual_fmac_f32 v15, v12, v16 :: v_dual_mov_b32 v12, 0
	s_delay_alu instid0(VALU_DEP_1) | instskip(NEXT) | instid1(VALU_DEP_2)
	v_fma_f32 v14, -v14, v15, v18
	v_lshlrev_b64_e32 v[11:12], 2, v[11:12]
	s_delay_alu instid0(VALU_DEP_2) | instskip(NEXT) | instid1(VALU_DEP_2)
	v_div_fmas_f32 v14, v14, v16, v15
	v_add_co_u32 v11, vcc_lo, s64, v11
	s_wait_alu 0xfffd
	s_delay_alu instid0(VALU_DEP_3) | instskip(NEXT) | instid1(VALU_DEP_3)
	v_add_co_ci_u32_e64 v12, null, s65, v12, vcc_lo
	v_div_fixup_f32 v14, v14, v22, v1
	s_delay_alu instid0(VALU_DEP_1)
	v_cndmask_b32_e64 v14, v1, v14, s1
	v_mov_b32_e32 v1, v85
	s_clause 0x1
	global_store_b32 v[11:12], v13, off
	global_store_b32 v[11:12], v14, off offset:512
	s_wait_storecnt 0x0
	s_barrier_signal -1
	s_barrier_wait -1
	global_inv scope:SCOPE_SE
	s_cbranch_scc1 .LBB31_62
; %bb.59:
	ds_load_b32 v1, v8 offset:128
	s_wait_dscnt 0x0
	ds_bpermute_b32 v8, v3, v1
	s_wait_dscnt 0x0
	v_dual_max_num_f32 v1, v1, v1 :: v_dual_max_num_f32 v8, v8, v8
	s_delay_alu instid0(VALU_DEP_1) | instskip(SKIP_3) | instid1(VALU_DEP_1)
	v_max_num_f32_e32 v1, v1, v8
	ds_bpermute_b32 v8, v4, v1
	s_wait_dscnt 0x0
	v_max_num_f32_e32 v8, v8, v8
	v_max_num_f32_e32 v1, v1, v8
	ds_bpermute_b32 v8, v5, v1
	s_wait_dscnt 0x0
	v_max_num_f32_e32 v8, v8, v8
	s_delay_alu instid0(VALU_DEP_1) | instskip(SKIP_3) | instid1(VALU_DEP_1)
	v_max_num_f32_e32 v1, v1, v8
	ds_bpermute_b32 v8, v7, v1
	s_wait_dscnt 0x0
	v_max_num_f32_e32 v8, v8, v8
	v_max_num_f32_e32 v1, v1, v8
	ds_bpermute_b32 v8, v6, v1
	s_wait_dscnt 0x0
	v_max_num_f32_e32 v8, v8, v8
	s_delay_alu instid0(VALU_DEP_1) | instskip(NEXT) | instid1(VALU_DEP_1)
	v_max_num_f32_e32 v1, v1, v8
	v_sub_f32_e32 v8, v85, v1
	s_delay_alu instid0(VALU_DEP_1) | instskip(NEXT) | instid1(VALU_DEP_1)
	v_mul_f32_e32 v11, 0x3fb8aa3b, v8
	v_fma_f32 v12, 0x3fb8aa3b, v8, -v11
	v_rndne_f32_e32 v13, v11
	s_delay_alu instid0(VALU_DEP_1) | instskip(NEXT) | instid1(VALU_DEP_1)
	v_dual_fmamk_f32 v12, v8, 0x32a5705f, v12 :: v_dual_sub_f32 v11, v11, v13
	v_add_f32_e32 v11, v11, v12
	v_cvt_i32_f32_e32 v12, v13
	v_cmp_ngt_f32_e32 vcc_lo, 0xc2ce8ed0, v8
	s_delay_alu instid0(VALU_DEP_3) | instskip(NEXT) | instid1(TRANS32_DEP_1)
	v_exp_f32_e32 v11, v11
	v_ldexp_f32 v11, v11, v12
	s_wait_alu 0xfffd
	s_delay_alu instid0(VALU_DEP_1) | instskip(SKIP_2) | instid1(VALU_DEP_2)
	v_cndmask_b32_e32 v11, 0, v11, vcc_lo
	v_cmp_nlt_f32_e32 vcc_lo, 0x42b17218, v8
	s_wait_alu 0xfffd
	v_cndmask_b32_e32 v8, 0x7f800000, v11, vcc_lo
	s_delay_alu instid0(VALU_DEP_1)
	v_mul_f32_e32 v11, v8, v23
	ds_bpermute_b32 v11, v3, v11
	s_wait_dscnt 0x0
	v_fmac_f32_e32 v11, v8, v23
	v_cvt_f16_f32_e32 v8, v8
	ds_bpermute_b32 v12, v4, v11
	v_and_b32_e32 v8, 0xffff, v8
	s_delay_alu instid0(VALU_DEP_1)
	v_mul_u32_u24_e32 v8, 0x10001, v8
	s_wait_dscnt 0x0
	v_add_f32_e32 v11, v11, v12
	ds_bpermute_b32 v12, v5, v11
	s_wait_dscnt 0x0
	v_add_f32_e32 v15, v11, v12
	ds_load_b128 v[11:14], v127 offset:16
	ds_bpermute_b32 v16, v7, v15
	s_wait_dscnt 0x1
	v_pk_mul_f16 v11, v11, v8
	v_pk_mul_f16 v12, v12, v8
	;; [unrolled: 1-line block ×4, first 2 shown]
	s_wait_dscnt 0x0
	v_add_f32_e32 v15, v15, v16
	ds_store_b128 v127, v[11:14] offset:16
	ds_store_2addr_b64 v10, v[11:12], v[13:14] offset1:32
	ds_bpermute_b32 v16, v6, v15
	s_wait_dscnt 0x0
	v_add_f32_e32 v8, v15, v16
	s_and_saveexec_b32 s2, s0
; %bb.60:
	ds_store_b32 v9, v8 offset:128
; %bb.61:
	s_or_b32 exec_lo, exec_lo, s2
	s_wait_loadcnt_dscnt 0x0
	s_barrier_signal -1
	s_barrier_wait -1
	global_inv scope:SCOPE_SE
	scratch_load_b32 v12, off, off offset:1296 th:TH_LOAD_LU ; 4-byte Folded Reload
	ds_load_b32 v2, v2 offset:128
	s_add_co_i32 s3, s3, s73
	s_wait_loadcnt 0x0
	ds_load_u16 v8, v12
	ds_load_u16 v9, v12 offset:1280
	ds_load_u16 v10, v12 offset:768
	;; [unrolled: 1-line block ×3, first 2 shown]
	s_wait_dscnt 0x4
	ds_bpermute_b32 v3, v3, v2
	s_mul_i32 s2, s4, s3
	s_delay_alu instid0(SALU_CYCLE_1)
	s_add_co_i32 s2, s2, s62
	s_wait_dscnt 0x4
	v_cvt_f32_f16_e32 v8, v8
	s_wait_dscnt 0x2
	v_cvt_f32_f16_e32 v10, v10
	;; [unrolled: 2-line block ×3, first 2 shown]
	s_delay_alu instid0(VALU_DEP_1)
	v_dual_add_f32 v8, 0, v8 :: v_dual_add_f32 v11, 0, v11
	s_wait_dscnt 0x0
	v_add_f32_e32 v2, v2, v3
	ds_bpermute_b32 v3, v4, v2
	s_wait_dscnt 0x0
	v_add_f32_e32 v2, v2, v3
	ds_bpermute_b32 v3, v5, v2
	;; [unrolled: 3-line block ×3, first 2 shown]
	ds_load_u16 v4, v12 offset:512
	ds_load_u16 v5, v12 offset:1024
	;; [unrolled: 1-line block ×3, first 2 shown]
	s_wait_dscnt 0x2
	v_cvt_f32_f16_e32 v4, v4
	v_add_f32_e32 v2, v2, v3
	ds_load_u16 v3, v12 offset:1792
	s_wait_dscnt 0x2
	v_cvt_f32_f16_e32 v5, v5
	s_wait_dscnt 0x1
	v_cvt_f32_f16_e32 v7, v7
	ds_bpermute_b32 v6, v6, v2
	v_add_f32_e32 v4, v8, v4
	v_cvt_f32_f16_e32 v8, v9
	v_add_f32_e32 v9, v11, v10
	s_wait_dscnt 0x1
	v_cvt_f32_f16_e32 v3, v3
	s_wait_dscnt 0x0
	v_dual_add_f32 v23, v2, v6 :: v_dual_add_f32 v4, v4, v5
	v_add_f32_e32 v5, v9, v8
	s_delay_alu instid0(VALU_DEP_1) | instskip(NEXT) | instid1(VALU_DEP_3)
	v_add_f32_e32 v5, v5, v3
	v_add_f32_e32 v4, v4, v7
	s_delay_alu instid0(VALU_DEP_2) | instskip(NEXT) | instid1(VALU_DEP_2)
	v_div_scale_f32 v6, null, v23, v23, v5
	v_div_scale_f32 v2, null, v23, v23, v4
	v_div_scale_f32 v10, vcc_lo, v4, v23, v4
	s_delay_alu instid0(VALU_DEP_3) | instskip(NEXT) | instid1(VALU_DEP_2)
	v_rcp_f32_e32 v8, v6
	v_rcp_f32_e32 v7, v2
	v_div_scale_f32 v11, s0, v5, v23, v5
	s_delay_alu instid0(TRANS32_DEP_2) | instskip(NEXT) | instid1(TRANS32_DEP_1)
	v_fma_f32 v9, -v6, v8, 1.0
	v_fma_f32 v3, -v2, v7, 1.0
	s_delay_alu instid0(VALU_DEP_1) | instskip(NEXT) | instid1(VALU_DEP_1)
	v_dual_fmac_f32 v8, v9, v8 :: v_dual_fmac_f32 v7, v3, v7
	v_dual_mul_f32 v12, v11, v8 :: v_dual_mul_f32 v9, v10, v7
	s_delay_alu instid0(VALU_DEP_1) | instskip(NEXT) | instid1(VALU_DEP_2)
	v_fma_f32 v13, -v6, v12, v11
	v_fma_f32 v3, -v2, v9, v10
	s_delay_alu instid0(VALU_DEP_1) | instskip(SKIP_1) | instid1(VALU_DEP_2)
	v_dual_fmac_f32 v12, v13, v8 :: v_dual_fmac_f32 v9, v3, v7
	v_mov_b32_e32 v3, 0
	v_fma_f32 v6, -v6, v12, v11
	s_delay_alu instid0(VALU_DEP_3) | instskip(SKIP_1) | instid1(VALU_DEP_1)
	v_fma_f32 v2, -v2, v9, v10
	s_wait_alu 0xfffd
	v_div_fmas_f32 v7, v2, v7, v9
	v_lshl_or_b32 v2, s2, 8, v21
	s_mov_b32 vcc_lo, s0
	s_wait_alu 0xfffe
	v_div_fmas_f32 v6, v6, v8, v12
	v_div_fixup_f32 v7, v7, v23, v4
	v_lshlrev_b64_e32 v[2:3], 2, v[2:3]
	s_delay_alu instid0(VALU_DEP_3) | instskip(NEXT) | instid1(VALU_DEP_3)
	v_div_fixup_f32 v6, v6, v23, v5
	v_cndmask_b32_e64 v4, v4, v7, s1
	s_delay_alu instid0(VALU_DEP_3) | instskip(SKIP_1) | instid1(VALU_DEP_4)
	v_add_co_u32 v2, vcc_lo, s64, v2
	s_wait_alu 0xfffd
	v_add_co_ci_u32_e64 v3, null, s65, v3, vcc_lo
	v_cndmask_b32_e64 v5, v5, v6, s1
	s_clause 0x1
	global_store_b32 v[2:3], v4, off
	global_store_b32 v[2:3], v5, off offset:512
.LBB31_62:
	v_dual_mov_b32 v85, v1 :: v_dual_mov_b32 v84, v0
.LBB31_63:
	v_or_b32_e32 v0, s78, v119
	v_cmp_gt_u32_e32 vcc_lo, 2, v21
	s_wait_kmcnt 0x0
	s_cmp_lg_u32 s4, 1
	s_cselect_b32 s1, -1, 0
	v_cmp_gt_i32_e64 s0, s72, v0
	s_wait_alu 0xfffe
	s_and_b32 s1, s1, vcc_lo
	s_wait_alu 0xfffe
	s_and_b32 s0, s1, s0
	s_wait_alu 0xfffe
	s_and_saveexec_b32 s1, s0
	s_cbranch_execz .LBB31_65
; %bb.64:
	v_mad_co_u64_u32 v[0:1], null, s74, s72, v[0:1]
	v_cmp_eq_u32_e32 vcc_lo, 1, v21
	s_wait_alu 0xfffd
	v_cndmask_b32_e32 v3, v22, v23, vcc_lo
	s_delay_alu instid0(VALU_DEP_3) | instskip(SKIP_1) | instid1(VALU_DEP_2)
	v_mad_co_u64_u32 v[0:1], null, v0, s73, s[76:77]
	v_cndmask_b32_e32 v2, v84, v85, vcc_lo
	v_mad_co_u64_u32 v[0:1], null, s4, v0, s[62:63]
	v_mov_b32_e32 v1, 0
	s_delay_alu instid0(VALU_DEP_1) | instskip(NEXT) | instid1(VALU_DEP_1)
	v_lshlrev_b64_e32 v[0:1], 3, v[0:1]
	v_add_co_u32 v0, vcc_lo, s66, v0
	s_wait_alu 0xfffd
	s_delay_alu instid0(VALU_DEP_2)
	v_add_co_ci_u32_e64 v1, null, s67, v1, vcc_lo
	global_store_b64 v[0:1], v[2:3], off
.LBB31_65:
	s_nop 0
	s_sendmsg sendmsg(MSG_DEALLOC_VGPRS)
	s_endpgm
	.section	.rodata,"a",@progbits
	.p2align	6, 0x0
	.amdhsa_kernel _ZL18flash_attn_ext_vecILi256ELi2EL9ggml_type3ELS0_2ELb1EEvPKcS2_S2_S2_S2_PKiPfP15HIP_vector_typeIfLj2EEffffjfiS6_IjLj3EEiiiiiiiiiiiliiliiiiil
		.amdhsa_group_segment_fixed_size 6656
		.amdhsa_private_segment_fixed_size 1352
		.amdhsa_kernarg_size 464
		.amdhsa_user_sgpr_count 4
		.amdhsa_user_sgpr_dispatch_ptr 1
		.amdhsa_user_sgpr_queue_ptr 0
		.amdhsa_user_sgpr_kernarg_segment_ptr 1
		.amdhsa_user_sgpr_dispatch_id 0
		.amdhsa_user_sgpr_private_segment_size 0
		.amdhsa_wavefront_size32 1
		.amdhsa_uses_dynamic_stack 0
		.amdhsa_enable_private_segment 1
		.amdhsa_system_sgpr_workgroup_id_x 1
		.amdhsa_system_sgpr_workgroup_id_y 1
		.amdhsa_system_sgpr_workgroup_id_z 1
		.amdhsa_system_sgpr_workgroup_info 0
		.amdhsa_system_vgpr_workitem_id 2
		.amdhsa_next_free_vgpr 256
		.amdhsa_next_free_sgpr 98
		.amdhsa_reserve_vcc 1
		.amdhsa_float_round_mode_32 0
		.amdhsa_float_round_mode_16_64 0
		.amdhsa_float_denorm_mode_32 3
		.amdhsa_float_denorm_mode_16_64 3
		.amdhsa_fp16_overflow 0
		.amdhsa_workgroup_processor_mode 1
		.amdhsa_memory_ordered 1
		.amdhsa_forward_progress 1
		.amdhsa_inst_pref_size 255
		.amdhsa_round_robin_scheduling 0
		.amdhsa_exception_fp_ieee_invalid_op 0
		.amdhsa_exception_fp_denorm_src 0
		.amdhsa_exception_fp_ieee_div_zero 0
		.amdhsa_exception_fp_ieee_overflow 0
		.amdhsa_exception_fp_ieee_underflow 0
		.amdhsa_exception_fp_ieee_inexact 0
		.amdhsa_exception_int_div_zero 0
	.end_amdhsa_kernel
	.section	.text._ZL18flash_attn_ext_vecILi256ELi2EL9ggml_type3ELS0_2ELb1EEvPKcS2_S2_S2_S2_PKiPfP15HIP_vector_typeIfLj2EEffffjfiS6_IjLj3EEiiiiiiiiiiiliiliiiiil,"axG",@progbits,_ZL18flash_attn_ext_vecILi256ELi2EL9ggml_type3ELS0_2ELb1EEvPKcS2_S2_S2_S2_PKiPfP15HIP_vector_typeIfLj2EEffffjfiS6_IjLj3EEiiiiiiiiiiiliiliiiiil,comdat
.Lfunc_end31:
	.size	_ZL18flash_attn_ext_vecILi256ELi2EL9ggml_type3ELS0_2ELb1EEvPKcS2_S2_S2_S2_PKiPfP15HIP_vector_typeIfLj2EEffffjfiS6_IjLj3EEiiiiiiiiiiiliiliiiiil, .Lfunc_end31-_ZL18flash_attn_ext_vecILi256ELi2EL9ggml_type3ELS0_2ELb1EEvPKcS2_S2_S2_S2_PKiPfP15HIP_vector_typeIfLj2EEffffjfiS6_IjLj3EEiiiiiiiiiiiliiliiiiil
                                        ; -- End function
	.set _ZL18flash_attn_ext_vecILi256ELi2EL9ggml_type3ELS0_2ELb1EEvPKcS2_S2_S2_S2_PKiPfP15HIP_vector_typeIfLj2EEffffjfiS6_IjLj3EEiiiiiiiiiiiliiliiiiil.num_vgpr, 256
	.set _ZL18flash_attn_ext_vecILi256ELi2EL9ggml_type3ELS0_2ELb1EEvPKcS2_S2_S2_S2_PKiPfP15HIP_vector_typeIfLj2EEffffjfiS6_IjLj3EEiiiiiiiiiiiliiliiiiil.num_agpr, 0
	.set _ZL18flash_attn_ext_vecILi256ELi2EL9ggml_type3ELS0_2ELb1EEvPKcS2_S2_S2_S2_PKiPfP15HIP_vector_typeIfLj2EEffffjfiS6_IjLj3EEiiiiiiiiiiiliiliiiiil.numbered_sgpr, 98
	.set _ZL18flash_attn_ext_vecILi256ELi2EL9ggml_type3ELS0_2ELb1EEvPKcS2_S2_S2_S2_PKiPfP15HIP_vector_typeIfLj2EEffffjfiS6_IjLj3EEiiiiiiiiiiiliiliiiiil.num_named_barrier, 0
	.set _ZL18flash_attn_ext_vecILi256ELi2EL9ggml_type3ELS0_2ELb1EEvPKcS2_S2_S2_S2_PKiPfP15HIP_vector_typeIfLj2EEffffjfiS6_IjLj3EEiiiiiiiiiiiliiliiiiil.private_seg_size, 1352
	.set _ZL18flash_attn_ext_vecILi256ELi2EL9ggml_type3ELS0_2ELb1EEvPKcS2_S2_S2_S2_PKiPfP15HIP_vector_typeIfLj2EEffffjfiS6_IjLj3EEiiiiiiiiiiiliiliiiiil.uses_vcc, 1
	.set _ZL18flash_attn_ext_vecILi256ELi2EL9ggml_type3ELS0_2ELb1EEvPKcS2_S2_S2_S2_PKiPfP15HIP_vector_typeIfLj2EEffffjfiS6_IjLj3EEiiiiiiiiiiiliiliiiiil.uses_flat_scratch, 1
	.set _ZL18flash_attn_ext_vecILi256ELi2EL9ggml_type3ELS0_2ELb1EEvPKcS2_S2_S2_S2_PKiPfP15HIP_vector_typeIfLj2EEffffjfiS6_IjLj3EEiiiiiiiiiiiliiliiiiil.has_dyn_sized_stack, 0
	.set _ZL18flash_attn_ext_vecILi256ELi2EL9ggml_type3ELS0_2ELb1EEvPKcS2_S2_S2_S2_PKiPfP15HIP_vector_typeIfLj2EEffffjfiS6_IjLj3EEiiiiiiiiiiiliiliiiiil.has_recursion, 0
	.set _ZL18flash_attn_ext_vecILi256ELi2EL9ggml_type3ELS0_2ELb1EEvPKcS2_S2_S2_S2_PKiPfP15HIP_vector_typeIfLj2EEffffjfiS6_IjLj3EEiiiiiiiiiiiliiliiiiil.has_indirect_call, 0
	.section	.AMDGPU.csdata,"",@progbits
; Kernel info:
; codeLenInByte = 63140
; TotalNumSgprs: 100
; NumVgprs: 256
; ScratchSize: 1352
; MemoryBound: 0
; FloatMode: 240
; IeeeMode: 1
; LDSByteSize: 6656 bytes/workgroup (compile time only)
; SGPRBlocks: 0
; VGPRBlocks: 31
; NumSGPRsForWavesPerEU: 100
; NumVGPRsForWavesPerEU: 256
; Occupancy: 5
; WaveLimiterHint : 0
; COMPUTE_PGM_RSRC2:SCRATCH_EN: 1
; COMPUTE_PGM_RSRC2:USER_SGPR: 4
; COMPUTE_PGM_RSRC2:TRAP_HANDLER: 0
; COMPUTE_PGM_RSRC2:TGID_X_EN: 1
; COMPUTE_PGM_RSRC2:TGID_Y_EN: 1
; COMPUTE_PGM_RSRC2:TGID_Z_EN: 1
; COMPUTE_PGM_RSRC2:TIDIG_COMP_CNT: 2
	.text
	.p2alignl 7, 3214868480
	.fill 96, 4, 3214868480
	.section	.AMDGPU.gpr_maximums,"",@progbits
	.set amdgpu.max_num_vgpr, 40
	.set amdgpu.max_num_agpr, 0
	.set amdgpu.max_num_sgpr, 34
	.text
	.type	.str.3,@object                  ; @.str.3
	.section	.rodata.str1.1,"aMS",@progbits,1
.str.3:
	.asciz	"/root/src/amdgpu-assembly/repos/ggml-org__llama.cpp/ggml/src/ggml-cuda/template-instances/../fattn-vec.cuh"
	.size	.str.3, 107

	.type	__FUNCTION__._ZL18flash_attn_ext_vecILi64ELi1EL9ggml_type3ELS0_2ELb1EEvPKcS2_S2_S2_S2_PKiPfP15HIP_vector_typeIfLj2EEffffjfiS6_IjLj3EEiiiiiiiiiiiliiliiiiil,@object ; @__FUNCTION__._ZL18flash_attn_ext_vecILi64ELi1EL9ggml_type3ELS0_2ELb1EEvPKcS2_S2_S2_S2_PKiPfP15HIP_vector_typeIfLj2EEffffjfiS6_IjLj3EEiiiiiiiiiiiliiliiiiil
__FUNCTION__._ZL18flash_attn_ext_vecILi64ELi1EL9ggml_type3ELS0_2ELb1EEvPKcS2_S2_S2_S2_PKiPfP15HIP_vector_typeIfLj2EEffffjfiS6_IjLj3EEiiiiiiiiiiiliiliiiiil:
	.asciz	"flash_attn_ext_vec"
	.size	__FUNCTION__._ZL18flash_attn_ext_vecILi64ELi1EL9ggml_type3ELS0_2ELb1EEvPKcS2_S2_S2_S2_PKiPfP15HIP_vector_typeIfLj2EEffffjfiS6_IjLj3EEiiiiiiiiiiiliiliiiiil, 19

	.type	.str.5,@object                  ; @.str.5
.str.5:
	.asciz	"%s:%d: ERROR: HIP kernel %s has no device code compatible with HIP arch %d.\n"
	.size	.str.5, 77

	.type	__hip_cuid_f4c5e7c13bc81ddb,@object ; @__hip_cuid_f4c5e7c13bc81ddb
	.section	.bss,"aw",@nobits
	.globl	__hip_cuid_f4c5e7c13bc81ddb
__hip_cuid_f4c5e7c13bc81ddb:
	.byte	0                               ; 0x0
	.size	__hip_cuid_f4c5e7c13bc81ddb, 1

	.ident	"AMD clang version 22.0.0git (https://github.com/RadeonOpenCompute/llvm-project roc-7.2.4 26084 f58b06dce1f9c15707c5f808fd002e18c2accf7e)"
	.section	".note.GNU-stack","",@progbits
	.addrsig
	.addrsig_sym __hip_cuid_f4c5e7c13bc81ddb
	.amdgpu_metadata
---
amdhsa.kernels:
  - .args:
      - .address_space:  global
        .offset:         0
        .size:           8
        .value_kind:     global_buffer
      - .address_space:  global
        .offset:         8
        .size:           8
        .value_kind:     global_buffer
      - .address_space:  global
        .offset:         16
        .size:           8
        .value_kind:     global_buffer
      - .address_space:  global
        .offset:         24
        .size:           8
        .value_kind:     global_buffer
      - .address_space:  global
        .offset:         32
        .size:           8
        .value_kind:     global_buffer
      - .address_space:  global
        .offset:         40
        .size:           8
        .value_kind:     global_buffer
      - .address_space:  global
        .offset:         48
        .size:           8
        .value_kind:     global_buffer
      - .address_space:  global
        .offset:         56
        .size:           8
        .value_kind:     global_buffer
      - .offset:         64
        .size:           4
        .value_kind:     by_value
      - .offset:         68
        .size:           4
        .value_kind:     by_value
      - .offset:         72
        .size:           4
        .value_kind:     by_value
      - .offset:         76
        .size:           4
        .value_kind:     by_value
      - .offset:         80
        .size:           4
        .value_kind:     by_value
      - .offset:         84
        .size:           4
        .value_kind:     by_value
      - .offset:         88
        .size:           4
        .value_kind:     by_value
      - .offset:         92
        .size:           12
        .value_kind:     by_value
      - .offset:         104
        .size:           4
        .value_kind:     by_value
      - .offset:         108
        .size:           4
        .value_kind:     by_value
      - .offset:         112
        .size:           4
        .value_kind:     by_value
      - .offset:         116
        .size:           4
        .value_kind:     by_value
      - .offset:         120
        .size:           4
        .value_kind:     by_value
      - .offset:         124
        .size:           4
        .value_kind:     by_value
      - .offset:         128
        .size:           4
        .value_kind:     by_value
      - .offset:         132
        .size:           4
        .value_kind:     by_value
      - .offset:         136
        .size:           4
        .value_kind:     by_value
      - .offset:         140
        .size:           4
        .value_kind:     by_value
      - .offset:         144
        .size:           4
        .value_kind:     by_value
      - .offset:         152
        .size:           8
        .value_kind:     by_value
      - .offset:         160
        .size:           4
        .value_kind:     by_value
      - .offset:         164
        .size:           4
        .value_kind:     by_value
      - .offset:         168
        .size:           8
        .value_kind:     by_value
      - .offset:         176
        .size:           4
        .value_kind:     by_value
      - .offset:         180
        .size:           4
        .value_kind:     by_value
      - .offset:         184
        .size:           4
        .value_kind:     by_value
      - .offset:         188
        .size:           4
        .value_kind:     by_value
      - .offset:         192
        .size:           4
        .value_kind:     by_value
      - .offset:         200
        .size:           8
        .value_kind:     by_value
      - .offset:         208
        .size:           4
        .value_kind:     hidden_block_count_x
      - .offset:         212
        .size:           4
        .value_kind:     hidden_block_count_y
      - .offset:         216
        .size:           4
        .value_kind:     hidden_block_count_z
      - .offset:         220
        .size:           2
        .value_kind:     hidden_group_size_x
      - .offset:         222
        .size:           2
        .value_kind:     hidden_group_size_y
      - .offset:         224
        .size:           2
        .value_kind:     hidden_group_size_z
      - .offset:         226
        .size:           2
        .value_kind:     hidden_remainder_x
      - .offset:         228
        .size:           2
        .value_kind:     hidden_remainder_y
      - .offset:         230
        .size:           2
        .value_kind:     hidden_remainder_z
      - .offset:         248
        .size:           8
        .value_kind:     hidden_global_offset_x
      - .offset:         256
        .size:           8
        .value_kind:     hidden_global_offset_y
      - .offset:         264
        .size:           8
        .value_kind:     hidden_global_offset_z
      - .offset:         272
        .size:           2
        .value_kind:     hidden_grid_dims
    .group_segment_fixed_size: 1280
    .kernarg_segment_align: 8
    .kernarg_segment_size: 464
    .language:       OpenCL C
    .language_version:
      - 2
      - 0
    .max_flat_workgroup_size: 128
    .name:           _ZL18flash_attn_ext_vecILi64ELi1EL9ggml_type3ELS0_2ELb0EEvPKcS2_S2_S2_S2_PKiPfP15HIP_vector_typeIfLj2EEffffjfiS6_IjLj3EEiiiiiiiiiiiliiliiiiil
    .private_segment_fixed_size: 0
    .sgpr_count:     53
    .sgpr_spill_count: 0
    .symbol:         _ZL18flash_attn_ext_vecILi64ELi1EL9ggml_type3ELS0_2ELb0EEvPKcS2_S2_S2_S2_PKiPfP15HIP_vector_typeIfLj2EEffffjfiS6_IjLj3EEiiiiiiiiiiiliiliiiiil.kd
    .uniform_work_group_size: 1
    .uses_dynamic_stack: false
    .vgpr_count:     136
    .vgpr_spill_count: 0
    .wavefront_size: 32
    .workgroup_processor_mode: 1
  - .args:
      - .actual_access:  read_only
        .address_space:  global
        .offset:         0
        .size:           8
        .value_kind:     global_buffer
      - .actual_access:  write_only
        .address_space:  global
        .offset:         8
        .size:           8
        .value_kind:     global_buffer
      - .offset:         16
        .size:           4
        .value_kind:     by_value
      - .offset:         20
        .size:           4
        .value_kind:     by_value
      - .offset:         24
        .size:           4
        .value_kind:     by_value
      - .offset:         32
        .size:           4
        .value_kind:     hidden_block_count_x
      - .offset:         36
        .size:           4
        .value_kind:     hidden_block_count_y
      - .offset:         40
        .size:           4
        .value_kind:     hidden_block_count_z
      - .offset:         44
        .size:           2
        .value_kind:     hidden_group_size_x
      - .offset:         46
        .size:           2
        .value_kind:     hidden_group_size_y
      - .offset:         48
        .size:           2
        .value_kind:     hidden_group_size_z
      - .offset:         50
        .size:           2
        .value_kind:     hidden_remainder_x
      - .offset:         52
        .size:           2
        .value_kind:     hidden_remainder_y
      - .offset:         54
        .size:           2
        .value_kind:     hidden_remainder_z
      - .offset:         72
        .size:           8
        .value_kind:     hidden_global_offset_x
      - .offset:         80
        .size:           8
        .value_kind:     hidden_global_offset_y
      - .offset:         88
        .size:           8
        .value_kind:     hidden_global_offset_z
      - .offset:         96
        .size:           2
        .value_kind:     hidden_grid_dims
    .group_segment_fixed_size: 128
    .kernarg_segment_align: 8
    .kernarg_segment_size: 288
    .language:       OpenCL C
    .language_version:
      - 2
      - 0
    .max_flat_workgroup_size: 128
    .name:           _ZL25flash_attn_mask_to_KV_maxILi1EEvPK7__half2Piiii
    .private_segment_fixed_size: 0
    .sgpr_count:     13
    .sgpr_spill_count: 0
    .symbol:         _ZL25flash_attn_mask_to_KV_maxILi1EEvPK7__half2Piiii.kd
    .uniform_work_group_size: 1
    .uses_dynamic_stack: false
    .vgpr_count:     7
    .vgpr_spill_count: 0
    .wavefront_size: 32
    .workgroup_processor_mode: 1
  - .args:
      - .address_space:  global
        .offset:         0
        .size:           8
        .value_kind:     global_buffer
      - .address_space:  global
        .offset:         8
        .size:           8
        .value_kind:     global_buffer
      - .offset:         16
        .size:           4
        .value_kind:     by_value
      - .offset:         20
        .size:           4
        .value_kind:     by_value
      - .offset:         24
        .size:           4
        .value_kind:     by_value
      - .offset:         28
        .size:           4
        .value_kind:     by_value
      - .offset:         32
        .size:           4
        .value_kind:     by_value
      - .offset:         36
        .size:           4
        .value_kind:     by_value
      - .offset:         40
        .size:           12
        .value_kind:     by_value
      - .offset:         52
        .size:           12
        .value_kind:     by_value
      - .offset:         64
        .size:           12
        .value_kind:     by_value
    .group_segment_fixed_size: 0
    .kernarg_segment_align: 8
    .kernarg_segment_size: 76
    .language:       OpenCL C
    .language_version:
      - 2
      - 0
    .max_flat_workgroup_size: 64
    .name:           _ZL33flash_attn_stream_k_fixup_uniformILi64ELi1ELi1EEvPfPK15HIP_vector_typeIfLj2EEiiiiiiS1_IjLj3EES5_S5_
    .private_segment_fixed_size: 0
    .sgpr_count:     22
    .sgpr_spill_count: 0
    .symbol:         _ZL33flash_attn_stream_k_fixup_uniformILi64ELi1ELi1EEvPfPK15HIP_vector_typeIfLj2EEiiiiiiS1_IjLj3EES5_S5_.kd
    .uniform_work_group_size: 1
    .uses_dynamic_stack: false
    .vgpr_count:     11
    .vgpr_spill_count: 0
    .wavefront_size: 32
    .workgroup_processor_mode: 1
  - .args:
      - .address_space:  global
        .offset:         0
        .size:           8
        .value_kind:     global_buffer
      - .address_space:  global
        .offset:         8
        .size:           8
        .value_kind:     global_buffer
      - .offset:         16
        .size:           4
        .value_kind:     by_value
      - .offset:         20
        .size:           4
        .value_kind:     by_value
      - .offset:         24
        .size:           4
        .value_kind:     by_value
      - .offset:         28
        .size:           4
        .value_kind:     by_value
      - .offset:         32
        .size:           12
        .value_kind:     by_value
      - .offset:         44
        .size:           12
        .value_kind:     by_value
      - .offset:         56
        .size:           12
        .value_kind:     by_value
      - .offset:         68
        .size:           12
        .value_kind:     by_value
      - .offset:         80
        .size:           4
        .value_kind:     hidden_block_count_x
      - .offset:         84
        .size:           4
        .value_kind:     hidden_block_count_y
      - .offset:         88
        .size:           4
        .value_kind:     hidden_block_count_z
      - .offset:         92
        .size:           2
        .value_kind:     hidden_group_size_x
      - .offset:         94
        .size:           2
        .value_kind:     hidden_group_size_y
      - .offset:         96
        .size:           2
        .value_kind:     hidden_group_size_z
      - .offset:         98
        .size:           2
        .value_kind:     hidden_remainder_x
      - .offset:         100
        .size:           2
        .value_kind:     hidden_remainder_y
      - .offset:         102
        .size:           2
        .value_kind:     hidden_remainder_z
      - .offset:         120
        .size:           8
        .value_kind:     hidden_global_offset_x
      - .offset:         128
        .size:           8
        .value_kind:     hidden_global_offset_y
      - .offset:         136
        .size:           8
        .value_kind:     hidden_global_offset_z
      - .offset:         144
        .size:           2
        .value_kind:     hidden_grid_dims
    .group_segment_fixed_size: 0
    .kernarg_segment_align: 8
    .kernarg_segment_size: 336
    .language:       OpenCL C
    .language_version:
      - 2
      - 0
    .max_flat_workgroup_size: 64
    .name:           _ZL33flash_attn_stream_k_fixup_generalILi64ELi1ELi1EEvPfPK15HIP_vector_typeIfLj2EEiiiiS1_IjLj3EES5_S5_S5_
    .private_segment_fixed_size: 0
    .sgpr_count:     46
    .sgpr_spill_count: 0
    .symbol:         _ZL33flash_attn_stream_k_fixup_generalILi64ELi1ELi1EEvPfPK15HIP_vector_typeIfLj2EEiiiiS1_IjLj3EES5_S5_S5_.kd
    .uniform_work_group_size: 1
    .uses_dynamic_stack: false
    .vgpr_count:     9
    .vgpr_spill_count: 0
    .wavefront_size: 32
    .workgroup_processor_mode: 1
  - .args:
      - .address_space:  global
        .offset:         0
        .size:           8
        .value_kind:     global_buffer
      - .address_space:  global
        .offset:         8
        .size:           8
        .value_kind:     global_buffer
      - .address_space:  global
        .offset:         16
        .size:           8
        .value_kind:     global_buffer
      - .offset:         24
        .size:           4
        .value_kind:     by_value
      - .offset:         32
        .size:           4
        .value_kind:     hidden_block_count_x
      - .offset:         36
        .size:           4
        .value_kind:     hidden_block_count_y
      - .offset:         40
        .size:           4
        .value_kind:     hidden_block_count_z
      - .offset:         44
        .size:           2
        .value_kind:     hidden_group_size_x
      - .offset:         46
        .size:           2
        .value_kind:     hidden_group_size_y
      - .offset:         48
        .size:           2
        .value_kind:     hidden_group_size_z
      - .offset:         50
        .size:           2
        .value_kind:     hidden_remainder_x
      - .offset:         52
        .size:           2
        .value_kind:     hidden_remainder_y
      - .offset:         54
        .size:           2
        .value_kind:     hidden_remainder_z
      - .offset:         72
        .size:           8
        .value_kind:     hidden_global_offset_x
      - .offset:         80
        .size:           8
        .value_kind:     hidden_global_offset_y
      - .offset:         88
        .size:           8
        .value_kind:     hidden_global_offset_z
      - .offset:         96
        .size:           2
        .value_kind:     hidden_grid_dims
      - .offset:         152
        .size:           4
        .value_kind:     hidden_dynamic_lds_size
    .group_segment_fixed_size: 0
    .kernarg_segment_align: 8
    .kernarg_segment_size: 288
    .language:       OpenCL C
    .language_version:
      - 2
      - 0
    .max_flat_workgroup_size: 64
    .name:           _ZL26flash_attn_combine_resultsILi64EEvPKfPK15HIP_vector_typeIfLj2EEPfi
    .private_segment_fixed_size: 0
    .sgpr_count:     18
    .sgpr_spill_count: 0
    .symbol:         _ZL26flash_attn_combine_resultsILi64EEvPKfPK15HIP_vector_typeIfLj2EEPfi.kd
    .uniform_work_group_size: 1
    .uses_dynamic_stack: false
    .vgpr_count:     55
    .vgpr_spill_count: 0
    .wavefront_size: 32
    .workgroup_processor_mode: 1
  - .args:
      - .address_space:  global
        .offset:         0
        .size:           8
        .value_kind:     global_buffer
      - .address_space:  global
        .offset:         8
        .size:           8
        .value_kind:     global_buffer
      - .address_space:  global
        .offset:         16
        .size:           8
        .value_kind:     global_buffer
      - .address_space:  global
        .offset:         24
        .size:           8
        .value_kind:     global_buffer
      - .address_space:  global
        .offset:         32
        .size:           8
        .value_kind:     global_buffer
      - .address_space:  global
        .offset:         40
        .size:           8
        .value_kind:     global_buffer
      - .address_space:  global
        .offset:         48
        .size:           8
        .value_kind:     global_buffer
      - .address_space:  global
        .offset:         56
        .size:           8
        .value_kind:     global_buffer
      - .offset:         64
        .size:           4
        .value_kind:     by_value
      - .offset:         68
        .size:           4
        .value_kind:     by_value
      - .offset:         72
        .size:           4
        .value_kind:     by_value
      - .offset:         76
        .size:           4
        .value_kind:     by_value
      - .offset:         80
        .size:           4
        .value_kind:     by_value
      - .offset:         84
        .size:           4
        .value_kind:     by_value
      - .offset:         88
        .size:           4
        .value_kind:     by_value
      - .offset:         92
        .size:           12
        .value_kind:     by_value
      - .offset:         104
        .size:           4
        .value_kind:     by_value
      - .offset:         108
        .size:           4
        .value_kind:     by_value
      - .offset:         112
        .size:           4
        .value_kind:     by_value
      - .offset:         116
        .size:           4
        .value_kind:     by_value
      - .offset:         120
        .size:           4
        .value_kind:     by_value
      - .offset:         124
        .size:           4
        .value_kind:     by_value
      - .offset:         128
        .size:           4
        .value_kind:     by_value
      - .offset:         132
        .size:           4
        .value_kind:     by_value
      - .offset:         136
        .size:           4
        .value_kind:     by_value
      - .offset:         140
        .size:           4
        .value_kind:     by_value
      - .offset:         144
        .size:           4
        .value_kind:     by_value
      - .offset:         152
        .size:           8
        .value_kind:     by_value
      - .offset:         160
        .size:           4
        .value_kind:     by_value
      - .offset:         164
        .size:           4
        .value_kind:     by_value
      - .offset:         168
        .size:           8
        .value_kind:     by_value
      - .offset:         176
        .size:           4
        .value_kind:     by_value
      - .offset:         180
        .size:           4
        .value_kind:     by_value
      - .offset:         184
        .size:           4
        .value_kind:     by_value
      - .offset:         188
        .size:           4
        .value_kind:     by_value
      - .offset:         192
        .size:           4
        .value_kind:     by_value
      - .offset:         200
        .size:           8
        .value_kind:     by_value
      - .offset:         208
        .size:           4
        .value_kind:     hidden_block_count_x
      - .offset:         212
        .size:           4
        .value_kind:     hidden_block_count_y
      - .offset:         216
        .size:           4
        .value_kind:     hidden_block_count_z
      - .offset:         220
        .size:           2
        .value_kind:     hidden_group_size_x
      - .offset:         222
        .size:           2
        .value_kind:     hidden_group_size_y
      - .offset:         224
        .size:           2
        .value_kind:     hidden_group_size_z
      - .offset:         226
        .size:           2
        .value_kind:     hidden_remainder_x
      - .offset:         228
        .size:           2
        .value_kind:     hidden_remainder_y
      - .offset:         230
        .size:           2
        .value_kind:     hidden_remainder_z
      - .offset:         248
        .size:           8
        .value_kind:     hidden_global_offset_x
      - .offset:         256
        .size:           8
        .value_kind:     hidden_global_offset_y
      - .offset:         264
        .size:           8
        .value_kind:     hidden_global_offset_z
      - .offset:         272
        .size:           2
        .value_kind:     hidden_grid_dims
      - .offset:         288
        .size:           8
        .value_kind:     hidden_hostcall_buffer
    .group_segment_fixed_size: 0
    .kernarg_segment_align: 8
    .kernarg_segment_size: 464
    .language:       OpenCL C
    .language_version:
      - 2
      - 0
    .max_flat_workgroup_size: 128
    .name:           _ZL18flash_attn_ext_vecILi64ELi1EL9ggml_type3ELS0_2ELb1EEvPKcS2_S2_S2_S2_PKiPfP15HIP_vector_typeIfLj2EEffffjfiS6_IjLj3EEiiiiiiiiiiiliiliiiiil
    .private_segment_fixed_size: 16
    .sgpr_count:     36
    .sgpr_spill_count: 0
    .symbol:         _ZL18flash_attn_ext_vecILi64ELi1EL9ggml_type3ELS0_2ELb1EEvPKcS2_S2_S2_S2_PKiPfP15HIP_vector_typeIfLj2EEffffjfiS6_IjLj3EEiiiiiiiiiiiliiliiiiil.kd
    .uniform_work_group_size: 1
    .uses_dynamic_stack: false
    .vgpr_count:     40
    .vgpr_spill_count: 0
    .wavefront_size: 32
    .workgroup_processor_mode: 1
  - .args:
      - .address_space:  global
        .offset:         0
        .size:           8
        .value_kind:     global_buffer
      - .address_space:  global
        .offset:         8
        .size:           8
        .value_kind:     global_buffer
      - .address_space:  global
        .offset:         16
        .size:           8
        .value_kind:     global_buffer
      - .address_space:  global
        .offset:         24
        .size:           8
        .value_kind:     global_buffer
      - .address_space:  global
        .offset:         32
        .size:           8
        .value_kind:     global_buffer
      - .address_space:  global
        .offset:         40
        .size:           8
        .value_kind:     global_buffer
      - .address_space:  global
        .offset:         48
        .size:           8
        .value_kind:     global_buffer
      - .address_space:  global
        .offset:         56
        .size:           8
        .value_kind:     global_buffer
      - .offset:         64
        .size:           4
        .value_kind:     by_value
      - .offset:         68
        .size:           4
        .value_kind:     by_value
      - .offset:         72
        .size:           4
        .value_kind:     by_value
      - .offset:         76
        .size:           4
        .value_kind:     by_value
      - .offset:         80
        .size:           4
        .value_kind:     by_value
      - .offset:         84
        .size:           4
        .value_kind:     by_value
      - .offset:         88
        .size:           4
        .value_kind:     by_value
      - .offset:         92
        .size:           12
        .value_kind:     by_value
      - .offset:         104
        .size:           4
        .value_kind:     by_value
      - .offset:         108
        .size:           4
        .value_kind:     by_value
      - .offset:         112
        .size:           4
        .value_kind:     by_value
      - .offset:         116
        .size:           4
        .value_kind:     by_value
      - .offset:         120
        .size:           4
        .value_kind:     by_value
      - .offset:         124
        .size:           4
        .value_kind:     by_value
      - .offset:         128
        .size:           4
        .value_kind:     by_value
      - .offset:         132
        .size:           4
        .value_kind:     by_value
      - .offset:         136
        .size:           4
        .value_kind:     by_value
      - .offset:         140
        .size:           4
        .value_kind:     by_value
      - .offset:         144
        .size:           4
        .value_kind:     by_value
      - .offset:         152
        .size:           8
        .value_kind:     by_value
      - .offset:         160
        .size:           4
        .value_kind:     by_value
      - .offset:         164
        .size:           4
        .value_kind:     by_value
      - .offset:         168
        .size:           8
        .value_kind:     by_value
      - .offset:         176
        .size:           4
        .value_kind:     by_value
      - .offset:         180
        .size:           4
        .value_kind:     by_value
      - .offset:         184
        .size:           4
        .value_kind:     by_value
      - .offset:         188
        .size:           4
        .value_kind:     by_value
      - .offset:         192
        .size:           4
        .value_kind:     by_value
      - .offset:         200
        .size:           8
        .value_kind:     by_value
      - .offset:         208
        .size:           4
        .value_kind:     hidden_block_count_x
      - .offset:         212
        .size:           4
        .value_kind:     hidden_block_count_y
      - .offset:         216
        .size:           4
        .value_kind:     hidden_block_count_z
      - .offset:         220
        .size:           2
        .value_kind:     hidden_group_size_x
      - .offset:         222
        .size:           2
        .value_kind:     hidden_group_size_y
      - .offset:         224
        .size:           2
        .value_kind:     hidden_group_size_z
      - .offset:         226
        .size:           2
        .value_kind:     hidden_remainder_x
      - .offset:         228
        .size:           2
        .value_kind:     hidden_remainder_y
      - .offset:         230
        .size:           2
        .value_kind:     hidden_remainder_z
      - .offset:         248
        .size:           8
        .value_kind:     hidden_global_offset_x
      - .offset:         256
        .size:           8
        .value_kind:     hidden_global_offset_y
      - .offset:         264
        .size:           8
        .value_kind:     hidden_global_offset_z
      - .offset:         272
        .size:           2
        .value_kind:     hidden_grid_dims
    .group_segment_fixed_size: 3584
    .kernarg_segment_align: 8
    .kernarg_segment_size: 464
    .language:       OpenCL C
    .language_version:
      - 2
      - 0
    .max_flat_workgroup_size: 128
    .name:           _ZL18flash_attn_ext_vecILi64ELi2EL9ggml_type3ELS0_2ELb0EEvPKcS2_S2_S2_S2_PKiPfP15HIP_vector_typeIfLj2EEffffjfiS6_IjLj3EEiiiiiiiiiiiliiliiiiil
    .private_segment_fixed_size: 0
    .sgpr_count:     54
    .sgpr_spill_count: 0
    .symbol:         _ZL18flash_attn_ext_vecILi64ELi2EL9ggml_type3ELS0_2ELb0EEvPKcS2_S2_S2_S2_PKiPfP15HIP_vector_typeIfLj2EEffffjfiS6_IjLj3EEiiiiiiiiiiiliiliiiiil.kd
    .uniform_work_group_size: 1
    .uses_dynamic_stack: false
    .vgpr_count:     150
    .vgpr_spill_count: 0
    .wavefront_size: 32
    .workgroup_processor_mode: 1
  - .args:
      - .actual_access:  read_only
        .address_space:  global
        .offset:         0
        .size:           8
        .value_kind:     global_buffer
      - .actual_access:  write_only
        .address_space:  global
        .offset:         8
        .size:           8
        .value_kind:     global_buffer
      - .offset:         16
        .size:           4
        .value_kind:     by_value
      - .offset:         20
        .size:           4
        .value_kind:     by_value
      - .offset:         24
        .size:           4
        .value_kind:     by_value
      - .offset:         32
        .size:           4
        .value_kind:     hidden_block_count_x
      - .offset:         36
        .size:           4
        .value_kind:     hidden_block_count_y
      - .offset:         40
        .size:           4
        .value_kind:     hidden_block_count_z
      - .offset:         44
        .size:           2
        .value_kind:     hidden_group_size_x
      - .offset:         46
        .size:           2
        .value_kind:     hidden_group_size_y
      - .offset:         48
        .size:           2
        .value_kind:     hidden_group_size_z
      - .offset:         50
        .size:           2
        .value_kind:     hidden_remainder_x
      - .offset:         52
        .size:           2
        .value_kind:     hidden_remainder_y
      - .offset:         54
        .size:           2
        .value_kind:     hidden_remainder_z
      - .offset:         72
        .size:           8
        .value_kind:     hidden_global_offset_x
      - .offset:         80
        .size:           8
        .value_kind:     hidden_global_offset_y
      - .offset:         88
        .size:           8
        .value_kind:     hidden_global_offset_z
      - .offset:         96
        .size:           2
        .value_kind:     hidden_grid_dims
    .group_segment_fixed_size: 128
    .kernarg_segment_align: 8
    .kernarg_segment_size: 288
    .language:       OpenCL C
    .language_version:
      - 2
      - 0
    .max_flat_workgroup_size: 128
    .name:           _ZL25flash_attn_mask_to_KV_maxILi2EEvPK7__half2Piiii
    .private_segment_fixed_size: 0
    .sgpr_count:     15
    .sgpr_spill_count: 0
    .symbol:         _ZL25flash_attn_mask_to_KV_maxILi2EEvPK7__half2Piiii.kd
    .uniform_work_group_size: 1
    .uses_dynamic_stack: false
    .vgpr_count:     7
    .vgpr_spill_count: 0
    .wavefront_size: 32
    .workgroup_processor_mode: 1
  - .args:
      - .address_space:  global
        .offset:         0
        .size:           8
        .value_kind:     global_buffer
      - .address_space:  global
        .offset:         8
        .size:           8
        .value_kind:     global_buffer
      - .offset:         16
        .size:           4
        .value_kind:     by_value
      - .offset:         20
        .size:           4
        .value_kind:     by_value
      - .offset:         24
        .size:           4
        .value_kind:     by_value
      - .offset:         28
        .size:           4
        .value_kind:     by_value
      - .offset:         32
        .size:           4
        .value_kind:     by_value
      - .offset:         36
        .size:           4
        .value_kind:     by_value
      - .offset:         40
        .size:           12
        .value_kind:     by_value
      - .offset:         52
        .size:           12
        .value_kind:     by_value
      - .offset:         64
        .size:           12
        .value_kind:     by_value
    .group_segment_fixed_size: 0
    .kernarg_segment_align: 8
    .kernarg_segment_size: 76
    .language:       OpenCL C
    .language_version:
      - 2
      - 0
    .max_flat_workgroup_size: 64
    .name:           _ZL33flash_attn_stream_k_fixup_uniformILi64ELi2ELi1EEvPfPK15HIP_vector_typeIfLj2EEiiiiiiS1_IjLj3EES5_S5_
    .private_segment_fixed_size: 0
    .sgpr_count:     18
    .sgpr_spill_count: 0
    .symbol:         _ZL33flash_attn_stream_k_fixup_uniformILi64ELi2ELi1EEvPfPK15HIP_vector_typeIfLj2EEiiiiiiS1_IjLj3EES5_S5_.kd
    .uniform_work_group_size: 1
    .uses_dynamic_stack: false
    .vgpr_count:     11
    .vgpr_spill_count: 0
    .wavefront_size: 32
    .workgroup_processor_mode: 1
  - .args:
      - .address_space:  global
        .offset:         0
        .size:           8
        .value_kind:     global_buffer
      - .address_space:  global
        .offset:         8
        .size:           8
        .value_kind:     global_buffer
      - .offset:         16
        .size:           4
        .value_kind:     by_value
      - .offset:         20
        .size:           4
        .value_kind:     by_value
      - .offset:         24
        .size:           4
        .value_kind:     by_value
      - .offset:         28
        .size:           4
        .value_kind:     by_value
      - .offset:         32
        .size:           12
        .value_kind:     by_value
      - .offset:         44
        .size:           12
        .value_kind:     by_value
      - .offset:         56
        .size:           12
        .value_kind:     by_value
      - .offset:         68
        .size:           12
        .value_kind:     by_value
      - .offset:         80
        .size:           4
        .value_kind:     hidden_block_count_x
      - .offset:         84
        .size:           4
        .value_kind:     hidden_block_count_y
      - .offset:         88
        .size:           4
        .value_kind:     hidden_block_count_z
      - .offset:         92
        .size:           2
        .value_kind:     hidden_group_size_x
      - .offset:         94
        .size:           2
        .value_kind:     hidden_group_size_y
      - .offset:         96
        .size:           2
        .value_kind:     hidden_group_size_z
      - .offset:         98
        .size:           2
        .value_kind:     hidden_remainder_x
      - .offset:         100
        .size:           2
        .value_kind:     hidden_remainder_y
      - .offset:         102
        .size:           2
        .value_kind:     hidden_remainder_z
      - .offset:         120
        .size:           8
        .value_kind:     hidden_global_offset_x
      - .offset:         128
        .size:           8
        .value_kind:     hidden_global_offset_y
      - .offset:         136
        .size:           8
        .value_kind:     hidden_global_offset_z
      - .offset:         144
        .size:           2
        .value_kind:     hidden_grid_dims
    .group_segment_fixed_size: 0
    .kernarg_segment_align: 8
    .kernarg_segment_size: 336
    .language:       OpenCL C
    .language_version:
      - 2
      - 0
    .max_flat_workgroup_size: 64
    .name:           _ZL33flash_attn_stream_k_fixup_generalILi64ELi2ELi1EEvPfPK15HIP_vector_typeIfLj2EEiiiiS1_IjLj3EES5_S5_S5_
    .private_segment_fixed_size: 0
    .sgpr_count:     46
    .sgpr_spill_count: 0
    .symbol:         _ZL33flash_attn_stream_k_fixup_generalILi64ELi2ELi1EEvPfPK15HIP_vector_typeIfLj2EEiiiiS1_IjLj3EES5_S5_S5_.kd
    .uniform_work_group_size: 1
    .uses_dynamic_stack: false
    .vgpr_count:     9
    .vgpr_spill_count: 0
    .wavefront_size: 32
    .workgroup_processor_mode: 1
  - .args:
      - .address_space:  global
        .offset:         0
        .size:           8
        .value_kind:     global_buffer
      - .address_space:  global
        .offset:         8
        .size:           8
        .value_kind:     global_buffer
      - .address_space:  global
        .offset:         16
        .size:           8
        .value_kind:     global_buffer
      - .address_space:  global
        .offset:         24
        .size:           8
        .value_kind:     global_buffer
      - .address_space:  global
        .offset:         32
        .size:           8
        .value_kind:     global_buffer
      - .address_space:  global
        .offset:         40
        .size:           8
        .value_kind:     global_buffer
      - .address_space:  global
        .offset:         48
        .size:           8
        .value_kind:     global_buffer
      - .address_space:  global
        .offset:         56
        .size:           8
        .value_kind:     global_buffer
      - .offset:         64
        .size:           4
        .value_kind:     by_value
      - .offset:         68
        .size:           4
        .value_kind:     by_value
      - .offset:         72
        .size:           4
        .value_kind:     by_value
      - .offset:         76
        .size:           4
        .value_kind:     by_value
      - .offset:         80
        .size:           4
        .value_kind:     by_value
      - .offset:         84
        .size:           4
        .value_kind:     by_value
      - .offset:         88
        .size:           4
        .value_kind:     by_value
      - .offset:         92
        .size:           12
        .value_kind:     by_value
      - .offset:         104
        .size:           4
        .value_kind:     by_value
      - .offset:         108
        .size:           4
        .value_kind:     by_value
      - .offset:         112
        .size:           4
        .value_kind:     by_value
      - .offset:         116
        .size:           4
        .value_kind:     by_value
      - .offset:         120
        .size:           4
        .value_kind:     by_value
      - .offset:         124
        .size:           4
        .value_kind:     by_value
      - .offset:         128
        .size:           4
        .value_kind:     by_value
      - .offset:         132
        .size:           4
        .value_kind:     by_value
      - .offset:         136
        .size:           4
        .value_kind:     by_value
      - .offset:         140
        .size:           4
        .value_kind:     by_value
      - .offset:         144
        .size:           4
        .value_kind:     by_value
      - .offset:         152
        .size:           8
        .value_kind:     by_value
      - .offset:         160
        .size:           4
        .value_kind:     by_value
      - .offset:         164
        .size:           4
        .value_kind:     by_value
      - .offset:         168
        .size:           8
        .value_kind:     by_value
      - .offset:         176
        .size:           4
        .value_kind:     by_value
      - .offset:         180
        .size:           4
        .value_kind:     by_value
      - .offset:         184
        .size:           4
        .value_kind:     by_value
      - .offset:         188
        .size:           4
        .value_kind:     by_value
      - .offset:         192
        .size:           4
        .value_kind:     by_value
      - .offset:         200
        .size:           8
        .value_kind:     by_value
      - .offset:         208
        .size:           4
        .value_kind:     hidden_block_count_x
      - .offset:         212
        .size:           4
        .value_kind:     hidden_block_count_y
      - .offset:         216
        .size:           4
        .value_kind:     hidden_block_count_z
      - .offset:         220
        .size:           2
        .value_kind:     hidden_group_size_x
      - .offset:         222
        .size:           2
        .value_kind:     hidden_group_size_y
      - .offset:         224
        .size:           2
        .value_kind:     hidden_group_size_z
      - .offset:         226
        .size:           2
        .value_kind:     hidden_remainder_x
      - .offset:         228
        .size:           2
        .value_kind:     hidden_remainder_y
      - .offset:         230
        .size:           2
        .value_kind:     hidden_remainder_z
      - .offset:         248
        .size:           8
        .value_kind:     hidden_global_offset_x
      - .offset:         256
        .size:           8
        .value_kind:     hidden_global_offset_y
      - .offset:         264
        .size:           8
        .value_kind:     hidden_global_offset_z
      - .offset:         272
        .size:           2
        .value_kind:     hidden_grid_dims
      - .offset:         288
        .size:           8
        .value_kind:     hidden_hostcall_buffer
    .group_segment_fixed_size: 0
    .kernarg_segment_align: 8
    .kernarg_segment_size: 464
    .language:       OpenCL C
    .language_version:
      - 2
      - 0
    .max_flat_workgroup_size: 128
    .name:           _ZL18flash_attn_ext_vecILi64ELi2EL9ggml_type3ELS0_2ELb1EEvPKcS2_S2_S2_S2_PKiPfP15HIP_vector_typeIfLj2EEffffjfiS6_IjLj3EEiiiiiiiiiiiliiliiiiil
    .private_segment_fixed_size: 16
    .sgpr_count:     36
    .sgpr_spill_count: 0
    .symbol:         _ZL18flash_attn_ext_vecILi64ELi2EL9ggml_type3ELS0_2ELb1EEvPKcS2_S2_S2_S2_PKiPfP15HIP_vector_typeIfLj2EEffffjfiS6_IjLj3EEiiiiiiiiiiiliiliiiiil.kd
    .uniform_work_group_size: 1
    .uses_dynamic_stack: false
    .vgpr_count:     40
    .vgpr_spill_count: 0
    .wavefront_size: 32
    .workgroup_processor_mode: 1
  - .args:
      - .address_space:  global
        .offset:         0
        .size:           8
        .value_kind:     global_buffer
      - .address_space:  global
        .offset:         8
        .size:           8
        .value_kind:     global_buffer
      - .address_space:  global
        .offset:         16
        .size:           8
        .value_kind:     global_buffer
      - .address_space:  global
        .offset:         24
        .size:           8
        .value_kind:     global_buffer
      - .address_space:  global
        .offset:         32
        .size:           8
        .value_kind:     global_buffer
      - .address_space:  global
        .offset:         40
        .size:           8
        .value_kind:     global_buffer
      - .address_space:  global
        .offset:         48
        .size:           8
        .value_kind:     global_buffer
      - .address_space:  global
        .offset:         56
        .size:           8
        .value_kind:     global_buffer
      - .offset:         64
        .size:           4
        .value_kind:     by_value
      - .offset:         68
        .size:           4
        .value_kind:     by_value
      - .offset:         72
        .size:           4
        .value_kind:     by_value
      - .offset:         76
        .size:           4
        .value_kind:     by_value
      - .offset:         80
        .size:           4
        .value_kind:     by_value
      - .offset:         84
        .size:           4
        .value_kind:     by_value
      - .offset:         88
        .size:           4
        .value_kind:     by_value
      - .offset:         92
        .size:           12
        .value_kind:     by_value
      - .offset:         104
        .size:           4
        .value_kind:     by_value
      - .offset:         108
        .size:           4
        .value_kind:     by_value
      - .offset:         112
        .size:           4
        .value_kind:     by_value
      - .offset:         116
        .size:           4
        .value_kind:     by_value
      - .offset:         120
        .size:           4
        .value_kind:     by_value
      - .offset:         124
        .size:           4
        .value_kind:     by_value
      - .offset:         128
        .size:           4
        .value_kind:     by_value
      - .offset:         132
        .size:           4
        .value_kind:     by_value
      - .offset:         136
        .size:           4
        .value_kind:     by_value
      - .offset:         140
        .size:           4
        .value_kind:     by_value
      - .offset:         144
        .size:           4
        .value_kind:     by_value
      - .offset:         152
        .size:           8
        .value_kind:     by_value
      - .offset:         160
        .size:           4
        .value_kind:     by_value
      - .offset:         164
        .size:           4
        .value_kind:     by_value
      - .offset:         168
        .size:           8
        .value_kind:     by_value
      - .offset:         176
        .size:           4
        .value_kind:     by_value
      - .offset:         180
        .size:           4
        .value_kind:     by_value
      - .offset:         184
        .size:           4
        .value_kind:     by_value
      - .offset:         188
        .size:           4
        .value_kind:     by_value
      - .offset:         192
        .size:           4
        .value_kind:     by_value
      - .offset:         200
        .size:           8
        .value_kind:     by_value
      - .offset:         208
        .size:           4
        .value_kind:     hidden_block_count_x
      - .offset:         212
        .size:           4
        .value_kind:     hidden_block_count_y
      - .offset:         216
        .size:           4
        .value_kind:     hidden_block_count_z
      - .offset:         220
        .size:           2
        .value_kind:     hidden_group_size_x
      - .offset:         222
        .size:           2
        .value_kind:     hidden_group_size_y
      - .offset:         224
        .size:           2
        .value_kind:     hidden_group_size_z
      - .offset:         226
        .size:           2
        .value_kind:     hidden_remainder_x
      - .offset:         228
        .size:           2
        .value_kind:     hidden_remainder_y
      - .offset:         230
        .size:           2
        .value_kind:     hidden_remainder_z
      - .offset:         248
        .size:           8
        .value_kind:     hidden_global_offset_x
      - .offset:         256
        .size:           8
        .value_kind:     hidden_global_offset_y
      - .offset:         264
        .size:           8
        .value_kind:     hidden_global_offset_z
      - .offset:         272
        .size:           2
        .value_kind:     hidden_grid_dims
    .group_segment_fixed_size: 1280
    .kernarg_segment_align: 8
    .kernarg_segment_size: 464
    .language:       OpenCL C
    .language_version:
      - 2
      - 0
    .max_flat_workgroup_size: 128
    .name:           _ZL18flash_attn_ext_vecILi128ELi1EL9ggml_type3ELS0_2ELb0EEvPKcS2_S2_S2_S2_PKiPfP15HIP_vector_typeIfLj2EEffffjfiS6_IjLj3EEiiiiiiiiiiiliiliiiiil
    .private_segment_fixed_size: 0
    .sgpr_count:     57
    .sgpr_spill_count: 0
    .symbol:         _ZL18flash_attn_ext_vecILi128ELi1EL9ggml_type3ELS0_2ELb0EEvPKcS2_S2_S2_S2_PKiPfP15HIP_vector_typeIfLj2EEffffjfiS6_IjLj3EEiiiiiiiiiiiliiliiiiil.kd
    .uniform_work_group_size: 1
    .uses_dynamic_stack: false
    .vgpr_count:     222
    .vgpr_spill_count: 0
    .wavefront_size: 32
    .workgroup_processor_mode: 1
  - .args:
      - .address_space:  global
        .offset:         0
        .size:           8
        .value_kind:     global_buffer
      - .address_space:  global
        .offset:         8
        .size:           8
        .value_kind:     global_buffer
      - .offset:         16
        .size:           4
        .value_kind:     by_value
      - .offset:         20
        .size:           4
        .value_kind:     by_value
      - .offset:         24
        .size:           4
        .value_kind:     by_value
      - .offset:         28
        .size:           4
        .value_kind:     by_value
      - .offset:         32
        .size:           4
        .value_kind:     by_value
      - .offset:         36
        .size:           4
        .value_kind:     by_value
      - .offset:         40
        .size:           12
        .value_kind:     by_value
      - .offset:         52
        .size:           12
        .value_kind:     by_value
      - .offset:         64
        .size:           12
        .value_kind:     by_value
    .group_segment_fixed_size: 0
    .kernarg_segment_align: 8
    .kernarg_segment_size: 76
    .language:       OpenCL C
    .language_version:
      - 2
      - 0
    .max_flat_workgroup_size: 128
    .name:           _ZL33flash_attn_stream_k_fixup_uniformILi128ELi1ELi1EEvPfPK15HIP_vector_typeIfLj2EEiiiiiiS1_IjLj3EES5_S5_
    .private_segment_fixed_size: 0
    .sgpr_count:     22
    .sgpr_spill_count: 0
    .symbol:         _ZL33flash_attn_stream_k_fixup_uniformILi128ELi1ELi1EEvPfPK15HIP_vector_typeIfLj2EEiiiiiiS1_IjLj3EES5_S5_.kd
    .uniform_work_group_size: 1
    .uses_dynamic_stack: false
    .vgpr_count:     11
    .vgpr_spill_count: 0
    .wavefront_size: 32
    .workgroup_processor_mode: 1
  - .args:
      - .address_space:  global
        .offset:         0
        .size:           8
        .value_kind:     global_buffer
      - .address_space:  global
        .offset:         8
        .size:           8
        .value_kind:     global_buffer
      - .offset:         16
        .size:           4
        .value_kind:     by_value
      - .offset:         20
        .size:           4
        .value_kind:     by_value
      - .offset:         24
        .size:           4
        .value_kind:     by_value
      - .offset:         28
        .size:           4
        .value_kind:     by_value
      - .offset:         32
        .size:           12
        .value_kind:     by_value
      - .offset:         44
        .size:           12
        .value_kind:     by_value
      - .offset:         56
        .size:           12
        .value_kind:     by_value
      - .offset:         68
        .size:           12
        .value_kind:     by_value
      - .offset:         80
        .size:           4
        .value_kind:     hidden_block_count_x
      - .offset:         84
        .size:           4
        .value_kind:     hidden_block_count_y
      - .offset:         88
        .size:           4
        .value_kind:     hidden_block_count_z
      - .offset:         92
        .size:           2
        .value_kind:     hidden_group_size_x
      - .offset:         94
        .size:           2
        .value_kind:     hidden_group_size_y
      - .offset:         96
        .size:           2
        .value_kind:     hidden_group_size_z
      - .offset:         98
        .size:           2
        .value_kind:     hidden_remainder_x
      - .offset:         100
        .size:           2
        .value_kind:     hidden_remainder_y
      - .offset:         102
        .size:           2
        .value_kind:     hidden_remainder_z
      - .offset:         120
        .size:           8
        .value_kind:     hidden_global_offset_x
      - .offset:         128
        .size:           8
        .value_kind:     hidden_global_offset_y
      - .offset:         136
        .size:           8
        .value_kind:     hidden_global_offset_z
      - .offset:         144
        .size:           2
        .value_kind:     hidden_grid_dims
    .group_segment_fixed_size: 0
    .kernarg_segment_align: 8
    .kernarg_segment_size: 336
    .language:       OpenCL C
    .language_version:
      - 2
      - 0
    .max_flat_workgroup_size: 128
    .name:           _ZL33flash_attn_stream_k_fixup_generalILi128ELi1ELi1EEvPfPK15HIP_vector_typeIfLj2EEiiiiS1_IjLj3EES5_S5_S5_
    .private_segment_fixed_size: 0
    .sgpr_count:     46
    .sgpr_spill_count: 0
    .symbol:         _ZL33flash_attn_stream_k_fixup_generalILi128ELi1ELi1EEvPfPK15HIP_vector_typeIfLj2EEiiiiS1_IjLj3EES5_S5_S5_.kd
    .uniform_work_group_size: 1
    .uses_dynamic_stack: false
    .vgpr_count:     9
    .vgpr_spill_count: 0
    .wavefront_size: 32
    .workgroup_processor_mode: 1
  - .args:
      - .address_space:  global
        .offset:         0
        .size:           8
        .value_kind:     global_buffer
      - .address_space:  global
        .offset:         8
        .size:           8
        .value_kind:     global_buffer
      - .address_space:  global
        .offset:         16
        .size:           8
        .value_kind:     global_buffer
      - .offset:         24
        .size:           4
        .value_kind:     by_value
      - .offset:         32
        .size:           4
        .value_kind:     hidden_block_count_x
      - .offset:         36
        .size:           4
        .value_kind:     hidden_block_count_y
      - .offset:         40
        .size:           4
        .value_kind:     hidden_block_count_z
      - .offset:         44
        .size:           2
        .value_kind:     hidden_group_size_x
      - .offset:         46
        .size:           2
        .value_kind:     hidden_group_size_y
      - .offset:         48
        .size:           2
        .value_kind:     hidden_group_size_z
      - .offset:         50
        .size:           2
        .value_kind:     hidden_remainder_x
      - .offset:         52
        .size:           2
        .value_kind:     hidden_remainder_y
      - .offset:         54
        .size:           2
        .value_kind:     hidden_remainder_z
      - .offset:         72
        .size:           8
        .value_kind:     hidden_global_offset_x
      - .offset:         80
        .size:           8
        .value_kind:     hidden_global_offset_y
      - .offset:         88
        .size:           8
        .value_kind:     hidden_global_offset_z
      - .offset:         96
        .size:           2
        .value_kind:     hidden_grid_dims
      - .offset:         152
        .size:           4
        .value_kind:     hidden_dynamic_lds_size
    .group_segment_fixed_size: 0
    .kernarg_segment_align: 8
    .kernarg_segment_size: 288
    .language:       OpenCL C
    .language_version:
      - 2
      - 0
    .max_flat_workgroup_size: 128
    .name:           _ZL26flash_attn_combine_resultsILi128EEvPKfPK15HIP_vector_typeIfLj2EEPfi
    .private_segment_fixed_size: 0
    .sgpr_count:     18
    .sgpr_spill_count: 0
    .symbol:         _ZL26flash_attn_combine_resultsILi128EEvPKfPK15HIP_vector_typeIfLj2EEPfi.kd
    .uniform_work_group_size: 1
    .uses_dynamic_stack: false
    .vgpr_count:     55
    .vgpr_spill_count: 0
    .wavefront_size: 32
    .workgroup_processor_mode: 1
  - .args:
      - .address_space:  global
        .offset:         0
        .size:           8
        .value_kind:     global_buffer
      - .address_space:  global
        .offset:         8
        .size:           8
        .value_kind:     global_buffer
      - .address_space:  global
        .offset:         16
        .size:           8
        .value_kind:     global_buffer
      - .address_space:  global
        .offset:         24
        .size:           8
        .value_kind:     global_buffer
      - .address_space:  global
        .offset:         32
        .size:           8
        .value_kind:     global_buffer
      - .address_space:  global
        .offset:         40
        .size:           8
        .value_kind:     global_buffer
      - .address_space:  global
        .offset:         48
        .size:           8
        .value_kind:     global_buffer
      - .address_space:  global
        .offset:         56
        .size:           8
        .value_kind:     global_buffer
      - .offset:         64
        .size:           4
        .value_kind:     by_value
      - .offset:         68
        .size:           4
        .value_kind:     by_value
      - .offset:         72
        .size:           4
        .value_kind:     by_value
      - .offset:         76
        .size:           4
        .value_kind:     by_value
      - .offset:         80
        .size:           4
        .value_kind:     by_value
      - .offset:         84
        .size:           4
        .value_kind:     by_value
      - .offset:         88
        .size:           4
        .value_kind:     by_value
      - .offset:         92
        .size:           12
        .value_kind:     by_value
      - .offset:         104
        .size:           4
        .value_kind:     by_value
      - .offset:         108
        .size:           4
        .value_kind:     by_value
      - .offset:         112
        .size:           4
        .value_kind:     by_value
      - .offset:         116
        .size:           4
        .value_kind:     by_value
      - .offset:         120
        .size:           4
        .value_kind:     by_value
      - .offset:         124
        .size:           4
        .value_kind:     by_value
      - .offset:         128
        .size:           4
        .value_kind:     by_value
      - .offset:         132
        .size:           4
        .value_kind:     by_value
      - .offset:         136
        .size:           4
        .value_kind:     by_value
      - .offset:         140
        .size:           4
        .value_kind:     by_value
      - .offset:         144
        .size:           4
        .value_kind:     by_value
      - .offset:         152
        .size:           8
        .value_kind:     by_value
      - .offset:         160
        .size:           4
        .value_kind:     by_value
      - .offset:         164
        .size:           4
        .value_kind:     by_value
      - .offset:         168
        .size:           8
        .value_kind:     by_value
      - .offset:         176
        .size:           4
        .value_kind:     by_value
      - .offset:         180
        .size:           4
        .value_kind:     by_value
      - .offset:         184
        .size:           4
        .value_kind:     by_value
      - .offset:         188
        .size:           4
        .value_kind:     by_value
      - .offset:         192
        .size:           4
        .value_kind:     by_value
      - .offset:         200
        .size:           8
        .value_kind:     by_value
      - .offset:         208
        .size:           4
        .value_kind:     hidden_block_count_x
      - .offset:         212
        .size:           4
        .value_kind:     hidden_block_count_y
      - .offset:         216
        .size:           4
        .value_kind:     hidden_block_count_z
      - .offset:         220
        .size:           2
        .value_kind:     hidden_group_size_x
      - .offset:         222
        .size:           2
        .value_kind:     hidden_group_size_y
      - .offset:         224
        .size:           2
        .value_kind:     hidden_group_size_z
      - .offset:         226
        .size:           2
        .value_kind:     hidden_remainder_x
      - .offset:         228
        .size:           2
        .value_kind:     hidden_remainder_y
      - .offset:         230
        .size:           2
        .value_kind:     hidden_remainder_z
      - .offset:         248
        .size:           8
        .value_kind:     hidden_global_offset_x
      - .offset:         256
        .size:           8
        .value_kind:     hidden_global_offset_y
      - .offset:         264
        .size:           8
        .value_kind:     hidden_global_offset_z
      - .offset:         272
        .size:           2
        .value_kind:     hidden_grid_dims
    .group_segment_fixed_size: 1280
    .kernarg_segment_align: 8
    .kernarg_segment_size: 464
    .language:       OpenCL C
    .language_version:
      - 2
      - 0
    .max_flat_workgroup_size: 128
    .name:           _ZL18flash_attn_ext_vecILi128ELi1EL9ggml_type3ELS0_2ELb1EEvPKcS2_S2_S2_S2_PKiPfP15HIP_vector_typeIfLj2EEffffjfiS6_IjLj3EEiiiiiiiiiiiliiliiiiil
    .private_segment_fixed_size: 0
    .sgpr_count:     57
    .sgpr_spill_count: 0
    .symbol:         _ZL18flash_attn_ext_vecILi128ELi1EL9ggml_type3ELS0_2ELb1EEvPKcS2_S2_S2_S2_PKiPfP15HIP_vector_typeIfLj2EEffffjfiS6_IjLj3EEiiiiiiiiiiiliiliiiiil.kd
    .uniform_work_group_size: 1
    .uses_dynamic_stack: false
    .vgpr_count:     219
    .vgpr_spill_count: 0
    .wavefront_size: 32
    .workgroup_processor_mode: 1
  - .args:
      - .address_space:  global
        .offset:         0
        .size:           8
        .value_kind:     global_buffer
      - .address_space:  global
        .offset:         8
        .size:           8
        .value_kind:     global_buffer
      - .address_space:  global
        .offset:         16
        .size:           8
        .value_kind:     global_buffer
      - .address_space:  global
        .offset:         24
        .size:           8
        .value_kind:     global_buffer
      - .address_space:  global
        .offset:         32
        .size:           8
        .value_kind:     global_buffer
      - .address_space:  global
        .offset:         40
        .size:           8
        .value_kind:     global_buffer
      - .address_space:  global
        .offset:         48
        .size:           8
        .value_kind:     global_buffer
      - .address_space:  global
        .offset:         56
        .size:           8
        .value_kind:     global_buffer
      - .offset:         64
        .size:           4
        .value_kind:     by_value
      - .offset:         68
        .size:           4
        .value_kind:     by_value
      - .offset:         72
        .size:           4
        .value_kind:     by_value
      - .offset:         76
        .size:           4
        .value_kind:     by_value
      - .offset:         80
        .size:           4
        .value_kind:     by_value
      - .offset:         84
        .size:           4
        .value_kind:     by_value
      - .offset:         88
        .size:           4
        .value_kind:     by_value
      - .offset:         92
        .size:           12
        .value_kind:     by_value
      - .offset:         104
        .size:           4
        .value_kind:     by_value
      - .offset:         108
        .size:           4
        .value_kind:     by_value
      - .offset:         112
        .size:           4
        .value_kind:     by_value
      - .offset:         116
        .size:           4
        .value_kind:     by_value
      - .offset:         120
        .size:           4
        .value_kind:     by_value
      - .offset:         124
        .size:           4
        .value_kind:     by_value
      - .offset:         128
        .size:           4
        .value_kind:     by_value
      - .offset:         132
        .size:           4
        .value_kind:     by_value
      - .offset:         136
        .size:           4
        .value_kind:     by_value
      - .offset:         140
        .size:           4
        .value_kind:     by_value
      - .offset:         144
        .size:           4
        .value_kind:     by_value
      - .offset:         152
        .size:           8
        .value_kind:     by_value
      - .offset:         160
        .size:           4
        .value_kind:     by_value
      - .offset:         164
        .size:           4
        .value_kind:     by_value
      - .offset:         168
        .size:           8
        .value_kind:     by_value
      - .offset:         176
        .size:           4
        .value_kind:     by_value
      - .offset:         180
        .size:           4
        .value_kind:     by_value
      - .offset:         184
        .size:           4
        .value_kind:     by_value
      - .offset:         188
        .size:           4
        .value_kind:     by_value
      - .offset:         192
        .size:           4
        .value_kind:     by_value
      - .offset:         200
        .size:           8
        .value_kind:     by_value
      - .offset:         208
        .size:           4
        .value_kind:     hidden_block_count_x
      - .offset:         212
        .size:           4
        .value_kind:     hidden_block_count_y
      - .offset:         216
        .size:           4
        .value_kind:     hidden_block_count_z
      - .offset:         220
        .size:           2
        .value_kind:     hidden_group_size_x
      - .offset:         222
        .size:           2
        .value_kind:     hidden_group_size_y
      - .offset:         224
        .size:           2
        .value_kind:     hidden_group_size_z
      - .offset:         226
        .size:           2
        .value_kind:     hidden_remainder_x
      - .offset:         228
        .size:           2
        .value_kind:     hidden_remainder_y
      - .offset:         230
        .size:           2
        .value_kind:     hidden_remainder_z
      - .offset:         248
        .size:           8
        .value_kind:     hidden_global_offset_x
      - .offset:         256
        .size:           8
        .value_kind:     hidden_global_offset_y
      - .offset:         264
        .size:           8
        .value_kind:     hidden_global_offset_z
      - .offset:         272
        .size:           2
        .value_kind:     hidden_grid_dims
    .group_segment_fixed_size: 3584
    .kernarg_segment_align: 8
    .kernarg_segment_size: 464
    .language:       OpenCL C
    .language_version:
      - 2
      - 0
    .max_flat_workgroup_size: 128
    .name:           _ZL18flash_attn_ext_vecILi128ELi2EL9ggml_type3ELS0_2ELb0EEvPKcS2_S2_S2_S2_PKiPfP15HIP_vector_typeIfLj2EEffffjfiS6_IjLj3EEiiiiiiiiiiiliiliiiiil
    .private_segment_fixed_size: 140
    .sgpr_count:     57
    .sgpr_spill_count: 0
    .symbol:         _ZL18flash_attn_ext_vecILi128ELi2EL9ggml_type3ELS0_2ELb0EEvPKcS2_S2_S2_S2_PKiPfP15HIP_vector_typeIfLj2EEffffjfiS6_IjLj3EEiiiiiiiiiiiliiliiiiil.kd
    .uniform_work_group_size: 1
    .uses_dynamic_stack: false
    .vgpr_count:     256
    .vgpr_spill_count: 34
    .wavefront_size: 32
    .workgroup_processor_mode: 1
  - .args:
      - .address_space:  global
        .offset:         0
        .size:           8
        .value_kind:     global_buffer
      - .address_space:  global
        .offset:         8
        .size:           8
        .value_kind:     global_buffer
      - .offset:         16
        .size:           4
        .value_kind:     by_value
      - .offset:         20
        .size:           4
        .value_kind:     by_value
      - .offset:         24
        .size:           4
        .value_kind:     by_value
      - .offset:         28
        .size:           4
        .value_kind:     by_value
      - .offset:         32
        .size:           4
        .value_kind:     by_value
      - .offset:         36
        .size:           4
        .value_kind:     by_value
      - .offset:         40
        .size:           12
        .value_kind:     by_value
      - .offset:         52
        .size:           12
        .value_kind:     by_value
      - .offset:         64
        .size:           12
        .value_kind:     by_value
    .group_segment_fixed_size: 0
    .kernarg_segment_align: 8
    .kernarg_segment_size: 76
    .language:       OpenCL C
    .language_version:
      - 2
      - 0
    .max_flat_workgroup_size: 128
    .name:           _ZL33flash_attn_stream_k_fixup_uniformILi128ELi2ELi1EEvPfPK15HIP_vector_typeIfLj2EEiiiiiiS1_IjLj3EES5_S5_
    .private_segment_fixed_size: 0
    .sgpr_count:     18
    .sgpr_spill_count: 0
    .symbol:         _ZL33flash_attn_stream_k_fixup_uniformILi128ELi2ELi1EEvPfPK15HIP_vector_typeIfLj2EEiiiiiiS1_IjLj3EES5_S5_.kd
    .uniform_work_group_size: 1
    .uses_dynamic_stack: false
    .vgpr_count:     11
    .vgpr_spill_count: 0
    .wavefront_size: 32
    .workgroup_processor_mode: 1
  - .args:
      - .address_space:  global
        .offset:         0
        .size:           8
        .value_kind:     global_buffer
      - .address_space:  global
        .offset:         8
        .size:           8
        .value_kind:     global_buffer
      - .offset:         16
        .size:           4
        .value_kind:     by_value
      - .offset:         20
        .size:           4
        .value_kind:     by_value
      - .offset:         24
        .size:           4
        .value_kind:     by_value
      - .offset:         28
        .size:           4
        .value_kind:     by_value
      - .offset:         32
        .size:           12
        .value_kind:     by_value
      - .offset:         44
        .size:           12
        .value_kind:     by_value
      - .offset:         56
        .size:           12
        .value_kind:     by_value
      - .offset:         68
        .size:           12
        .value_kind:     by_value
      - .offset:         80
        .size:           4
        .value_kind:     hidden_block_count_x
      - .offset:         84
        .size:           4
        .value_kind:     hidden_block_count_y
      - .offset:         88
        .size:           4
        .value_kind:     hidden_block_count_z
      - .offset:         92
        .size:           2
        .value_kind:     hidden_group_size_x
      - .offset:         94
        .size:           2
        .value_kind:     hidden_group_size_y
      - .offset:         96
        .size:           2
        .value_kind:     hidden_group_size_z
      - .offset:         98
        .size:           2
        .value_kind:     hidden_remainder_x
      - .offset:         100
        .size:           2
        .value_kind:     hidden_remainder_y
      - .offset:         102
        .size:           2
        .value_kind:     hidden_remainder_z
      - .offset:         120
        .size:           8
        .value_kind:     hidden_global_offset_x
      - .offset:         128
        .size:           8
        .value_kind:     hidden_global_offset_y
      - .offset:         136
        .size:           8
        .value_kind:     hidden_global_offset_z
      - .offset:         144
        .size:           2
        .value_kind:     hidden_grid_dims
    .group_segment_fixed_size: 0
    .kernarg_segment_align: 8
    .kernarg_segment_size: 336
    .language:       OpenCL C
    .language_version:
      - 2
      - 0
    .max_flat_workgroup_size: 128
    .name:           _ZL33flash_attn_stream_k_fixup_generalILi128ELi2ELi1EEvPfPK15HIP_vector_typeIfLj2EEiiiiS1_IjLj3EES5_S5_S5_
    .private_segment_fixed_size: 0
    .sgpr_count:     46
    .sgpr_spill_count: 0
    .symbol:         _ZL33flash_attn_stream_k_fixup_generalILi128ELi2ELi1EEvPfPK15HIP_vector_typeIfLj2EEiiiiS1_IjLj3EES5_S5_S5_.kd
    .uniform_work_group_size: 1
    .uses_dynamic_stack: false
    .vgpr_count:     9
    .vgpr_spill_count: 0
    .wavefront_size: 32
    .workgroup_processor_mode: 1
  - .args:
      - .address_space:  global
        .offset:         0
        .size:           8
        .value_kind:     global_buffer
      - .address_space:  global
        .offset:         8
        .size:           8
        .value_kind:     global_buffer
      - .address_space:  global
        .offset:         16
        .size:           8
        .value_kind:     global_buffer
      - .address_space:  global
        .offset:         24
        .size:           8
        .value_kind:     global_buffer
      - .address_space:  global
        .offset:         32
        .size:           8
        .value_kind:     global_buffer
      - .address_space:  global
        .offset:         40
        .size:           8
        .value_kind:     global_buffer
      - .address_space:  global
        .offset:         48
        .size:           8
        .value_kind:     global_buffer
      - .address_space:  global
        .offset:         56
        .size:           8
        .value_kind:     global_buffer
      - .offset:         64
        .size:           4
        .value_kind:     by_value
      - .offset:         68
        .size:           4
        .value_kind:     by_value
      - .offset:         72
        .size:           4
        .value_kind:     by_value
      - .offset:         76
        .size:           4
        .value_kind:     by_value
      - .offset:         80
        .size:           4
        .value_kind:     by_value
      - .offset:         84
        .size:           4
        .value_kind:     by_value
      - .offset:         88
        .size:           4
        .value_kind:     by_value
      - .offset:         92
        .size:           12
        .value_kind:     by_value
      - .offset:         104
        .size:           4
        .value_kind:     by_value
      - .offset:         108
        .size:           4
        .value_kind:     by_value
      - .offset:         112
        .size:           4
        .value_kind:     by_value
      - .offset:         116
        .size:           4
        .value_kind:     by_value
      - .offset:         120
        .size:           4
        .value_kind:     by_value
      - .offset:         124
        .size:           4
        .value_kind:     by_value
      - .offset:         128
        .size:           4
        .value_kind:     by_value
      - .offset:         132
        .size:           4
        .value_kind:     by_value
      - .offset:         136
        .size:           4
        .value_kind:     by_value
      - .offset:         140
        .size:           4
        .value_kind:     by_value
      - .offset:         144
        .size:           4
        .value_kind:     by_value
      - .offset:         152
        .size:           8
        .value_kind:     by_value
      - .offset:         160
        .size:           4
        .value_kind:     by_value
      - .offset:         164
        .size:           4
        .value_kind:     by_value
      - .offset:         168
        .size:           8
        .value_kind:     by_value
      - .offset:         176
        .size:           4
        .value_kind:     by_value
      - .offset:         180
        .size:           4
        .value_kind:     by_value
      - .offset:         184
        .size:           4
        .value_kind:     by_value
      - .offset:         188
        .size:           4
        .value_kind:     by_value
      - .offset:         192
        .size:           4
        .value_kind:     by_value
      - .offset:         200
        .size:           8
        .value_kind:     by_value
      - .offset:         208
        .size:           4
        .value_kind:     hidden_block_count_x
      - .offset:         212
        .size:           4
        .value_kind:     hidden_block_count_y
      - .offset:         216
        .size:           4
        .value_kind:     hidden_block_count_z
      - .offset:         220
        .size:           2
        .value_kind:     hidden_group_size_x
      - .offset:         222
        .size:           2
        .value_kind:     hidden_group_size_y
      - .offset:         224
        .size:           2
        .value_kind:     hidden_group_size_z
      - .offset:         226
        .size:           2
        .value_kind:     hidden_remainder_x
      - .offset:         228
        .size:           2
        .value_kind:     hidden_remainder_y
      - .offset:         230
        .size:           2
        .value_kind:     hidden_remainder_z
      - .offset:         248
        .size:           8
        .value_kind:     hidden_global_offset_x
      - .offset:         256
        .size:           8
        .value_kind:     hidden_global_offset_y
      - .offset:         264
        .size:           8
        .value_kind:     hidden_global_offset_z
      - .offset:         272
        .size:           2
        .value_kind:     hidden_grid_dims
    .group_segment_fixed_size: 3584
    .kernarg_segment_align: 8
    .kernarg_segment_size: 464
    .language:       OpenCL C
    .language_version:
      - 2
      - 0
    .max_flat_workgroup_size: 128
    .name:           _ZL18flash_attn_ext_vecILi128ELi2EL9ggml_type3ELS0_2ELb1EEvPKcS2_S2_S2_S2_PKiPfP15HIP_vector_typeIfLj2EEffffjfiS6_IjLj3EEiiiiiiiiiiiliiliiiiil
    .private_segment_fixed_size: 140
    .sgpr_count:     58
    .sgpr_spill_count: 0
    .symbol:         _ZL18flash_attn_ext_vecILi128ELi2EL9ggml_type3ELS0_2ELb1EEvPKcS2_S2_S2_S2_PKiPfP15HIP_vector_typeIfLj2EEffffjfiS6_IjLj3EEiiiiiiiiiiiliiliiiiil.kd
    .uniform_work_group_size: 1
    .uses_dynamic_stack: false
    .vgpr_count:     256
    .vgpr_spill_count: 34
    .wavefront_size: 32
    .workgroup_processor_mode: 1
  - .args:
      - .address_space:  global
        .offset:         0
        .size:           8
        .value_kind:     global_buffer
      - .address_space:  global
        .offset:         8
        .size:           8
        .value_kind:     global_buffer
      - .address_space:  global
        .offset:         16
        .size:           8
        .value_kind:     global_buffer
      - .address_space:  global
        .offset:         24
        .size:           8
        .value_kind:     global_buffer
      - .address_space:  global
        .offset:         32
        .size:           8
        .value_kind:     global_buffer
      - .address_space:  global
        .offset:         40
        .size:           8
        .value_kind:     global_buffer
      - .address_space:  global
        .offset:         48
        .size:           8
        .value_kind:     global_buffer
      - .address_space:  global
        .offset:         56
        .size:           8
        .value_kind:     global_buffer
      - .offset:         64
        .size:           4
        .value_kind:     by_value
      - .offset:         68
        .size:           4
        .value_kind:     by_value
      - .offset:         72
        .size:           4
        .value_kind:     by_value
      - .offset:         76
        .size:           4
        .value_kind:     by_value
      - .offset:         80
        .size:           4
        .value_kind:     by_value
      - .offset:         84
        .size:           4
        .value_kind:     by_value
      - .offset:         88
        .size:           4
        .value_kind:     by_value
      - .offset:         92
        .size:           12
        .value_kind:     by_value
      - .offset:         104
        .size:           4
        .value_kind:     by_value
      - .offset:         108
        .size:           4
        .value_kind:     by_value
      - .offset:         112
        .size:           4
        .value_kind:     by_value
      - .offset:         116
        .size:           4
        .value_kind:     by_value
      - .offset:         120
        .size:           4
        .value_kind:     by_value
      - .offset:         124
        .size:           4
        .value_kind:     by_value
      - .offset:         128
        .size:           4
        .value_kind:     by_value
      - .offset:         132
        .size:           4
        .value_kind:     by_value
      - .offset:         136
        .size:           4
        .value_kind:     by_value
      - .offset:         140
        .size:           4
        .value_kind:     by_value
      - .offset:         144
        .size:           4
        .value_kind:     by_value
      - .offset:         152
        .size:           8
        .value_kind:     by_value
      - .offset:         160
        .size:           4
        .value_kind:     by_value
      - .offset:         164
        .size:           4
        .value_kind:     by_value
      - .offset:         168
        .size:           8
        .value_kind:     by_value
      - .offset:         176
        .size:           4
        .value_kind:     by_value
      - .offset:         180
        .size:           4
        .value_kind:     by_value
      - .offset:         184
        .size:           4
        .value_kind:     by_value
      - .offset:         188
        .size:           4
        .value_kind:     by_value
      - .offset:         192
        .size:           4
        .value_kind:     by_value
      - .offset:         200
        .size:           8
        .value_kind:     by_value
      - .offset:         208
        .size:           4
        .value_kind:     hidden_block_count_x
      - .offset:         212
        .size:           4
        .value_kind:     hidden_block_count_y
      - .offset:         216
        .size:           4
        .value_kind:     hidden_block_count_z
      - .offset:         220
        .size:           2
        .value_kind:     hidden_group_size_x
      - .offset:         222
        .size:           2
        .value_kind:     hidden_group_size_y
      - .offset:         224
        .size:           2
        .value_kind:     hidden_group_size_z
      - .offset:         226
        .size:           2
        .value_kind:     hidden_remainder_x
      - .offset:         228
        .size:           2
        .value_kind:     hidden_remainder_y
      - .offset:         230
        .size:           2
        .value_kind:     hidden_remainder_z
      - .offset:         248
        .size:           8
        .value_kind:     hidden_global_offset_x
      - .offset:         256
        .size:           8
        .value_kind:     hidden_global_offset_y
      - .offset:         264
        .size:           8
        .value_kind:     hidden_global_offset_z
      - .offset:         272
        .size:           2
        .value_kind:     hidden_grid_dims
    .group_segment_fixed_size: 2304
    .kernarg_segment_align: 8
    .kernarg_segment_size: 464
    .language:       OpenCL C
    .language_version:
      - 2
      - 0
    .max_flat_workgroup_size: 128
    .name:           _ZL18flash_attn_ext_vecILi256ELi1EL9ggml_type3ELS0_2ELb0EEvPKcS2_S2_S2_S2_PKiPfP15HIP_vector_typeIfLj2EEffffjfiS6_IjLj3EEiiiiiiiiiiiliiliiiiil
    .private_segment_fixed_size: 652
    .sgpr_count:     101
    .sgpr_spill_count: 0
    .symbol:         _ZL18flash_attn_ext_vecILi256ELi1EL9ggml_type3ELS0_2ELb0EEvPKcS2_S2_S2_S2_PKiPfP15HIP_vector_typeIfLj2EEffffjfiS6_IjLj3EEiiiiiiiiiiiliiliiiiil.kd
    .uniform_work_group_size: 1
    .uses_dynamic_stack: false
    .vgpr_count:     256
    .vgpr_spill_count: 259
    .wavefront_size: 32
    .workgroup_processor_mode: 1
  - .args:
      - .address_space:  global
        .offset:         0
        .size:           8
        .value_kind:     global_buffer
      - .address_space:  global
        .offset:         8
        .size:           8
        .value_kind:     global_buffer
      - .offset:         16
        .size:           4
        .value_kind:     by_value
      - .offset:         20
        .size:           4
        .value_kind:     by_value
      - .offset:         24
        .size:           4
        .value_kind:     by_value
      - .offset:         28
        .size:           4
        .value_kind:     by_value
      - .offset:         32
        .size:           4
        .value_kind:     by_value
      - .offset:         36
        .size:           4
        .value_kind:     by_value
      - .offset:         40
        .size:           12
        .value_kind:     by_value
      - .offset:         52
        .size:           12
        .value_kind:     by_value
      - .offset:         64
        .size:           12
        .value_kind:     by_value
    .group_segment_fixed_size: 0
    .kernarg_segment_align: 8
    .kernarg_segment_size: 76
    .language:       OpenCL C
    .language_version:
      - 2
      - 0
    .max_flat_workgroup_size: 256
    .name:           _ZL33flash_attn_stream_k_fixup_uniformILi256ELi1ELi1EEvPfPK15HIP_vector_typeIfLj2EEiiiiiiS1_IjLj3EES5_S5_
    .private_segment_fixed_size: 0
    .sgpr_count:     22
    .sgpr_spill_count: 0
    .symbol:         _ZL33flash_attn_stream_k_fixup_uniformILi256ELi1ELi1EEvPfPK15HIP_vector_typeIfLj2EEiiiiiiS1_IjLj3EES5_S5_.kd
    .uniform_work_group_size: 1
    .uses_dynamic_stack: false
    .vgpr_count:     11
    .vgpr_spill_count: 0
    .wavefront_size: 32
    .workgroup_processor_mode: 1
  - .args:
      - .address_space:  global
        .offset:         0
        .size:           8
        .value_kind:     global_buffer
      - .address_space:  global
        .offset:         8
        .size:           8
        .value_kind:     global_buffer
      - .offset:         16
        .size:           4
        .value_kind:     by_value
      - .offset:         20
        .size:           4
        .value_kind:     by_value
      - .offset:         24
        .size:           4
        .value_kind:     by_value
      - .offset:         28
        .size:           4
        .value_kind:     by_value
      - .offset:         32
        .size:           12
        .value_kind:     by_value
      - .offset:         44
        .size:           12
        .value_kind:     by_value
      - .offset:         56
        .size:           12
        .value_kind:     by_value
      - .offset:         68
        .size:           12
        .value_kind:     by_value
      - .offset:         80
        .size:           4
        .value_kind:     hidden_block_count_x
      - .offset:         84
        .size:           4
        .value_kind:     hidden_block_count_y
      - .offset:         88
        .size:           4
        .value_kind:     hidden_block_count_z
      - .offset:         92
        .size:           2
        .value_kind:     hidden_group_size_x
      - .offset:         94
        .size:           2
        .value_kind:     hidden_group_size_y
      - .offset:         96
        .size:           2
        .value_kind:     hidden_group_size_z
      - .offset:         98
        .size:           2
        .value_kind:     hidden_remainder_x
      - .offset:         100
        .size:           2
        .value_kind:     hidden_remainder_y
      - .offset:         102
        .size:           2
        .value_kind:     hidden_remainder_z
      - .offset:         120
        .size:           8
        .value_kind:     hidden_global_offset_x
      - .offset:         128
        .size:           8
        .value_kind:     hidden_global_offset_y
      - .offset:         136
        .size:           8
        .value_kind:     hidden_global_offset_z
      - .offset:         144
        .size:           2
        .value_kind:     hidden_grid_dims
    .group_segment_fixed_size: 0
    .kernarg_segment_align: 8
    .kernarg_segment_size: 336
    .language:       OpenCL C
    .language_version:
      - 2
      - 0
    .max_flat_workgroup_size: 256
    .name:           _ZL33flash_attn_stream_k_fixup_generalILi256ELi1ELi1EEvPfPK15HIP_vector_typeIfLj2EEiiiiS1_IjLj3EES5_S5_S5_
    .private_segment_fixed_size: 0
    .sgpr_count:     46
    .sgpr_spill_count: 0
    .symbol:         _ZL33flash_attn_stream_k_fixup_generalILi256ELi1ELi1EEvPfPK15HIP_vector_typeIfLj2EEiiiiS1_IjLj3EES5_S5_S5_.kd
    .uniform_work_group_size: 1
    .uses_dynamic_stack: false
    .vgpr_count:     9
    .vgpr_spill_count: 0
    .wavefront_size: 32
    .workgroup_processor_mode: 1
  - .args:
      - .address_space:  global
        .offset:         0
        .size:           8
        .value_kind:     global_buffer
      - .address_space:  global
        .offset:         8
        .size:           8
        .value_kind:     global_buffer
      - .address_space:  global
        .offset:         16
        .size:           8
        .value_kind:     global_buffer
      - .offset:         24
        .size:           4
        .value_kind:     by_value
      - .offset:         32
        .size:           4
        .value_kind:     hidden_block_count_x
      - .offset:         36
        .size:           4
        .value_kind:     hidden_block_count_y
      - .offset:         40
        .size:           4
        .value_kind:     hidden_block_count_z
      - .offset:         44
        .size:           2
        .value_kind:     hidden_group_size_x
      - .offset:         46
        .size:           2
        .value_kind:     hidden_group_size_y
      - .offset:         48
        .size:           2
        .value_kind:     hidden_group_size_z
      - .offset:         50
        .size:           2
        .value_kind:     hidden_remainder_x
      - .offset:         52
        .size:           2
        .value_kind:     hidden_remainder_y
      - .offset:         54
        .size:           2
        .value_kind:     hidden_remainder_z
      - .offset:         72
        .size:           8
        .value_kind:     hidden_global_offset_x
      - .offset:         80
        .size:           8
        .value_kind:     hidden_global_offset_y
      - .offset:         88
        .size:           8
        .value_kind:     hidden_global_offset_z
      - .offset:         96
        .size:           2
        .value_kind:     hidden_grid_dims
      - .offset:         152
        .size:           4
        .value_kind:     hidden_dynamic_lds_size
    .group_segment_fixed_size: 0
    .kernarg_segment_align: 8
    .kernarg_segment_size: 288
    .language:       OpenCL C
    .language_version:
      - 2
      - 0
    .max_flat_workgroup_size: 256
    .name:           _ZL26flash_attn_combine_resultsILi256EEvPKfPK15HIP_vector_typeIfLj2EEPfi
    .private_segment_fixed_size: 0
    .sgpr_count:     18
    .sgpr_spill_count: 0
    .symbol:         _ZL26flash_attn_combine_resultsILi256EEvPKfPK15HIP_vector_typeIfLj2EEPfi.kd
    .uniform_work_group_size: 1
    .uses_dynamic_stack: false
    .vgpr_count:     55
    .vgpr_spill_count: 0
    .wavefront_size: 32
    .workgroup_processor_mode: 1
  - .args:
      - .address_space:  global
        .offset:         0
        .size:           8
        .value_kind:     global_buffer
      - .address_space:  global
        .offset:         8
        .size:           8
        .value_kind:     global_buffer
      - .address_space:  global
        .offset:         16
        .size:           8
        .value_kind:     global_buffer
      - .address_space:  global
        .offset:         24
        .size:           8
        .value_kind:     global_buffer
      - .address_space:  global
        .offset:         32
        .size:           8
        .value_kind:     global_buffer
      - .address_space:  global
        .offset:         40
        .size:           8
        .value_kind:     global_buffer
      - .address_space:  global
        .offset:         48
        .size:           8
        .value_kind:     global_buffer
      - .address_space:  global
        .offset:         56
        .size:           8
        .value_kind:     global_buffer
      - .offset:         64
        .size:           4
        .value_kind:     by_value
      - .offset:         68
        .size:           4
        .value_kind:     by_value
      - .offset:         72
        .size:           4
        .value_kind:     by_value
      - .offset:         76
        .size:           4
        .value_kind:     by_value
      - .offset:         80
        .size:           4
        .value_kind:     by_value
      - .offset:         84
        .size:           4
        .value_kind:     by_value
      - .offset:         88
        .size:           4
        .value_kind:     by_value
      - .offset:         92
        .size:           12
        .value_kind:     by_value
      - .offset:         104
        .size:           4
        .value_kind:     by_value
      - .offset:         108
        .size:           4
        .value_kind:     by_value
      - .offset:         112
        .size:           4
        .value_kind:     by_value
      - .offset:         116
        .size:           4
        .value_kind:     by_value
      - .offset:         120
        .size:           4
        .value_kind:     by_value
      - .offset:         124
        .size:           4
        .value_kind:     by_value
      - .offset:         128
        .size:           4
        .value_kind:     by_value
      - .offset:         132
        .size:           4
        .value_kind:     by_value
      - .offset:         136
        .size:           4
        .value_kind:     by_value
      - .offset:         140
        .size:           4
        .value_kind:     by_value
      - .offset:         144
        .size:           4
        .value_kind:     by_value
      - .offset:         152
        .size:           8
        .value_kind:     by_value
      - .offset:         160
        .size:           4
        .value_kind:     by_value
      - .offset:         164
        .size:           4
        .value_kind:     by_value
      - .offset:         168
        .size:           8
        .value_kind:     by_value
      - .offset:         176
        .size:           4
        .value_kind:     by_value
      - .offset:         180
        .size:           4
        .value_kind:     by_value
      - .offset:         184
        .size:           4
        .value_kind:     by_value
      - .offset:         188
        .size:           4
        .value_kind:     by_value
      - .offset:         192
        .size:           4
        .value_kind:     by_value
      - .offset:         200
        .size:           8
        .value_kind:     by_value
      - .offset:         208
        .size:           4
        .value_kind:     hidden_block_count_x
      - .offset:         212
        .size:           4
        .value_kind:     hidden_block_count_y
      - .offset:         216
        .size:           4
        .value_kind:     hidden_block_count_z
      - .offset:         220
        .size:           2
        .value_kind:     hidden_group_size_x
      - .offset:         222
        .size:           2
        .value_kind:     hidden_group_size_y
      - .offset:         224
        .size:           2
        .value_kind:     hidden_group_size_z
      - .offset:         226
        .size:           2
        .value_kind:     hidden_remainder_x
      - .offset:         228
        .size:           2
        .value_kind:     hidden_remainder_y
      - .offset:         230
        .size:           2
        .value_kind:     hidden_remainder_z
      - .offset:         248
        .size:           8
        .value_kind:     hidden_global_offset_x
      - .offset:         256
        .size:           8
        .value_kind:     hidden_global_offset_y
      - .offset:         264
        .size:           8
        .value_kind:     hidden_global_offset_z
      - .offset:         272
        .size:           2
        .value_kind:     hidden_grid_dims
    .group_segment_fixed_size: 2304
    .kernarg_segment_align: 8
    .kernarg_segment_size: 464
    .language:       OpenCL C
    .language_version:
      - 2
      - 0
    .max_flat_workgroup_size: 128
    .name:           _ZL18flash_attn_ext_vecILi256ELi1EL9ggml_type3ELS0_2ELb1EEvPKcS2_S2_S2_S2_PKiPfP15HIP_vector_typeIfLj2EEffffjfiS6_IjLj3EEiiiiiiiiiiiliiliiiiil
    .private_segment_fixed_size: 668
    .sgpr_count:     103
    .sgpr_spill_count: 0
    .symbol:         _ZL18flash_attn_ext_vecILi256ELi1EL9ggml_type3ELS0_2ELb1EEvPKcS2_S2_S2_S2_PKiPfP15HIP_vector_typeIfLj2EEffffjfiS6_IjLj3EEiiiiiiiiiiiliiliiiiil.kd
    .uniform_work_group_size: 1
    .uses_dynamic_stack: false
    .vgpr_count:     256
    .vgpr_spill_count: 263
    .wavefront_size: 32
    .workgroup_processor_mode: 1
  - .args:
      - .address_space:  global
        .offset:         0
        .size:           8
        .value_kind:     global_buffer
      - .address_space:  global
        .offset:         8
        .size:           8
        .value_kind:     global_buffer
      - .address_space:  global
        .offset:         16
        .size:           8
        .value_kind:     global_buffer
      - .address_space:  global
        .offset:         24
        .size:           8
        .value_kind:     global_buffer
      - .address_space:  global
        .offset:         32
        .size:           8
        .value_kind:     global_buffer
      - .address_space:  global
        .offset:         40
        .size:           8
        .value_kind:     global_buffer
      - .address_space:  global
        .offset:         48
        .size:           8
        .value_kind:     global_buffer
      - .address_space:  global
        .offset:         56
        .size:           8
        .value_kind:     global_buffer
      - .offset:         64
        .size:           4
        .value_kind:     by_value
      - .offset:         68
        .size:           4
        .value_kind:     by_value
      - .offset:         72
        .size:           4
        .value_kind:     by_value
      - .offset:         76
        .size:           4
        .value_kind:     by_value
      - .offset:         80
        .size:           4
        .value_kind:     by_value
      - .offset:         84
        .size:           4
        .value_kind:     by_value
      - .offset:         88
        .size:           4
        .value_kind:     by_value
      - .offset:         92
        .size:           12
        .value_kind:     by_value
      - .offset:         104
        .size:           4
        .value_kind:     by_value
      - .offset:         108
        .size:           4
        .value_kind:     by_value
      - .offset:         112
        .size:           4
        .value_kind:     by_value
      - .offset:         116
        .size:           4
        .value_kind:     by_value
      - .offset:         120
        .size:           4
        .value_kind:     by_value
      - .offset:         124
        .size:           4
        .value_kind:     by_value
      - .offset:         128
        .size:           4
        .value_kind:     by_value
      - .offset:         132
        .size:           4
        .value_kind:     by_value
      - .offset:         136
        .size:           4
        .value_kind:     by_value
      - .offset:         140
        .size:           4
        .value_kind:     by_value
      - .offset:         144
        .size:           4
        .value_kind:     by_value
      - .offset:         152
        .size:           8
        .value_kind:     by_value
      - .offset:         160
        .size:           4
        .value_kind:     by_value
      - .offset:         164
        .size:           4
        .value_kind:     by_value
      - .offset:         168
        .size:           8
        .value_kind:     by_value
      - .offset:         176
        .size:           4
        .value_kind:     by_value
      - .offset:         180
        .size:           4
        .value_kind:     by_value
      - .offset:         184
        .size:           4
        .value_kind:     by_value
      - .offset:         188
        .size:           4
        .value_kind:     by_value
      - .offset:         192
        .size:           4
        .value_kind:     by_value
      - .offset:         200
        .size:           8
        .value_kind:     by_value
      - .offset:         208
        .size:           4
        .value_kind:     hidden_block_count_x
      - .offset:         212
        .size:           4
        .value_kind:     hidden_block_count_y
      - .offset:         216
        .size:           4
        .value_kind:     hidden_block_count_z
      - .offset:         220
        .size:           2
        .value_kind:     hidden_group_size_x
      - .offset:         222
        .size:           2
        .value_kind:     hidden_group_size_y
      - .offset:         224
        .size:           2
        .value_kind:     hidden_group_size_z
      - .offset:         226
        .size:           2
        .value_kind:     hidden_remainder_x
      - .offset:         228
        .size:           2
        .value_kind:     hidden_remainder_y
      - .offset:         230
        .size:           2
        .value_kind:     hidden_remainder_z
      - .offset:         248
        .size:           8
        .value_kind:     hidden_global_offset_x
      - .offset:         256
        .size:           8
        .value_kind:     hidden_global_offset_y
      - .offset:         264
        .size:           8
        .value_kind:     hidden_global_offset_z
      - .offset:         272
        .size:           2
        .value_kind:     hidden_grid_dims
    .group_segment_fixed_size: 6656
    .kernarg_segment_align: 8
    .kernarg_segment_size: 464
    .language:       OpenCL C
    .language_version:
      - 2
      - 0
    .max_flat_workgroup_size: 128
    .name:           _ZL18flash_attn_ext_vecILi256ELi2EL9ggml_type3ELS0_2ELb0EEvPKcS2_S2_S2_S2_PKiPfP15HIP_vector_typeIfLj2EEffffjfiS6_IjLj3EEiiiiiiiiiiiliiliiiiil
    .private_segment_fixed_size: 1196
    .sgpr_count:     99
    .sgpr_spill_count: 0
    .symbol:         _ZL18flash_attn_ext_vecILi256ELi2EL9ggml_type3ELS0_2ELb0EEvPKcS2_S2_S2_S2_PKiPfP15HIP_vector_typeIfLj2EEffffjfiS6_IjLj3EEiiiiiiiiiiiliiliiiiil.kd
    .uniform_work_group_size: 1
    .uses_dynamic_stack: false
    .vgpr_count:     256
    .vgpr_spill_count: 365
    .wavefront_size: 32
    .workgroup_processor_mode: 1
  - .args:
      - .address_space:  global
        .offset:         0
        .size:           8
        .value_kind:     global_buffer
      - .address_space:  global
        .offset:         8
        .size:           8
        .value_kind:     global_buffer
      - .offset:         16
        .size:           4
        .value_kind:     by_value
      - .offset:         20
        .size:           4
        .value_kind:     by_value
      - .offset:         24
        .size:           4
        .value_kind:     by_value
      - .offset:         28
        .size:           4
        .value_kind:     by_value
      - .offset:         32
        .size:           4
        .value_kind:     by_value
      - .offset:         36
        .size:           4
        .value_kind:     by_value
      - .offset:         40
        .size:           12
        .value_kind:     by_value
      - .offset:         52
        .size:           12
        .value_kind:     by_value
      - .offset:         64
        .size:           12
        .value_kind:     by_value
    .group_segment_fixed_size: 0
    .kernarg_segment_align: 8
    .kernarg_segment_size: 76
    .language:       OpenCL C
    .language_version:
      - 2
      - 0
    .max_flat_workgroup_size: 256
    .name:           _ZL33flash_attn_stream_k_fixup_uniformILi256ELi2ELi1EEvPfPK15HIP_vector_typeIfLj2EEiiiiiiS1_IjLj3EES5_S5_
    .private_segment_fixed_size: 0
    .sgpr_count:     18
    .sgpr_spill_count: 0
    .symbol:         _ZL33flash_attn_stream_k_fixup_uniformILi256ELi2ELi1EEvPfPK15HIP_vector_typeIfLj2EEiiiiiiS1_IjLj3EES5_S5_.kd
    .uniform_work_group_size: 1
    .uses_dynamic_stack: false
    .vgpr_count:     11
    .vgpr_spill_count: 0
    .wavefront_size: 32
    .workgroup_processor_mode: 1
  - .args:
      - .address_space:  global
        .offset:         0
        .size:           8
        .value_kind:     global_buffer
      - .address_space:  global
        .offset:         8
        .size:           8
        .value_kind:     global_buffer
      - .offset:         16
        .size:           4
        .value_kind:     by_value
      - .offset:         20
        .size:           4
        .value_kind:     by_value
      - .offset:         24
        .size:           4
        .value_kind:     by_value
      - .offset:         28
        .size:           4
        .value_kind:     by_value
      - .offset:         32
        .size:           12
        .value_kind:     by_value
      - .offset:         44
        .size:           12
        .value_kind:     by_value
      - .offset:         56
        .size:           12
        .value_kind:     by_value
      - .offset:         68
        .size:           12
        .value_kind:     by_value
      - .offset:         80
        .size:           4
        .value_kind:     hidden_block_count_x
      - .offset:         84
        .size:           4
        .value_kind:     hidden_block_count_y
      - .offset:         88
        .size:           4
        .value_kind:     hidden_block_count_z
      - .offset:         92
        .size:           2
        .value_kind:     hidden_group_size_x
      - .offset:         94
        .size:           2
        .value_kind:     hidden_group_size_y
      - .offset:         96
        .size:           2
        .value_kind:     hidden_group_size_z
      - .offset:         98
        .size:           2
        .value_kind:     hidden_remainder_x
      - .offset:         100
        .size:           2
        .value_kind:     hidden_remainder_y
      - .offset:         102
        .size:           2
        .value_kind:     hidden_remainder_z
      - .offset:         120
        .size:           8
        .value_kind:     hidden_global_offset_x
      - .offset:         128
        .size:           8
        .value_kind:     hidden_global_offset_y
      - .offset:         136
        .size:           8
        .value_kind:     hidden_global_offset_z
      - .offset:         144
        .size:           2
        .value_kind:     hidden_grid_dims
    .group_segment_fixed_size: 0
    .kernarg_segment_align: 8
    .kernarg_segment_size: 336
    .language:       OpenCL C
    .language_version:
      - 2
      - 0
    .max_flat_workgroup_size: 256
    .name:           _ZL33flash_attn_stream_k_fixup_generalILi256ELi2ELi1EEvPfPK15HIP_vector_typeIfLj2EEiiiiS1_IjLj3EES5_S5_S5_
    .private_segment_fixed_size: 0
    .sgpr_count:     46
    .sgpr_spill_count: 0
    .symbol:         _ZL33flash_attn_stream_k_fixup_generalILi256ELi2ELi1EEvPfPK15HIP_vector_typeIfLj2EEiiiiS1_IjLj3EES5_S5_S5_.kd
    .uniform_work_group_size: 1
    .uses_dynamic_stack: false
    .vgpr_count:     9
    .vgpr_spill_count: 0
    .wavefront_size: 32
    .workgroup_processor_mode: 1
  - .args:
      - .address_space:  global
        .offset:         0
        .size:           8
        .value_kind:     global_buffer
      - .address_space:  global
        .offset:         8
        .size:           8
        .value_kind:     global_buffer
      - .address_space:  global
        .offset:         16
        .size:           8
        .value_kind:     global_buffer
      - .address_space:  global
        .offset:         24
        .size:           8
        .value_kind:     global_buffer
      - .address_space:  global
        .offset:         32
        .size:           8
        .value_kind:     global_buffer
      - .address_space:  global
        .offset:         40
        .size:           8
        .value_kind:     global_buffer
      - .address_space:  global
        .offset:         48
        .size:           8
        .value_kind:     global_buffer
      - .address_space:  global
        .offset:         56
        .size:           8
        .value_kind:     global_buffer
      - .offset:         64
        .size:           4
        .value_kind:     by_value
      - .offset:         68
        .size:           4
        .value_kind:     by_value
      - .offset:         72
        .size:           4
        .value_kind:     by_value
      - .offset:         76
        .size:           4
        .value_kind:     by_value
      - .offset:         80
        .size:           4
        .value_kind:     by_value
      - .offset:         84
        .size:           4
        .value_kind:     by_value
      - .offset:         88
        .size:           4
        .value_kind:     by_value
      - .offset:         92
        .size:           12
        .value_kind:     by_value
      - .offset:         104
        .size:           4
        .value_kind:     by_value
      - .offset:         108
        .size:           4
        .value_kind:     by_value
      - .offset:         112
        .size:           4
        .value_kind:     by_value
      - .offset:         116
        .size:           4
        .value_kind:     by_value
      - .offset:         120
        .size:           4
        .value_kind:     by_value
      - .offset:         124
        .size:           4
        .value_kind:     by_value
      - .offset:         128
        .size:           4
        .value_kind:     by_value
      - .offset:         132
        .size:           4
        .value_kind:     by_value
      - .offset:         136
        .size:           4
        .value_kind:     by_value
      - .offset:         140
        .size:           4
        .value_kind:     by_value
      - .offset:         144
        .size:           4
        .value_kind:     by_value
      - .offset:         152
        .size:           8
        .value_kind:     by_value
      - .offset:         160
        .size:           4
        .value_kind:     by_value
      - .offset:         164
        .size:           4
        .value_kind:     by_value
      - .offset:         168
        .size:           8
        .value_kind:     by_value
      - .offset:         176
        .size:           4
        .value_kind:     by_value
      - .offset:         180
        .size:           4
        .value_kind:     by_value
      - .offset:         184
        .size:           4
        .value_kind:     by_value
      - .offset:         188
        .size:           4
        .value_kind:     by_value
      - .offset:         192
        .size:           4
        .value_kind:     by_value
      - .offset:         200
        .size:           8
        .value_kind:     by_value
      - .offset:         208
        .size:           4
        .value_kind:     hidden_block_count_x
      - .offset:         212
        .size:           4
        .value_kind:     hidden_block_count_y
      - .offset:         216
        .size:           4
        .value_kind:     hidden_block_count_z
      - .offset:         220
        .size:           2
        .value_kind:     hidden_group_size_x
      - .offset:         222
        .size:           2
        .value_kind:     hidden_group_size_y
      - .offset:         224
        .size:           2
        .value_kind:     hidden_group_size_z
      - .offset:         226
        .size:           2
        .value_kind:     hidden_remainder_x
      - .offset:         228
        .size:           2
        .value_kind:     hidden_remainder_y
      - .offset:         230
        .size:           2
        .value_kind:     hidden_remainder_z
      - .offset:         248
        .size:           8
        .value_kind:     hidden_global_offset_x
      - .offset:         256
        .size:           8
        .value_kind:     hidden_global_offset_y
      - .offset:         264
        .size:           8
        .value_kind:     hidden_global_offset_z
      - .offset:         272
        .size:           2
        .value_kind:     hidden_grid_dims
    .group_segment_fixed_size: 6656
    .kernarg_segment_align: 8
    .kernarg_segment_size: 464
    .language:       OpenCL C
    .language_version:
      - 2
      - 0
    .max_flat_workgroup_size: 128
    .name:           _ZL18flash_attn_ext_vecILi256ELi2EL9ggml_type3ELS0_2ELb1EEvPKcS2_S2_S2_S2_PKiPfP15HIP_vector_typeIfLj2EEffffjfiS6_IjLj3EEiiiiiiiiiiiliiliiiiil
    .private_segment_fixed_size: 1352
    .sgpr_count:     100
    .sgpr_spill_count: 0
    .symbol:         _ZL18flash_attn_ext_vecILi256ELi2EL9ggml_type3ELS0_2ELb1EEvPKcS2_S2_S2_S2_PKiPfP15HIP_vector_typeIfLj2EEffffjfiS6_IjLj3EEiiiiiiiiiiiliiliiiiil.kd
    .uniform_work_group_size: 1
    .uses_dynamic_stack: false
    .vgpr_count:     256
    .vgpr_spill_count: 404
    .wavefront_size: 32
    .workgroup_processor_mode: 1
amdhsa.target:   amdgcn-amd-amdhsa--gfx1201
amdhsa.version:
  - 1
  - 2
...

	.end_amdgpu_metadata
